;; amdgpu-corpus repo=ROCm/rocSOLVER kind=compiled arch=gfx90a opt=O3
	.text
	.amdgcn_target "amdgcn-amd-amdhsa--gfx90a"
	.amdhsa_code_object_version 6
	.section	.text._ZN9rocsolver6v33100L18trti2_kernel_smallILi1EfPfEEv13rocblas_fill_17rocblas_diagonal_T1_iil,"axG",@progbits,_ZN9rocsolver6v33100L18trti2_kernel_smallILi1EfPfEEv13rocblas_fill_17rocblas_diagonal_T1_iil,comdat
	.globl	_ZN9rocsolver6v33100L18trti2_kernel_smallILi1EfPfEEv13rocblas_fill_17rocblas_diagonal_T1_iil ; -- Begin function _ZN9rocsolver6v33100L18trti2_kernel_smallILi1EfPfEEv13rocblas_fill_17rocblas_diagonal_T1_iil
	.p2align	8
	.type	_ZN9rocsolver6v33100L18trti2_kernel_smallILi1EfPfEEv13rocblas_fill_17rocblas_diagonal_T1_iil,@function
_ZN9rocsolver6v33100L18trti2_kernel_smallILi1EfPfEEv13rocblas_fill_17rocblas_diagonal_T1_iil: ; @_ZN9rocsolver6v33100L18trti2_kernel_smallILi1EfPfEEv13rocblas_fill_17rocblas_diagonal_T1_iil
; %bb.0:
	v_cmp_eq_u32_e32 vcc, 0, v0
	s_and_saveexec_b64 s[0:1], vcc
	s_cbranch_execz .LBB0_2
; %bb.1:
	s_load_dword s0, s[4:5], 0x10
	s_load_dwordx2 s[2:3], s[4:5], 0x18
	s_load_dwordx2 s[8:9], s[4:5], 0x8
	s_ashr_i32 s7, s6, 31
	v_mov_b32_e32 v2, 0
	s_waitcnt lgkmcnt(0)
	s_ashr_i32 s1, s0, 31
	s_mul_i32 s3, s6, s3
	s_mul_hi_u32 s10, s6, s2
	s_add_i32 s3, s10, s3
	s_mul_i32 s7, s7, s2
	s_add_i32 s3, s3, s7
	s_mul_i32 s2, s6, s2
	s_lshl_b64 s[2:3], s[2:3], 2
	s_add_u32 s2, s8, s2
	s_addc_u32 s3, s9, s3
	s_lshl_b64 s[0:1], s[0:1], 2
	s_add_u32 s0, s2, s0
	s_addc_u32 s1, s3, s1
	s_load_dword s6, s[0:1], 0x0
	s_load_dword s7, s[4:5], 0x4
	s_waitcnt lgkmcnt(0)
	v_div_scale_f32 v0, s[2:3], s6, s6, 1.0
	v_rcp_f32_e32 v1, v0
	v_div_scale_f32 v4, vcc, 1.0, s6, 1.0
	s_cmpk_eq_i32 s7, 0x84
	v_fma_f32 v3, -v0, v1, 1.0
	v_fmac_f32_e32 v1, v3, v1
	v_mul_f32_e32 v5, v4, v1
	v_fma_f32 v6, -v0, v5, v4
	v_fmac_f32_e32 v5, v6, v1
	v_fma_f32 v0, -v0, v5, v4
	v_div_fmas_f32 v0, v0, v1, v5
	v_mov_b32_e32 v3, s6
	v_div_fixup_f32 v0, v0, s6, 1.0
	s_cselect_b64 vcc, -1, 0
	v_cndmask_b32_e32 v0, v0, v3, vcc
	global_store_dword v2, v0, s[0:1]
.LBB0_2:
	s_endpgm
	.section	.rodata,"a",@progbits
	.p2align	6, 0x0
	.amdhsa_kernel _ZN9rocsolver6v33100L18trti2_kernel_smallILi1EfPfEEv13rocblas_fill_17rocblas_diagonal_T1_iil
		.amdhsa_group_segment_fixed_size 0
		.amdhsa_private_segment_fixed_size 0
		.amdhsa_kernarg_size 32
		.amdhsa_user_sgpr_count 6
		.amdhsa_user_sgpr_private_segment_buffer 1
		.amdhsa_user_sgpr_dispatch_ptr 0
		.amdhsa_user_sgpr_queue_ptr 0
		.amdhsa_user_sgpr_kernarg_segment_ptr 1
		.amdhsa_user_sgpr_dispatch_id 0
		.amdhsa_user_sgpr_flat_scratch_init 0
		.amdhsa_user_sgpr_kernarg_preload_length 0
		.amdhsa_user_sgpr_kernarg_preload_offset 0
		.amdhsa_user_sgpr_private_segment_size 0
		.amdhsa_uses_dynamic_stack 0
		.amdhsa_system_sgpr_private_segment_wavefront_offset 0
		.amdhsa_system_sgpr_workgroup_id_x 1
		.amdhsa_system_sgpr_workgroup_id_y 0
		.amdhsa_system_sgpr_workgroup_id_z 0
		.amdhsa_system_sgpr_workgroup_info 0
		.amdhsa_system_vgpr_workitem_id 0
		.amdhsa_next_free_vgpr 7
		.amdhsa_next_free_sgpr 11
		.amdhsa_accum_offset 8
		.amdhsa_reserve_vcc 1
		.amdhsa_reserve_flat_scratch 0
		.amdhsa_float_round_mode_32 0
		.amdhsa_float_round_mode_16_64 0
		.amdhsa_float_denorm_mode_32 3
		.amdhsa_float_denorm_mode_16_64 3
		.amdhsa_dx10_clamp 1
		.amdhsa_ieee_mode 1
		.amdhsa_fp16_overflow 0
		.amdhsa_tg_split 0
		.amdhsa_exception_fp_ieee_invalid_op 0
		.amdhsa_exception_fp_denorm_src 0
		.amdhsa_exception_fp_ieee_div_zero 0
		.amdhsa_exception_fp_ieee_overflow 0
		.amdhsa_exception_fp_ieee_underflow 0
		.amdhsa_exception_fp_ieee_inexact 0
		.amdhsa_exception_int_div_zero 0
	.end_amdhsa_kernel
	.section	.text._ZN9rocsolver6v33100L18trti2_kernel_smallILi1EfPfEEv13rocblas_fill_17rocblas_diagonal_T1_iil,"axG",@progbits,_ZN9rocsolver6v33100L18trti2_kernel_smallILi1EfPfEEv13rocblas_fill_17rocblas_diagonal_T1_iil,comdat
.Lfunc_end0:
	.size	_ZN9rocsolver6v33100L18trti2_kernel_smallILi1EfPfEEv13rocblas_fill_17rocblas_diagonal_T1_iil, .Lfunc_end0-_ZN9rocsolver6v33100L18trti2_kernel_smallILi1EfPfEEv13rocblas_fill_17rocblas_diagonal_T1_iil
                                        ; -- End function
	.section	.AMDGPU.csdata,"",@progbits
; Kernel info:
; codeLenInByte = 220
; NumSgprs: 15
; NumVgprs: 7
; NumAgprs: 0
; TotalNumVgprs: 7
; ScratchSize: 0
; MemoryBound: 0
; FloatMode: 240
; IeeeMode: 1
; LDSByteSize: 0 bytes/workgroup (compile time only)
; SGPRBlocks: 1
; VGPRBlocks: 0
; NumSGPRsForWavesPerEU: 15
; NumVGPRsForWavesPerEU: 7
; AccumOffset: 8
; Occupancy: 8
; WaveLimiterHint : 0
; COMPUTE_PGM_RSRC2:SCRATCH_EN: 0
; COMPUTE_PGM_RSRC2:USER_SGPR: 6
; COMPUTE_PGM_RSRC2:TRAP_HANDLER: 0
; COMPUTE_PGM_RSRC2:TGID_X_EN: 1
; COMPUTE_PGM_RSRC2:TGID_Y_EN: 0
; COMPUTE_PGM_RSRC2:TGID_Z_EN: 0
; COMPUTE_PGM_RSRC2:TIDIG_COMP_CNT: 0
; COMPUTE_PGM_RSRC3_GFX90A:ACCUM_OFFSET: 1
; COMPUTE_PGM_RSRC3_GFX90A:TG_SPLIT: 0
	.section	.text._ZN9rocsolver6v33100L18trti2_kernel_smallILi2EfPfEEv13rocblas_fill_17rocblas_diagonal_T1_iil,"axG",@progbits,_ZN9rocsolver6v33100L18trti2_kernel_smallILi2EfPfEEv13rocblas_fill_17rocblas_diagonal_T1_iil,comdat
	.globl	_ZN9rocsolver6v33100L18trti2_kernel_smallILi2EfPfEEv13rocblas_fill_17rocblas_diagonal_T1_iil ; -- Begin function _ZN9rocsolver6v33100L18trti2_kernel_smallILi2EfPfEEv13rocblas_fill_17rocblas_diagonal_T1_iil
	.p2align	8
	.type	_ZN9rocsolver6v33100L18trti2_kernel_smallILi2EfPfEEv13rocblas_fill_17rocblas_diagonal_T1_iil,@function
_ZN9rocsolver6v33100L18trti2_kernel_smallILi2EfPfEEv13rocblas_fill_17rocblas_diagonal_T1_iil: ; @_ZN9rocsolver6v33100L18trti2_kernel_smallILi2EfPfEEv13rocblas_fill_17rocblas_diagonal_T1_iil
; %bb.0:
	v_cmp_gt_u32_e32 vcc, 2, v0
	s_and_saveexec_b64 s[0:1], vcc
	s_cbranch_execz .LBB1_20
; %bb.1:
	s_load_dwordx8 s[8:15], s[4:5], 0x0
	s_ashr_i32 s2, s6, 31
	v_lshlrev_b32_e32 v1, 2, v0
	v_mov_b32_e32 v8, -1.0
	s_waitcnt lgkmcnt(0)
	s_mul_i32 s3, s6, s15
	s_mul_hi_u32 s4, s6, s14
	s_add_i32 s3, s4, s3
	s_mul_i32 s2, s2, s14
	s_add_i32 s3, s3, s2
	s_mul_i32 s2, s6, s14
	s_ashr_i32 s1, s12, 31
	s_lshl_b64 s[2:3], s[2:3], 2
	s_mov_b32 s0, s12
	s_add_u32 s2, s10, s2
	s_addc_u32 s3, s11, s3
	s_lshl_b64 s[0:1], s[0:1], 2
	s_add_u32 s0, s2, s0
	s_addc_u32 s1, s3, s1
	v_mov_b32_e32 v3, s1
	v_add_co_u32_e32 v2, vcc, s0, v1
	s_ashr_i32 s3, s13, 31
	s_mov_b32 s2, s13
	v_addc_co_u32_e32 v3, vcc, 0, v3, vcc
	s_lshl_b64 s[2:3], s[2:3], 2
	v_mov_b32_e32 v5, s3
	v_add_co_u32_e32 v4, vcc, s2, v2
	v_addc_co_u32_e32 v5, vcc, v3, v5, vcc
	global_load_dword v6, v1, s[0:1]
	global_load_dword v7, v[4:5], off
	s_cmpk_lg_i32 s9, 0x84
	s_cselect_b64 s[4:5], -1, 0
	s_cmpk_eq_i32 s9, 0x84
	v_cmp_eq_u32_e64 s[0:1], 0, v0
	s_cbranch_scc1 .LBB1_3
; %bb.2:
	v_cmp_eq_u32_e64 s[2:3], 1, v0
	s_waitcnt vmcnt(0)
	v_cndmask_b32_e64 v8, v6, v7, s[2:3]
	v_div_scale_f32 v9, s[6:7], v8, v8, 1.0
	v_rcp_f32_e32 v10, v9
	v_fma_f32 v11, -v9, v10, 1.0
	v_fmac_f32_e32 v10, v11, v10
	v_div_scale_f32 v11, vcc, 1.0, v8, 1.0
	v_mul_f32_e32 v12, v11, v10
	v_fma_f32 v13, -v9, v12, v11
	v_fmac_f32_e32 v12, v13, v10
	v_fma_f32 v9, -v9, v12, v11
	v_div_fmas_f32 v9, v9, v10, v12
	v_div_fixup_f32 v8, v9, v8, 1.0
	v_cndmask_b32_e64 v7, v7, v8, s[2:3]
	v_cndmask_b32_e64 v6, v6, v8, s[0:1]
	v_xor_b32_e32 v8, 0x80000000, v8
.LBB1_3:
	ds_write_b32 v1, v8
	s_cmpk_lg_i32 s8, 0x79
	v_add_u32_e32 v1, 8, v1
	s_cbranch_scc0 .LBB1_7
; %bb.4:
	v_cmp_eq_u32_e32 vcc, 1, v0
	s_waitcnt vmcnt(0)
	v_pk_mov_b32 v[8:9], v[6:7], v[6:7] op_sel:[0,1]
	ds_write_b32 v1, v6
	s_waitcnt lgkmcnt(0)
	; wave barrier
	s_waitcnt lgkmcnt(0)
	s_and_saveexec_b64 s[0:1], vcc
	s_cbranch_execz .LBB1_11
; %bb.5:
	s_and_b64 vcc, exec, s[4:5]
	s_cbranch_vccz .LBB1_8
; %bb.6:
	ds_read_b32 v8, v1
	v_cmp_eq_u32_e32 vcc, 1, v0
	v_cndmask_b32_e32 v9, v6, v7, vcc
	s_waitcnt lgkmcnt(0)
	v_mul_f32_e32 v8, v9, v8
	s_cbranch_execz .LBB1_9
	s_branch .LBB1_10
.LBB1_7:
                                        ; implicit-def: $vgpr8_vgpr9
	s_branch .LBB1_12
.LBB1_8:
                                        ; implicit-def: $vgpr8
.LBB1_9:
	ds_read_b32 v8, v1
.LBB1_10:
	v_mov_b32_e32 v9, 0
	ds_read_b32 v9, v9
	s_waitcnt lgkmcnt(0)
	v_mul_f32_e32 v8, v8, v9
	v_mov_b32_e32 v9, v7
.LBB1_11:
	s_or_b64 exec, exec, s[0:1]
	s_cbranch_execnz .LBB1_19
.LBB1_12:
	v_cmp_eq_u32_e32 vcc, 0, v0
	s_waitcnt vmcnt(0)
	ds_write_b32 v1, v7
	s_waitcnt lgkmcnt(0)
	; wave barrier
	s_waitcnt lgkmcnt(0)
	s_and_saveexec_b64 s[0:1], vcc
	s_cbranch_execz .LBB1_18
; %bb.13:
	s_and_b64 vcc, exec, s[4:5]
	s_cbranch_vccz .LBB1_15
; %bb.14:
	ds_read_b32 v8, v1
	v_cmp_eq_u32_e32 vcc, 1, v0
	v_cndmask_b32_e32 v0, v6, v7, vcc
	s_waitcnt lgkmcnt(0)
	v_mul_f32_e32 v0, v0, v8
	s_cbranch_execz .LBB1_16
	s_branch .LBB1_17
.LBB1_15:
                                        ; implicit-def: $vgpr0
.LBB1_16:
	ds_read_b32 v0, v1
.LBB1_17:
	v_mov_b32_e32 v1, 0
	ds_read_b32 v1, v1 offset:4
	s_waitcnt lgkmcnt(0)
	v_mul_f32_e32 v7, v0, v1
.LBB1_18:
	s_or_b64 exec, exec, s[0:1]
	v_pk_mov_b32 v[8:9], v[6:7], v[6:7] op_sel:[0,1]
.LBB1_19:
	global_store_dword v[2:3], v8, off
	global_store_dword v[4:5], v9, off
.LBB1_20:
	s_endpgm
	.section	.rodata,"a",@progbits
	.p2align	6, 0x0
	.amdhsa_kernel _ZN9rocsolver6v33100L18trti2_kernel_smallILi2EfPfEEv13rocblas_fill_17rocblas_diagonal_T1_iil
		.amdhsa_group_segment_fixed_size 16
		.amdhsa_private_segment_fixed_size 0
		.amdhsa_kernarg_size 32
		.amdhsa_user_sgpr_count 6
		.amdhsa_user_sgpr_private_segment_buffer 1
		.amdhsa_user_sgpr_dispatch_ptr 0
		.amdhsa_user_sgpr_queue_ptr 0
		.amdhsa_user_sgpr_kernarg_segment_ptr 1
		.amdhsa_user_sgpr_dispatch_id 0
		.amdhsa_user_sgpr_flat_scratch_init 0
		.amdhsa_user_sgpr_kernarg_preload_length 0
		.amdhsa_user_sgpr_kernarg_preload_offset 0
		.amdhsa_user_sgpr_private_segment_size 0
		.amdhsa_uses_dynamic_stack 0
		.amdhsa_system_sgpr_private_segment_wavefront_offset 0
		.amdhsa_system_sgpr_workgroup_id_x 1
		.amdhsa_system_sgpr_workgroup_id_y 0
		.amdhsa_system_sgpr_workgroup_id_z 0
		.amdhsa_system_sgpr_workgroup_info 0
		.amdhsa_system_vgpr_workitem_id 0
		.amdhsa_next_free_vgpr 14
		.amdhsa_next_free_sgpr 16
		.amdhsa_accum_offset 16
		.amdhsa_reserve_vcc 1
		.amdhsa_reserve_flat_scratch 0
		.amdhsa_float_round_mode_32 0
		.amdhsa_float_round_mode_16_64 0
		.amdhsa_float_denorm_mode_32 3
		.amdhsa_float_denorm_mode_16_64 3
		.amdhsa_dx10_clamp 1
		.amdhsa_ieee_mode 1
		.amdhsa_fp16_overflow 0
		.amdhsa_tg_split 0
		.amdhsa_exception_fp_ieee_invalid_op 0
		.amdhsa_exception_fp_denorm_src 0
		.amdhsa_exception_fp_ieee_div_zero 0
		.amdhsa_exception_fp_ieee_overflow 0
		.amdhsa_exception_fp_ieee_underflow 0
		.amdhsa_exception_fp_ieee_inexact 0
		.amdhsa_exception_int_div_zero 0
	.end_amdhsa_kernel
	.section	.text._ZN9rocsolver6v33100L18trti2_kernel_smallILi2EfPfEEv13rocblas_fill_17rocblas_diagonal_T1_iil,"axG",@progbits,_ZN9rocsolver6v33100L18trti2_kernel_smallILi2EfPfEEv13rocblas_fill_17rocblas_diagonal_T1_iil,comdat
.Lfunc_end1:
	.size	_ZN9rocsolver6v33100L18trti2_kernel_smallILi2EfPfEEv13rocblas_fill_17rocblas_diagonal_T1_iil, .Lfunc_end1-_ZN9rocsolver6v33100L18trti2_kernel_smallILi2EfPfEEv13rocblas_fill_17rocblas_diagonal_T1_iil
                                        ; -- End function
	.section	.AMDGPU.csdata,"",@progbits
; Kernel info:
; codeLenInByte = 560
; NumSgprs: 20
; NumVgprs: 14
; NumAgprs: 0
; TotalNumVgprs: 14
; ScratchSize: 0
; MemoryBound: 0
; FloatMode: 240
; IeeeMode: 1
; LDSByteSize: 16 bytes/workgroup (compile time only)
; SGPRBlocks: 2
; VGPRBlocks: 1
; NumSGPRsForWavesPerEU: 20
; NumVGPRsForWavesPerEU: 14
; AccumOffset: 16
; Occupancy: 8
; WaveLimiterHint : 0
; COMPUTE_PGM_RSRC2:SCRATCH_EN: 0
; COMPUTE_PGM_RSRC2:USER_SGPR: 6
; COMPUTE_PGM_RSRC2:TRAP_HANDLER: 0
; COMPUTE_PGM_RSRC2:TGID_X_EN: 1
; COMPUTE_PGM_RSRC2:TGID_Y_EN: 0
; COMPUTE_PGM_RSRC2:TGID_Z_EN: 0
; COMPUTE_PGM_RSRC2:TIDIG_COMP_CNT: 0
; COMPUTE_PGM_RSRC3_GFX90A:ACCUM_OFFSET: 3
; COMPUTE_PGM_RSRC3_GFX90A:TG_SPLIT: 0
	.section	.text._ZN9rocsolver6v33100L18trti2_kernel_smallILi3EfPfEEv13rocblas_fill_17rocblas_diagonal_T1_iil,"axG",@progbits,_ZN9rocsolver6v33100L18trti2_kernel_smallILi3EfPfEEv13rocblas_fill_17rocblas_diagonal_T1_iil,comdat
	.globl	_ZN9rocsolver6v33100L18trti2_kernel_smallILi3EfPfEEv13rocblas_fill_17rocblas_diagonal_T1_iil ; -- Begin function _ZN9rocsolver6v33100L18trti2_kernel_smallILi3EfPfEEv13rocblas_fill_17rocblas_diagonal_T1_iil
	.p2align	8
	.type	_ZN9rocsolver6v33100L18trti2_kernel_smallILi3EfPfEEv13rocblas_fill_17rocblas_diagonal_T1_iil,@function
_ZN9rocsolver6v33100L18trti2_kernel_smallILi3EfPfEEv13rocblas_fill_17rocblas_diagonal_T1_iil: ; @_ZN9rocsolver6v33100L18trti2_kernel_smallILi3EfPfEEv13rocblas_fill_17rocblas_diagonal_T1_iil
; %bb.0:
	v_cmp_gt_u32_e32 vcc, 3, v0
	s_and_saveexec_b64 s[0:1], vcc
	s_cbranch_execz .LBB2_34
; %bb.1:
	s_load_dwordx8 s[8:15], s[4:5], 0x0
	s_ashr_i32 s2, s6, 31
	v_lshlrev_b32_e32 v1, 2, v0
	s_waitcnt lgkmcnt(0)
	s_mul_i32 s3, s6, s15
	s_mul_hi_u32 s4, s6, s14
	s_add_i32 s3, s4, s3
	s_mul_i32 s2, s2, s14
	s_add_i32 s3, s3, s2
	s_mul_i32 s2, s6, s14
	s_ashr_i32 s1, s12, 31
	s_lshl_b64 s[2:3], s[2:3], 2
	s_mov_b32 s0, s12
	s_add_u32 s2, s10, s2
	s_addc_u32 s3, s11, s3
	s_lshl_b64 s[0:1], s[0:1], 2
	s_add_u32 s0, s2, s0
	s_addc_u32 s1, s3, s1
	v_mov_b32_e32 v2, s1
	v_add_co_u32_e32 v10, vcc, s0, v1
	s_ashr_i32 s3, s13, 31
	s_mov_b32 s2, s13
	v_addc_co_u32_e32 v11, vcc, 0, v2, vcc
	s_lshl_b64 s[2:3], s[2:3], 2
	v_add_co_u32_e32 v12, vcc, s2, v10
	s_add_i32 s2, s13, s13
	v_add_u32_e32 v4, s2, v0
	v_mov_b32_e32 v2, s3
	v_ashrrev_i32_e32 v5, 31, v4
	v_addc_co_u32_e32 v13, vcc, v11, v2, vcc
	v_lshlrev_b64 v[4:5], 2, v[4:5]
	v_mov_b32_e32 v2, s1
	v_add_co_u32_e32 v14, vcc, s0, v4
	global_load_dword v3, v[12:13], off
	v_addc_co_u32_e32 v15, vcc, v2, v5, vcc
	global_load_dword v2, v1, s[0:1]
	global_load_dword v4, v[14:15], off
	s_cmpk_lg_i32 s9, 0x84
	s_cselect_b64 s[6:7], -1, 0
	s_cmpk_eq_i32 s9, 0x84
	v_mov_b32_e32 v5, -1.0
	v_cmp_eq_u32_e64 s[0:1], 0, v0
	s_cbranch_scc1 .LBB2_3
; %bb.2:
	v_cmp_eq_u32_e64 s[2:3], 1, v0
	s_waitcnt vmcnt(1)
	v_cndmask_b32_e64 v5, v2, v3, s[2:3]
	v_cmp_eq_u32_e64 s[4:5], 2, v0
	s_waitcnt vmcnt(0)
	v_cndmask_b32_e64 v5, v5, v4, s[4:5]
	v_div_scale_f32 v6, s[10:11], v5, v5, 1.0
	v_rcp_f32_e32 v7, v6
	v_fma_f32 v8, -v6, v7, 1.0
	v_fmac_f32_e32 v7, v8, v7
	v_div_scale_f32 v8, vcc, 1.0, v5, 1.0
	v_mul_f32_e32 v9, v8, v7
	v_fma_f32 v16, -v6, v9, v8
	v_fmac_f32_e32 v9, v16, v7
	v_fma_f32 v6, -v6, v9, v8
	v_div_fmas_f32 v6, v6, v7, v9
	v_div_fixup_f32 v5, v6, v5, 1.0
	v_cndmask_b32_e64 v4, v4, v5, s[4:5]
	v_cndmask_b32_e64 v3, v3, v5, s[2:3]
	;; [unrolled: 1-line block ×3, first 2 shown]
	v_xor_b32_e32 v5, 0x80000000, v5
.LBB2_3:
	ds_write_b32 v1, v5
	s_cmpk_eq_i32 s8, 0x79
	v_add_u32_e32 v1, 16, v1
	s_cbranch_scc1 .LBB2_7
; %bb.4:
	s_waitcnt vmcnt(0)
	v_mov_b32_e32 v8, v4
	v_cmp_eq_u32_e64 s[0:1], 2, v0
	v_mov_b32_e32 v7, v3
	v_mov_b32_e32 v6, v2
	ds_write_b32 v1, v3
	s_waitcnt lgkmcnt(0)
	; wave barrier
	s_waitcnt lgkmcnt(0)
	s_and_saveexec_b64 s[2:3], s[0:1]
	s_cbranch_execz .LBB2_11
; %bb.5:
	s_and_b64 vcc, exec, s[6:7]
	s_cbranch_vccz .LBB2_8
; %bb.6:
	ds_read_b32 v5, v1
	v_cmp_eq_u32_e32 vcc, 1, v0
	v_cndmask_b32_e32 v6, v2, v3, vcc
	v_cmp_eq_u32_e32 vcc, 2, v0
	v_cndmask_b32_e32 v6, v6, v4, vcc
	s_waitcnt lgkmcnt(0)
	v_mul_f32_e32 v5, v6, v5
	s_cbranch_execz .LBB2_9
	s_branch .LBB2_10
.LBB2_7:
                                        ; implicit-def: $vgpr6_vgpr7_vgpr8
	s_cbranch_execnz .LBB2_18
	s_branch .LBB2_33
.LBB2_8:
                                        ; implicit-def: $vgpr5
.LBB2_9:
	ds_read_b32 v5, v1
.LBB2_10:
	v_mov_b32_e32 v6, 0
	ds_read_b32 v6, v6 offset:4
	s_waitcnt lgkmcnt(0)
	v_mul_f32_e32 v5, v5, v6
	v_mov_b32_e32 v8, v4
	v_mov_b32_e32 v7, v3
	v_mov_b32_e32 v6, v2
	v_mov_b32_e32 v7, v5
.LBB2_11:
	s_or_b64 exec, exec, s[2:3]
	v_cmp_ne_u32_e32 vcc, 0, v0
	ds_write_b32 v1, v6
	s_waitcnt lgkmcnt(0)
	; wave barrier
	s_waitcnt lgkmcnt(0)
	s_and_saveexec_b64 s[2:3], vcc
	s_cbranch_execz .LBB2_17
; %bb.12:
	s_andn2_b64 vcc, exec, s[6:7]
	s_cbranch_vccnz .LBB2_14
; %bb.13:
	ds_read_b32 v5, v1
	v_cmp_eq_u32_e32 vcc, 1, v0
	v_cndmask_b32_e32 v6, v6, v7, vcc
	v_cmp_eq_u32_e32 vcc, 2, v0
	v_cndmask_b32_e32 v6, v6, v8, vcc
	s_waitcnt lgkmcnt(0)
	v_mul_f32_e32 v5, v6, v5
	s_cbranch_execz .LBB2_15
	s_branch .LBB2_16
.LBB2_14:
                                        ; implicit-def: $vgpr5
.LBB2_15:
	ds_read_b32 v5, v1
.LBB2_16:
	v_mov_b32_e32 v6, 0
	ds_read2_b32 v[16:17], v6 offset1:5
	s_waitcnt lgkmcnt(0)
	v_fma_f32 v6, v7, v17, v5
	v_cndmask_b32_e64 v5, v5, v6, s[0:1]
	v_mul_f32_e32 v6, v5, v16
.LBB2_17:
	s_or_b64 exec, exec, s[2:3]
	s_branch .LBB2_33
.LBB2_18:
	v_cmp_eq_u32_e64 s[0:1], 0, v0
	s_waitcnt vmcnt(2)
	ds_write_b32 v1, v3
	s_waitcnt lgkmcnt(0)
	; wave barrier
	s_waitcnt lgkmcnt(0)
	s_and_saveexec_b64 s[2:3], s[0:1]
	s_cbranch_execz .LBB2_24
; %bb.19:
	s_and_b64 vcc, exec, s[6:7]
	s_cbranch_vccz .LBB2_21
; %bb.20:
	ds_read_b32 v5, v1
	v_cmp_eq_u32_e32 vcc, 1, v0
	s_waitcnt vmcnt(1)
	v_cndmask_b32_e32 v3, v2, v3, vcc
	v_cmp_eq_u32_e32 vcc, 2, v0
	s_waitcnt vmcnt(0)
	v_cndmask_b32_e32 v3, v3, v4, vcc
	s_waitcnt lgkmcnt(0)
	v_mul_f32_e32 v3, v3, v5
	s_cbranch_execz .LBB2_22
	s_branch .LBB2_23
.LBB2_21:
                                        ; implicit-def: $vgpr3
.LBB2_22:
	ds_read_b32 v3, v1
.LBB2_23:
	v_mov_b32_e32 v5, 0
	ds_read_b32 v5, v5 offset:4
	s_waitcnt lgkmcnt(0)
	v_mul_f32_e32 v3, v3, v5
.LBB2_24:
	s_or_b64 exec, exec, s[2:3]
	v_cmp_ne_u32_e32 vcc, 2, v0
	s_waitcnt vmcnt(0)
	ds_write_b32 v1, v4
	s_waitcnt lgkmcnt(0)
	; wave barrier
	s_waitcnt lgkmcnt(0)
	s_and_saveexec_b64 s[2:3], vcc
	s_cbranch_execz .LBB2_32
; %bb.25:
	s_andn2_b64 vcc, exec, s[6:7]
	s_cbranch_vccnz .LBB2_27
; %bb.26:
	ds_read_b32 v5, v1
	v_cmp_eq_u32_e32 vcc, 1, v0
	v_cndmask_b32_e32 v6, v2, v3, vcc
	v_cmp_eq_u32_e32 vcc, 2, v0
	v_cndmask_b32_e32 v6, v6, v4, vcc
	s_waitcnt lgkmcnt(0)
	v_mul_f32_e32 v5, v6, v5
	s_cbranch_execz .LBB2_28
	s_branch .LBB2_29
.LBB2_27:
                                        ; implicit-def: $vgpr5
.LBB2_28:
	ds_read_b32 v5, v1
.LBB2_29:
	s_and_saveexec_b64 s[4:5], s[0:1]
	s_cbranch_execz .LBB2_31
; %bb.30:
	ds_read_b32 v1, v1 offset:4
	v_add_u32_e32 v0, 1, v0
	v_cmp_eq_u32_e32 vcc, 1, v0
	v_cndmask_b32_e32 v6, v2, v3, vcc
	v_cmp_eq_u32_e32 vcc, 2, v0
	v_cndmask_b32_e32 v0, v6, v4, vcc
	s_waitcnt lgkmcnt(0)
	v_fmac_f32_e32 v5, v0, v1
.LBB2_31:
	s_or_b64 exec, exec, s[4:5]
	v_mov_b32_e32 v0, 0
	ds_read_b32 v0, v0 offset:8
	s_waitcnt lgkmcnt(0)
	v_mul_f32_e32 v4, v5, v0
.LBB2_32:
	s_or_b64 exec, exec, s[2:3]
	v_mov_b32_e32 v8, v4
	v_mov_b32_e32 v7, v3
	;; [unrolled: 1-line block ×3, first 2 shown]
.LBB2_33:
	global_store_dword v[10:11], v6, off
	global_store_dword v[12:13], v7, off
	;; [unrolled: 1-line block ×3, first 2 shown]
.LBB2_34:
	s_endpgm
	.section	.rodata,"a",@progbits
	.p2align	6, 0x0
	.amdhsa_kernel _ZN9rocsolver6v33100L18trti2_kernel_smallILi3EfPfEEv13rocblas_fill_17rocblas_diagonal_T1_iil
		.amdhsa_group_segment_fixed_size 28
		.amdhsa_private_segment_fixed_size 0
		.amdhsa_kernarg_size 32
		.amdhsa_user_sgpr_count 6
		.amdhsa_user_sgpr_private_segment_buffer 1
		.amdhsa_user_sgpr_dispatch_ptr 0
		.amdhsa_user_sgpr_queue_ptr 0
		.amdhsa_user_sgpr_kernarg_segment_ptr 1
		.amdhsa_user_sgpr_dispatch_id 0
		.amdhsa_user_sgpr_flat_scratch_init 0
		.amdhsa_user_sgpr_kernarg_preload_length 0
		.amdhsa_user_sgpr_kernarg_preload_offset 0
		.amdhsa_user_sgpr_private_segment_size 0
		.amdhsa_uses_dynamic_stack 0
		.amdhsa_system_sgpr_private_segment_wavefront_offset 0
		.amdhsa_system_sgpr_workgroup_id_x 1
		.amdhsa_system_sgpr_workgroup_id_y 0
		.amdhsa_system_sgpr_workgroup_id_z 0
		.amdhsa_system_sgpr_workgroup_info 0
		.amdhsa_system_vgpr_workitem_id 0
		.amdhsa_next_free_vgpr 18
		.amdhsa_next_free_sgpr 16
		.amdhsa_accum_offset 20
		.amdhsa_reserve_vcc 1
		.amdhsa_reserve_flat_scratch 0
		.amdhsa_float_round_mode_32 0
		.amdhsa_float_round_mode_16_64 0
		.amdhsa_float_denorm_mode_32 3
		.amdhsa_float_denorm_mode_16_64 3
		.amdhsa_dx10_clamp 1
		.amdhsa_ieee_mode 1
		.amdhsa_fp16_overflow 0
		.amdhsa_tg_split 0
		.amdhsa_exception_fp_ieee_invalid_op 0
		.amdhsa_exception_fp_denorm_src 0
		.amdhsa_exception_fp_ieee_div_zero 0
		.amdhsa_exception_fp_ieee_overflow 0
		.amdhsa_exception_fp_ieee_underflow 0
		.amdhsa_exception_fp_ieee_inexact 0
		.amdhsa_exception_int_div_zero 0
	.end_amdhsa_kernel
	.section	.text._ZN9rocsolver6v33100L18trti2_kernel_smallILi3EfPfEEv13rocblas_fill_17rocblas_diagonal_T1_iil,"axG",@progbits,_ZN9rocsolver6v33100L18trti2_kernel_smallILi3EfPfEEv13rocblas_fill_17rocblas_diagonal_T1_iil,comdat
.Lfunc_end2:
	.size	_ZN9rocsolver6v33100L18trti2_kernel_smallILi3EfPfEEv13rocblas_fill_17rocblas_diagonal_T1_iil, .Lfunc_end2-_ZN9rocsolver6v33100L18trti2_kernel_smallILi3EfPfEEv13rocblas_fill_17rocblas_diagonal_T1_iil
                                        ; -- End function
	.section	.AMDGPU.csdata,"",@progbits
; Kernel info:
; codeLenInByte = 976
; NumSgprs: 20
; NumVgprs: 18
; NumAgprs: 0
; TotalNumVgprs: 18
; ScratchSize: 0
; MemoryBound: 0
; FloatMode: 240
; IeeeMode: 1
; LDSByteSize: 28 bytes/workgroup (compile time only)
; SGPRBlocks: 2
; VGPRBlocks: 2
; NumSGPRsForWavesPerEU: 20
; NumVGPRsForWavesPerEU: 18
; AccumOffset: 20
; Occupancy: 8
; WaveLimiterHint : 0
; COMPUTE_PGM_RSRC2:SCRATCH_EN: 0
; COMPUTE_PGM_RSRC2:USER_SGPR: 6
; COMPUTE_PGM_RSRC2:TRAP_HANDLER: 0
; COMPUTE_PGM_RSRC2:TGID_X_EN: 1
; COMPUTE_PGM_RSRC2:TGID_Y_EN: 0
; COMPUTE_PGM_RSRC2:TGID_Z_EN: 0
; COMPUTE_PGM_RSRC2:TIDIG_COMP_CNT: 0
; COMPUTE_PGM_RSRC3_GFX90A:ACCUM_OFFSET: 4
; COMPUTE_PGM_RSRC3_GFX90A:TG_SPLIT: 0
	.section	.text._ZN9rocsolver6v33100L18trti2_kernel_smallILi4EfPfEEv13rocblas_fill_17rocblas_diagonal_T1_iil,"axG",@progbits,_ZN9rocsolver6v33100L18trti2_kernel_smallILi4EfPfEEv13rocblas_fill_17rocblas_diagonal_T1_iil,comdat
	.globl	_ZN9rocsolver6v33100L18trti2_kernel_smallILi4EfPfEEv13rocblas_fill_17rocblas_diagonal_T1_iil ; -- Begin function _ZN9rocsolver6v33100L18trti2_kernel_smallILi4EfPfEEv13rocblas_fill_17rocblas_diagonal_T1_iil
	.p2align	8
	.type	_ZN9rocsolver6v33100L18trti2_kernel_smallILi4EfPfEEv13rocblas_fill_17rocblas_diagonal_T1_iil,@function
_ZN9rocsolver6v33100L18trti2_kernel_smallILi4EfPfEEv13rocblas_fill_17rocblas_diagonal_T1_iil: ; @_ZN9rocsolver6v33100L18trti2_kernel_smallILi4EfPfEEv13rocblas_fill_17rocblas_diagonal_T1_iil
; %bb.0:
	v_cmp_gt_u32_e32 vcc, 4, v0
	s_and_saveexec_b64 s[0:1], vcc
	s_cbranch_execz .LBB3_58
; %bb.1:
	s_load_dwordx8 s[8:15], s[4:5], 0x0
	s_ashr_i32 s2, s6, 31
	v_lshlrev_b32_e32 v1, 2, v0
	s_waitcnt lgkmcnt(0)
	s_mul_i32 s3, s6, s15
	s_mul_hi_u32 s4, s6, s14
	s_add_i32 s3, s4, s3
	s_mul_i32 s2, s2, s14
	s_add_i32 s3, s3, s2
	s_mul_i32 s2, s6, s14
	s_ashr_i32 s1, s12, 31
	s_lshl_b64 s[2:3], s[2:3], 2
	s_mov_b32 s0, s12
	s_add_u32 s2, s10, s2
	s_addc_u32 s3, s11, s3
	s_lshl_b64 s[0:1], s[0:1], 2
	s_add_u32 s0, s2, s0
	s_addc_u32 s1, s3, s1
	v_mov_b32_e32 v2, s1
	v_add_co_u32_e32 v10, vcc, s0, v1
	s_ashr_i32 s3, s13, 31
	s_mov_b32 s2, s13
	v_addc_co_u32_e32 v11, vcc, 0, v2, vcc
	s_lshl_b64 s[2:3], s[2:3], 2
	v_mov_b32_e32 v2, s3
	v_add_co_u32_e32 v12, vcc, s2, v10
	s_add_i32 s2, s13, s13
	v_addc_co_u32_e32 v13, vcc, v11, v2, vcc
	v_add_u32_e32 v2, s2, v0
	v_ashrrev_i32_e32 v3, 31, v2
	v_lshlrev_b64 v[4:5], 2, v[2:3]
	v_add_u32_e32 v6, s13, v2
	v_mov_b32_e32 v3, s1
	v_add_co_u32_e32 v14, vcc, s0, v4
	v_ashrrev_i32_e32 v7, 31, v6
	v_addc_co_u32_e32 v15, vcc, v3, v5, vcc
	v_lshlrev_b64 v[6:7], 2, v[6:7]
	v_mov_b32_e32 v2, s1
	v_add_co_u32_e32 v16, vcc, s0, v6
	global_load_dword v3, v[12:13], off
	global_load_dword v4, v[14:15], off
	v_addc_co_u32_e32 v17, vcc, v2, v7, vcc
	global_load_dword v2, v1, s[0:1]
	global_load_dword v5, v[16:17], off
	s_cmpk_lg_i32 s9, 0x84
	s_cselect_b64 s[10:11], -1, 0
	s_cmpk_eq_i32 s9, 0x84
	v_mov_b32_e32 v6, -1.0
	v_cmp_eq_u32_e64 s[0:1], 0, v0
	s_cbranch_scc1 .LBB3_3
; %bb.2:
	v_cmp_eq_u32_e64 s[2:3], 1, v0
	s_waitcnt vmcnt(1)
	v_cndmask_b32_e64 v6, v2, v3, s[2:3]
	v_cmp_eq_u32_e64 s[4:5], 2, v0
	v_cndmask_b32_e64 v6, v6, v4, s[4:5]
	v_cmp_eq_u32_e64 s[6:7], 3, v0
	s_waitcnt vmcnt(0)
	v_cndmask_b32_e64 v6, v6, v5, s[6:7]
	v_div_scale_f32 v7, s[12:13], v6, v6, 1.0
	v_rcp_f32_e32 v8, v7
	v_fma_f32 v9, -v7, v8, 1.0
	v_fmac_f32_e32 v8, v9, v8
	v_div_scale_f32 v9, vcc, 1.0, v6, 1.0
	v_mul_f32_e32 v18, v9, v8
	v_fma_f32 v19, -v7, v18, v9
	v_fmac_f32_e32 v18, v19, v8
	v_fma_f32 v7, -v7, v18, v9
	v_div_fmas_f32 v7, v7, v8, v18
	v_div_fixup_f32 v6, v7, v6, 1.0
	v_cndmask_b32_e64 v5, v5, v6, s[6:7]
	v_cndmask_b32_e64 v4, v4, v6, s[4:5]
	;; [unrolled: 1-line block ×4, first 2 shown]
	v_xor_b32_e32 v6, 0x80000000, v6
.LBB3_3:
	s_cmpk_eq_i32 s8, 0x79
	v_add_u32_e32 v19, 16, v1
	ds_write_b32 v1, v6
	s_cbranch_scc1 .LBB3_7
; %bb.4:
	s_waitcnt vmcnt(0)
	v_pk_mov_b32 v[8:9], v[4:5], v[4:5] op_sel:[0,1]
	v_cmp_eq_u32_e64 s[2:3], 3, v0
	v_pk_mov_b32 v[6:7], v[2:3], v[2:3] op_sel:[0,1]
	ds_write_b32 v19, v4
	s_waitcnt lgkmcnt(0)
	; wave barrier
	s_waitcnt lgkmcnt(0)
	s_and_saveexec_b64 s[0:1], s[2:3]
	s_cbranch_execz .LBB3_11
; %bb.5:
	s_and_b64 vcc, exec, s[10:11]
	s_cbranch_vccz .LBB3_8
; %bb.6:
	ds_read_b32 v6, v19
	v_cmp_eq_u32_e32 vcc, 1, v0
	v_cndmask_b32_e32 v1, v2, v3, vcc
	v_cmp_eq_u32_e32 vcc, 2, v0
	v_cndmask_b32_e32 v1, v1, v4, vcc
	;; [unrolled: 2-line block ×3, first 2 shown]
	s_waitcnt lgkmcnt(0)
	v_mul_f32_e32 v1, v1, v6
	s_cbranch_execz .LBB3_9
	s_branch .LBB3_10
.LBB3_7:
                                        ; implicit-def: $vgpr6_vgpr7_vgpr8_vgpr9
	s_cbranch_execnz .LBB3_34
	s_branch .LBB3_57
.LBB3_8:
                                        ; implicit-def: $vgpr1
.LBB3_9:
	ds_read_b32 v1, v19
.LBB3_10:
	v_mov_b32_e32 v6, 0
	ds_read_b32 v6, v6 offset:8
	s_waitcnt lgkmcnt(0)
	v_mul_f32_e32 v1, v1, v6
	v_pk_mov_b32 v[8:9], v[4:5], v[4:5] op_sel:[0,1]
	v_pk_mov_b32 v[6:7], v[2:3], v[2:3] op_sel:[0,1]
	v_mov_b32_e32 v8, v1
.LBB3_11:
	s_or_b64 exec, exec, s[0:1]
	v_cmp_lt_u32_e64 s[0:1], 1, v0
	ds_write_b32 v19, v7
	s_waitcnt lgkmcnt(0)
	; wave barrier
	s_waitcnt lgkmcnt(0)
	s_and_saveexec_b64 s[4:5], s[0:1]
	s_cbranch_execz .LBB3_17
; %bb.12:
	s_andn2_b64 vcc, exec, s[10:11]
	s_cbranch_vccnz .LBB3_14
; %bb.13:
	v_cmp_eq_u32_e32 vcc, 1, v0
	v_cndmask_b32_e32 v1, v6, v7, vcc
	ds_read_b32 v7, v19
	v_cmp_eq_u32_e32 vcc, 2, v0
	v_cndmask_b32_e32 v1, v1, v8, vcc
	v_cmp_eq_u32_e32 vcc, 3, v0
	v_cndmask_b32_e32 v1, v1, v9, vcc
	s_waitcnt lgkmcnt(0)
	v_mul_f32_e32 v1, v1, v7
	s_cbranch_execz .LBB3_15
	s_branch .LBB3_16
.LBB3_14:
                                        ; implicit-def: $vgpr1
.LBB3_15:
	ds_read_b32 v1, v19
.LBB3_16:
	v_mov_b32_e32 v7, 0
	ds_read2_b32 v[20:21], v7 offset0:1 offset1:6
	s_waitcnt lgkmcnt(0)
	v_fma_f32 v7, v8, v21, v1
	v_cndmask_b32_e64 v1, v1, v7, s[2:3]
	v_mul_f32_e32 v7, v1, v20
.LBB3_17:
	s_or_b64 exec, exec, s[4:5]
	v_cmp_ne_u32_e32 vcc, 0, v0
	ds_write_b32 v19, v6
	s_waitcnt lgkmcnt(0)
	; wave barrier
	s_waitcnt lgkmcnt(0)
	s_and_saveexec_b64 s[2:3], vcc
	s_cbranch_execz .LBB3_33
; %bb.18:
	s_andn2_b64 vcc, exec, s[10:11]
	s_cbranch_vccnz .LBB3_20
; %bb.19:
	ds_read_b32 v18, v19
	v_cmp_eq_u32_e32 vcc, 1, v0
	v_cndmask_b32_e32 v1, v6, v7, vcc
	v_cmp_eq_u32_e32 vcc, 2, v0
	v_cndmask_b32_e32 v1, v1, v8, vcc
	;; [unrolled: 2-line block ×3, first 2 shown]
	s_waitcnt lgkmcnt(0)
	v_mul_f32_e32 v21, v1, v18
	s_cbranch_execz .LBB3_21
	s_branch .LBB3_22
.LBB3_20:
                                        ; implicit-def: $vgpr21
.LBB3_21:
	ds_read_b32 v21, v19
.LBB3_22:
	s_and_saveexec_b64 s[4:5], s[0:1]
	s_cbranch_execz .LBB3_32
; %bb.23:
	v_add_u32_e32 v18, -2, v0
	v_add_u32_e32 v1, -1, v0
	v_cmp_lt_u32_e32 vcc, 6, v18
	v_mov_b32_e32 v20, 1
	s_and_saveexec_b64 s[0:1], vcc
	s_cbranch_execz .LBB3_27
; %bb.24:
	v_and_b32_e32 v18, -8, v1
	v_sub_u32_e32 v18, 0, v18
	s_mov_b64 s[6:7], 8
	s_mov_b32 s12, 20
	s_mov_b64 s[8:9], 0
.LBB3_25:                               ; =>This Inner Loop Header: Depth=1
	s_add_i32 s13, s6, -7
	s_cmp_eq_u32 s13, 1
	v_mov_b32_e32 v20, s12
	s_cselect_b64 vcc, -1, 0
	s_cmp_eq_u32 s13, 2
	ds_read2_b32 v[22:23], v20 offset1:1
	ds_read2_b32 v[24:25], v20 offset0:2 offset1:3
	ds_read2_b32 v[26:27], v20 offset0:4 offset1:5
	;; [unrolled: 1-line block ×3, first 2 shown]
	v_cndmask_b32_e32 v20, v6, v7, vcc
	s_cselect_b64 vcc, -1, 0
	s_cmp_eq_u32 s13, 3
	v_cndmask_b32_e32 v20, v20, v8, vcc
	s_cselect_b64 vcc, -1, 0
	s_add_i32 s13, s6, -6
	s_cmp_eq_u32 s13, 1
	v_cndmask_b32_e32 v20, v20, v9, vcc
	s_cselect_b64 vcc, -1, 0
	s_cmp_eq_u32 s13, 2
	s_waitcnt lgkmcnt(3)
	v_fmac_f32_e32 v21, v20, v22
	v_cndmask_b32_e32 v20, v6, v7, vcc
	s_cselect_b64 vcc, -1, 0
	s_cmp_eq_u32 s13, 3
	v_cndmask_b32_e32 v20, v20, v8, vcc
	s_cselect_b64 vcc, -1, 0
	s_add_i32 s13, s6, -5
	s_cmp_eq_u32 s13, 1
	v_cndmask_b32_e32 v20, v20, v9, vcc
	s_cselect_b64 vcc, -1, 0
	s_cmp_eq_u32 s13, 2
	v_fmac_f32_e32 v21, v20, v23
	v_cndmask_b32_e32 v20, v6, v7, vcc
	s_cselect_b64 vcc, -1, 0
	s_cmp_eq_u32 s13, 3
	v_cndmask_b32_e32 v20, v20, v8, vcc
	s_cselect_b64 vcc, -1, 0
	s_add_i32 s13, s6, -4
	s_cmp_eq_u32 s13, 1
	v_cndmask_b32_e32 v20, v20, v9, vcc
	s_cselect_b64 vcc, -1, 0
	s_cmp_eq_u32 s13, 2
	s_waitcnt lgkmcnt(2)
	v_fmac_f32_e32 v21, v20, v24
	v_cndmask_b32_e32 v20, v6, v7, vcc
	s_cselect_b64 vcc, -1, 0
	s_cmp_eq_u32 s13, 3
	v_cndmask_b32_e32 v20, v20, v8, vcc
	s_cselect_b64 vcc, -1, 0
	s_add_i32 s13, s6, -3
	s_cmp_eq_u32 s13, 1
	v_cndmask_b32_e32 v20, v20, v9, vcc
	s_cselect_b64 vcc, -1, 0
	s_cmp_eq_u32 s13, 2
	v_fmac_f32_e32 v21, v20, v25
	;; [unrolled: 23-line block ×3, first 2 shown]
	v_cndmask_b32_e32 v20, v6, v7, vcc
	s_cselect_b64 vcc, -1, 0
	s_cmp_eq_u32 s13, 3
	v_cndmask_b32_e32 v20, v20, v8, vcc
	s_cselect_b64 vcc, -1, 0
	s_cmp_eq_u32 s6, 1
	;; [unrolled: 3-line block ×3, first 2 shown]
	s_waitcnt lgkmcnt(0)
	v_fmac_f32_e32 v21, v20, v28
	v_cndmask_b32_e32 v20, v6, v7, vcc
	s_cselect_b64 vcc, -1, 0
	s_cmp_eq_u32 s6, 3
	v_cndmask_b32_e32 v20, v20, v8, vcc
	s_cselect_b64 vcc, -1, 0
	v_cndmask_b32_e32 v20, v20, v9, vcc
	s_add_u32 s6, s6, 8
	v_fmac_f32_e32 v21, v20, v29
	v_add_u32_e32 v20, s6, v18
	s_addc_u32 s7, s7, 0
	s_add_i32 s12, s12, 32
	s_add_i32 s13, s6, -7
	v_cmp_eq_u32_e32 vcc, 8, v20
	s_or_b64 s[8:9], vcc, s[8:9]
	v_mov_b32_e32 v20, s13
	s_andn2_b64 exec, exec, s[8:9]
	s_cbranch_execnz .LBB3_25
; %bb.26:
	s_or_b64 exec, exec, s[8:9]
.LBB3_27:
	s_or_b64 exec, exec, s[0:1]
	v_and_b32_e32 v18, 7, v1
	v_cmp_ne_u32_e32 vcc, 0, v18
	s_and_saveexec_b64 s[6:7], vcc
	s_cbranch_execz .LBB3_31
; %bb.28:
	v_lshl_add_u32 v22, v20, 2, 16
	v_mov_b32_e32 v1, 0
	s_mov_b64 s[8:9], 0
.LBB3_29:                               ; =>This Inner Loop Header: Depth=1
	v_cmp_eq_u32_e32 vcc, 1, v20
	ds_read_b32 v24, v22
	v_cndmask_b32_e32 v23, v6, v7, vcc
	v_cmp_eq_u32_e32 vcc, 2, v20
	v_cndmask_b32_e32 v23, v23, v8, vcc
	v_cmp_eq_u32_e32 vcc, 3, v20
	v_add_co_u32_e64 v20, s[0:1], 1, v20
	v_add_u32_e32 v18, -1, v18
	v_addc_co_u32_e64 v1, s[0:1], 0, v1, s[0:1]
	v_cmp_eq_u32_e64 s[0:1], 0, v18
	v_cndmask_b32_e32 v23, v23, v9, vcc
	v_add_u32_e32 v22, 4, v22
	s_or_b64 s[8:9], s[0:1], s[8:9]
	s_waitcnt lgkmcnt(0)
	v_fmac_f32_e32 v21, v23, v24
	s_andn2_b64 exec, exec, s[8:9]
	s_cbranch_execnz .LBB3_29
; %bb.30:
	s_or_b64 exec, exec, s[8:9]
.LBB3_31:
	s_or_b64 exec, exec, s[6:7]
.LBB3_32:
	s_or_b64 exec, exec, s[4:5]
	v_mov_b32_e32 v1, 0
	ds_read_b32 v1, v1
	s_waitcnt lgkmcnt(0)
	v_mul_f32_e32 v6, v21, v1
.LBB3_33:
	s_or_b64 exec, exec, s[2:3]
	s_branch .LBB3_57
.LBB3_34:
	v_cmp_eq_u32_e64 s[0:1], 0, v0
	s_waitcnt vmcnt(3)
	ds_write_b32 v19, v3
	s_waitcnt lgkmcnt(0)
	; wave barrier
	s_waitcnt lgkmcnt(0)
	s_and_saveexec_b64 s[2:3], s[0:1]
	s_cbranch_execz .LBB3_40
; %bb.35:
	s_and_b64 vcc, exec, s[10:11]
	s_cbranch_vccz .LBB3_37
; %bb.36:
	v_cmp_eq_u32_e32 vcc, 1, v0
	s_waitcnt vmcnt(1)
	v_cndmask_b32_e32 v1, v2, v3, vcc
	ds_read_b32 v3, v19
	v_cmp_eq_u32_e32 vcc, 2, v0
	v_cndmask_b32_e32 v1, v1, v4, vcc
	v_cmp_eq_u32_e32 vcc, 3, v0
	s_waitcnt vmcnt(0)
	v_cndmask_b32_e32 v1, v1, v5, vcc
	s_waitcnt lgkmcnt(0)
	v_mul_f32_e32 v1, v1, v3
	s_cbranch_execz .LBB3_38
	s_branch .LBB3_39
.LBB3_37:
                                        ; implicit-def: $vgpr1
.LBB3_38:
	ds_read_b32 v1, v19
.LBB3_39:
	v_mov_b32_e32 v3, 0
	ds_read_b32 v3, v3 offset:4
	s_waitcnt lgkmcnt(0)
	v_mul_f32_e32 v3, v1, v3
.LBB3_40:
	s_or_b64 exec, exec, s[2:3]
	v_cndmask_b32_e64 v6, 0, 1, s[10:11]
	v_add_u32_e32 v1, 1, v0
	v_cmp_gt_u32_e64 s[2:3], 2, v0
	v_cmp_ne_u32_e64 s[4:5], 1, v6
	s_waitcnt vmcnt(2)
	ds_write_b32 v19, v4
	s_waitcnt lgkmcnt(0)
	; wave barrier
	s_waitcnt lgkmcnt(0)
	s_and_saveexec_b64 s[6:7], s[2:3]
	s_cbranch_execz .LBB3_48
; %bb.41:
	s_and_b64 vcc, exec, s[4:5]
	s_cbranch_vccnz .LBB3_43
; %bb.42:
	ds_read_b32 v7, v19
	v_cmp_eq_u32_e32 vcc, 1, v0
	s_waitcnt vmcnt(1)
	v_cndmask_b32_e32 v6, v2, v3, vcc
	v_cmp_eq_u32_e32 vcc, 2, v0
	v_cndmask_b32_e32 v6, v6, v4, vcc
	v_cmp_eq_u32_e32 vcc, 3, v0
	s_waitcnt vmcnt(0)
	v_cndmask_b32_e32 v6, v6, v5, vcc
	s_waitcnt lgkmcnt(0)
	v_mul_f32_e32 v6, v6, v7
	s_cbranch_execz .LBB3_44
	s_branch .LBB3_45
.LBB3_43:
                                        ; implicit-def: $vgpr6
.LBB3_44:
	ds_read_b32 v6, v19
.LBB3_45:
	s_and_saveexec_b64 s[8:9], s[0:1]
	s_cbranch_execz .LBB3_47
; %bb.46:
	ds_read_b32 v8, v19 offset:4
	v_cmp_eq_u32_e32 vcc, 1, v1
	s_waitcnt vmcnt(1)
	v_cndmask_b32_e32 v7, v2, v3, vcc
	v_cmp_eq_u32_e32 vcc, 2, v1
	v_cndmask_b32_e32 v4, v7, v4, vcc
	v_cmp_eq_u32_e32 vcc, 3, v1
	s_waitcnt vmcnt(0)
	v_cndmask_b32_e32 v4, v4, v5, vcc
	s_waitcnt lgkmcnt(0)
	v_fmac_f32_e32 v6, v4, v8
.LBB3_47:
	s_or_b64 exec, exec, s[8:9]
	v_mov_b32_e32 v4, 0
	ds_read_b32 v4, v4 offset:8
	s_waitcnt lgkmcnt(0)
	v_mul_f32_e32 v4, v6, v4
.LBB3_48:
	s_or_b64 exec, exec, s[6:7]
	v_cmp_ne_u32_e32 vcc, 3, v0
	s_waitcnt vmcnt(0)
	ds_write_b32 v19, v5
	s_waitcnt lgkmcnt(0)
	; wave barrier
	s_waitcnt lgkmcnt(0)
	s_and_saveexec_b64 s[6:7], vcc
	s_cbranch_execz .LBB3_56
; %bb.49:
	s_and_b64 vcc, exec, s[4:5]
	s_cbranch_vccnz .LBB3_51
; %bb.50:
	ds_read_b32 v7, v19
	v_cmp_eq_u32_e32 vcc, 1, v0
	v_cndmask_b32_e32 v6, v2, v3, vcc
	v_cmp_eq_u32_e32 vcc, 2, v0
	v_cndmask_b32_e32 v6, v6, v4, vcc
	;; [unrolled: 2-line block ×3, first 2 shown]
	s_waitcnt lgkmcnt(0)
	v_mul_f32_e32 v0, v0, v7
	s_cbranch_execz .LBB3_52
	s_branch .LBB3_53
.LBB3_51:
                                        ; implicit-def: $vgpr0
.LBB3_52:
	ds_read_b32 v0, v19
.LBB3_53:
	s_and_saveexec_b64 s[4:5], s[2:3]
	s_cbranch_execz .LBB3_55
; %bb.54:
	v_mov_b32_e32 v7, 0
	v_cmp_eq_u32_e32 vcc, 1, v1
	ds_read_b32 v8, v19 offset:4
	ds_read_b32 v7, v7 offset:24
	v_cndmask_b32_e32 v6, v2, v3, vcc
	v_cmp_eq_u32_e32 vcc, 2, v1
	v_cndmask_b32_e32 v6, v6, v4, vcc
	v_cmp_eq_u32_e32 vcc, 3, v1
	v_cndmask_b32_e32 v1, v6, v5, vcc
	s_waitcnt lgkmcnt(1)
	v_fmac_f32_e32 v0, v1, v8
	s_waitcnt lgkmcnt(0)
	v_fma_f32 v1, v4, v7, v0
	v_cndmask_b32_e64 v0, v0, v1, s[0:1]
.LBB3_55:
	s_or_b64 exec, exec, s[4:5]
	v_mov_b32_e32 v1, 0
	ds_read_b32 v1, v1 offset:12
	s_waitcnt lgkmcnt(0)
	v_mul_f32_e32 v5, v0, v1
.LBB3_56:
	s_or_b64 exec, exec, s[6:7]
	v_pk_mov_b32 v[8:9], v[4:5], v[4:5] op_sel:[0,1]
	v_pk_mov_b32 v[6:7], v[2:3], v[2:3] op_sel:[0,1]
.LBB3_57:
	global_store_dword v[10:11], v6, off
	global_store_dword v[12:13], v7, off
	;; [unrolled: 1-line block ×4, first 2 shown]
.LBB3_58:
	s_endpgm
	.section	.rodata,"a",@progbits
	.p2align	6, 0x0
	.amdhsa_kernel _ZN9rocsolver6v33100L18trti2_kernel_smallILi4EfPfEEv13rocblas_fill_17rocblas_diagonal_T1_iil
		.amdhsa_group_segment_fixed_size 32
		.amdhsa_private_segment_fixed_size 0
		.amdhsa_kernarg_size 32
		.amdhsa_user_sgpr_count 6
		.amdhsa_user_sgpr_private_segment_buffer 1
		.amdhsa_user_sgpr_dispatch_ptr 0
		.amdhsa_user_sgpr_queue_ptr 0
		.amdhsa_user_sgpr_kernarg_segment_ptr 1
		.amdhsa_user_sgpr_dispatch_id 0
		.amdhsa_user_sgpr_flat_scratch_init 0
		.amdhsa_user_sgpr_kernarg_preload_length 0
		.amdhsa_user_sgpr_kernarg_preload_offset 0
		.amdhsa_user_sgpr_private_segment_size 0
		.amdhsa_uses_dynamic_stack 0
		.amdhsa_system_sgpr_private_segment_wavefront_offset 0
		.amdhsa_system_sgpr_workgroup_id_x 1
		.amdhsa_system_sgpr_workgroup_id_y 0
		.amdhsa_system_sgpr_workgroup_id_z 0
		.amdhsa_system_sgpr_workgroup_info 0
		.amdhsa_system_vgpr_workitem_id 0
		.amdhsa_next_free_vgpr 30
		.amdhsa_next_free_sgpr 16
		.amdhsa_accum_offset 32
		.amdhsa_reserve_vcc 1
		.amdhsa_reserve_flat_scratch 0
		.amdhsa_float_round_mode_32 0
		.amdhsa_float_round_mode_16_64 0
		.amdhsa_float_denorm_mode_32 3
		.amdhsa_float_denorm_mode_16_64 3
		.amdhsa_dx10_clamp 1
		.amdhsa_ieee_mode 1
		.amdhsa_fp16_overflow 0
		.amdhsa_tg_split 0
		.amdhsa_exception_fp_ieee_invalid_op 0
		.amdhsa_exception_fp_denorm_src 0
		.amdhsa_exception_fp_ieee_div_zero 0
		.amdhsa_exception_fp_ieee_overflow 0
		.amdhsa_exception_fp_ieee_underflow 0
		.amdhsa_exception_fp_ieee_inexact 0
		.amdhsa_exception_int_div_zero 0
	.end_amdhsa_kernel
	.section	.text._ZN9rocsolver6v33100L18trti2_kernel_smallILi4EfPfEEv13rocblas_fill_17rocblas_diagonal_T1_iil,"axG",@progbits,_ZN9rocsolver6v33100L18trti2_kernel_smallILi4EfPfEEv13rocblas_fill_17rocblas_diagonal_T1_iil,comdat
.Lfunc_end3:
	.size	_ZN9rocsolver6v33100L18trti2_kernel_smallILi4EfPfEEv13rocblas_fill_17rocblas_diagonal_T1_iil, .Lfunc_end3-_ZN9rocsolver6v33100L18trti2_kernel_smallILi4EfPfEEv13rocblas_fill_17rocblas_diagonal_T1_iil
                                        ; -- End function
	.section	.AMDGPU.csdata,"",@progbits
; Kernel info:
; codeLenInByte = 2084
; NumSgprs: 20
; NumVgprs: 30
; NumAgprs: 0
; TotalNumVgprs: 30
; ScratchSize: 0
; MemoryBound: 0
; FloatMode: 240
; IeeeMode: 1
; LDSByteSize: 32 bytes/workgroup (compile time only)
; SGPRBlocks: 2
; VGPRBlocks: 3
; NumSGPRsForWavesPerEU: 20
; NumVGPRsForWavesPerEU: 30
; AccumOffset: 32
; Occupancy: 8
; WaveLimiterHint : 0
; COMPUTE_PGM_RSRC2:SCRATCH_EN: 0
; COMPUTE_PGM_RSRC2:USER_SGPR: 6
; COMPUTE_PGM_RSRC2:TRAP_HANDLER: 0
; COMPUTE_PGM_RSRC2:TGID_X_EN: 1
; COMPUTE_PGM_RSRC2:TGID_Y_EN: 0
; COMPUTE_PGM_RSRC2:TGID_Z_EN: 0
; COMPUTE_PGM_RSRC2:TIDIG_COMP_CNT: 0
; COMPUTE_PGM_RSRC3_GFX90A:ACCUM_OFFSET: 7
; COMPUTE_PGM_RSRC3_GFX90A:TG_SPLIT: 0
	.section	.text._ZN9rocsolver6v33100L18trti2_kernel_smallILi5EfPfEEv13rocblas_fill_17rocblas_diagonal_T1_iil,"axG",@progbits,_ZN9rocsolver6v33100L18trti2_kernel_smallILi5EfPfEEv13rocblas_fill_17rocblas_diagonal_T1_iil,comdat
	.globl	_ZN9rocsolver6v33100L18trti2_kernel_smallILi5EfPfEEv13rocblas_fill_17rocblas_diagonal_T1_iil ; -- Begin function _ZN9rocsolver6v33100L18trti2_kernel_smallILi5EfPfEEv13rocblas_fill_17rocblas_diagonal_T1_iil
	.p2align	8
	.type	_ZN9rocsolver6v33100L18trti2_kernel_smallILi5EfPfEEv13rocblas_fill_17rocblas_diagonal_T1_iil,@function
_ZN9rocsolver6v33100L18trti2_kernel_smallILi5EfPfEEv13rocblas_fill_17rocblas_diagonal_T1_iil: ; @_ZN9rocsolver6v33100L18trti2_kernel_smallILi5EfPfEEv13rocblas_fill_17rocblas_diagonal_T1_iil
; %bb.0:
	v_cmp_gt_u32_e32 vcc, 5, v0
	s_and_saveexec_b64 s[0:1], vcc
	s_cbranch_execz .LBB4_84
; %bb.1:
	s_load_dwordx8 s[12:19], s[4:5], 0x0
	s_ashr_i32 s2, s6, 31
	v_lshlrev_b32_e32 v7, 2, v0
	s_waitcnt lgkmcnt(0)
	s_mul_i32 s3, s6, s19
	s_mul_hi_u32 s4, s6, s18
	s_add_i32 s3, s4, s3
	s_mul_i32 s2, s2, s18
	s_add_i32 s3, s3, s2
	s_mul_i32 s2, s6, s18
	s_ashr_i32 s1, s16, 31
	s_lshl_b64 s[2:3], s[2:3], 2
	s_mov_b32 s0, s16
	s_add_u32 s2, s14, s2
	s_addc_u32 s3, s15, s3
	s_lshl_b64 s[0:1], s[0:1], 2
	s_add_u32 s0, s2, s0
	s_addc_u32 s1, s3, s1
	v_mov_b32_e32 v1, s1
	v_add_co_u32_e32 v14, vcc, s0, v7
	s_ashr_i32 s3, s17, 31
	s_mov_b32 s2, s17
	v_addc_co_u32_e32 v15, vcc, 0, v1, vcc
	s_lshl_b64 s[2:3], s[2:3], 2
	v_add_co_u32_e32 v16, vcc, s2, v14
	s_add_i32 s2, s17, s17
	v_add_u32_e32 v2, s2, v0
	v_mov_b32_e32 v1, s3
	v_ashrrev_i32_e32 v3, 31, v2
	v_addc_co_u32_e32 v17, vcc, v15, v1, vcc
	v_lshlrev_b64 v[4:5], 2, v[2:3]
	v_add_u32_e32 v2, s17, v2
	v_mov_b32_e32 v1, s1
	v_add_co_u32_e32 v18, vcc, s0, v4
	v_ashrrev_i32_e32 v3, 31, v2
	v_addc_co_u32_e32 v19, vcc, v1, v5, vcc
	v_lshlrev_b64 v[4:5], 2, v[2:3]
	v_add_u32_e32 v8, s17, v2
	v_add_co_u32_e32 v20, vcc, s0, v4
	v_ashrrev_i32_e32 v9, 31, v8
	v_addc_co_u32_e32 v21, vcc, v1, v5, vcc
	v_lshlrev_b64 v[8:9], 2, v[8:9]
	global_load_dword v3, v[16:17], off
	global_load_dword v4, v[18:19], off
	;; [unrolled: 1-line block ×3, first 2 shown]
	v_add_co_u32_e32 v22, vcc, s0, v8
	v_addc_co_u32_e32 v23, vcc, v1, v9, vcc
	global_load_dword v2, v7, s[0:1]
	global_load_dword v6, v[22:23], off
	s_cmpk_lg_i32 s13, 0x84
	v_mov_b32_e32 v1, 0
	s_cselect_b64 s[10:11], -1, 0
	s_cmpk_eq_i32 s13, 0x84
	v_mov_b32_e32 v8, -1.0
	v_cmp_eq_u32_e64 s[0:1], 0, v0
	s_cbranch_scc1 .LBB4_3
; %bb.2:
	v_cmp_eq_u32_e64 s[2:3], 1, v0
	s_waitcnt vmcnt(1)
	v_cndmask_b32_e64 v8, v2, v3, s[2:3]
	v_cmp_eq_u32_e64 s[4:5], 2, v0
	v_cndmask_b32_e64 v8, v8, v4, s[4:5]
	v_cmp_eq_u32_e64 s[6:7], 3, v0
	;; [unrolled: 2-line block ×3, first 2 shown]
	s_waitcnt vmcnt(0)
	v_cndmask_b32_e64 v8, v8, v6, s[8:9]
	v_div_scale_f32 v9, s[14:15], v8, v8, 1.0
	v_rcp_f32_e32 v10, v9
	v_fma_f32 v11, -v9, v10, 1.0
	v_fmac_f32_e32 v10, v11, v10
	v_div_scale_f32 v11, vcc, 1.0, v8, 1.0
	v_mul_f32_e32 v12, v11, v10
	v_fma_f32 v13, -v9, v12, v11
	v_fmac_f32_e32 v12, v13, v10
	v_fma_f32 v9, -v9, v12, v11
	v_div_fmas_f32 v9, v9, v10, v12
	v_div_fixup_f32 v8, v9, v8, 1.0
	v_cndmask_b32_e64 v6, v6, v8, s[8:9]
	v_cndmask_b32_e64 v5, v5, v8, s[6:7]
	;; [unrolled: 1-line block ×5, first 2 shown]
	v_xor_b32_e32 v8, 0x80000000, v8
.LBB4_3:
	s_cmpk_eq_i32 s12, 0x79
	v_add_u32_e32 v13, 32, v7
	ds_write_b32 v7, v8
	s_cbranch_scc1 .LBB4_7
; %bb.4:
	s_waitcnt vmcnt(0)
	v_mov_b32_e32 v12, v6
	v_cmp_eq_u32_e64 s[0:1], 4, v0
	v_mov_b32_e32 v11, v5
	v_mov_b32_e32 v10, v4
	;; [unrolled: 1-line block ×4, first 2 shown]
	ds_write_b32 v13, v5
	s_waitcnt lgkmcnt(0)
	; wave barrier
	s_waitcnt lgkmcnt(0)
	s_and_saveexec_b64 s[2:3], s[0:1]
	s_cbranch_execz .LBB4_11
; %bb.5:
	s_and_b64 vcc, exec, s[10:11]
	s_cbranch_vccz .LBB4_8
; %bb.6:
	v_cmp_eq_u32_e32 vcc, 1, v0
	ds_read_b32 v8, v13
	v_cndmask_b32_e32 v7, v2, v3, vcc
	v_cmp_eq_u32_e32 vcc, 2, v0
	v_cndmask_b32_e32 v7, v7, v4, vcc
	v_cmp_eq_u32_e32 vcc, 3, v0
	;; [unrolled: 2-line block ×3, first 2 shown]
	v_cndmask_b32_e32 v7, v7, v6, vcc
	s_waitcnt lgkmcnt(0)
	v_mul_f32_e32 v7, v7, v8
	s_cbranch_execz .LBB4_9
	s_branch .LBB4_10
.LBB4_7:
                                        ; implicit-def: $vgpr8_vgpr9_vgpr10_vgpr11_vgpr12
	s_cbranch_execnz .LBB4_50
	s_branch .LBB4_83
.LBB4_8:
                                        ; implicit-def: $vgpr7
.LBB4_9:
	ds_read_b32 v7, v13
.LBB4_10:
	v_mov_b32_e32 v8, 0
	ds_read_b32 v8, v8 offset:12
	s_waitcnt lgkmcnt(0)
	v_mul_f32_e32 v7, v7, v8
	v_mov_b32_e32 v12, v6
	v_mov_b32_e32 v11, v5
	;; [unrolled: 1-line block ×6, first 2 shown]
.LBB4_11:
	s_or_b64 exec, exec, s[2:3]
	v_cmp_lt_u32_e64 s[2:3], 2, v0
	ds_write_b32 v13, v10
	s_waitcnt lgkmcnt(0)
	; wave barrier
	s_waitcnt lgkmcnt(0)
	s_and_saveexec_b64 s[4:5], s[2:3]
	s_cbranch_execz .LBB4_17
; %bb.12:
	s_andn2_b64 vcc, exec, s[10:11]
	s_cbranch_vccnz .LBB4_14
; %bb.13:
	v_cmp_eq_u32_e32 vcc, 1, v0
	v_cndmask_b32_e32 v7, v8, v9, vcc
	v_cmp_eq_u32_e32 vcc, 2, v0
	v_cndmask_b32_e32 v7, v7, v10, vcc
	ds_read_b32 v10, v13
	v_cmp_eq_u32_e32 vcc, 3, v0
	v_cndmask_b32_e32 v7, v7, v11, vcc
	v_cmp_eq_u32_e32 vcc, 4, v0
	v_cndmask_b32_e32 v7, v7, v12, vcc
	s_waitcnt lgkmcnt(0)
	v_mul_f32_e32 v7, v7, v10
	s_cbranch_execz .LBB4_15
	s_branch .LBB4_16
.LBB4_14:
                                        ; implicit-def: $vgpr7
.LBB4_15:
	ds_read_b32 v7, v13
.LBB4_16:
	v_mov_b32_e32 v10, 0
	ds_read2_b32 v[24:25], v10 offset0:2 offset1:11
	s_waitcnt lgkmcnt(0)
	v_fma_f32 v10, v11, v25, v7
	v_cndmask_b32_e64 v7, v7, v10, s[0:1]
	v_mul_f32_e32 v10, v7, v24
.LBB4_17:
	s_or_b64 exec, exec, s[4:5]
	v_cmp_lt_u32_e64 s[0:1], 1, v0
	ds_write_b32 v13, v9
	s_waitcnt lgkmcnt(0)
	; wave barrier
	s_waitcnt lgkmcnt(0)
	s_and_saveexec_b64 s[6:7], s[0:1]
	s_cbranch_execz .LBB4_33
; %bb.18:
	s_andn2_b64 vcc, exec, s[10:11]
	s_cbranch_vccnz .LBB4_20
; %bb.19:
	v_cmp_eq_u32_e32 vcc, 1, v0
	ds_read_b32 v24, v13
	v_cndmask_b32_e32 v7, v8, v9, vcc
	v_cmp_eq_u32_e32 vcc, 2, v0
	v_cndmask_b32_e32 v7, v7, v10, vcc
	v_cmp_eq_u32_e32 vcc, 3, v0
	;; [unrolled: 2-line block ×3, first 2 shown]
	v_cndmask_b32_e32 v7, v7, v12, vcc
	s_waitcnt lgkmcnt(0)
	v_mul_f32_e32 v25, v7, v24
	s_cbranch_execz .LBB4_21
	s_branch .LBB4_22
.LBB4_20:
                                        ; implicit-def: $vgpr25
.LBB4_21:
	ds_read_b32 v25, v13
.LBB4_22:
	s_and_saveexec_b64 s[8:9], s[2:3]
	s_cbranch_execz .LBB4_32
; %bb.23:
	v_add_u32_e32 v24, -3, v0
	v_add_u32_e32 v7, -2, v0
	v_cmp_lt_u32_e32 vcc, 6, v24
	v_mov_b32_e32 v26, 2
	s_and_saveexec_b64 s[2:3], vcc
	s_cbranch_execz .LBB4_27
; %bb.24:
	v_and_b32_e32 v24, -8, v7
	v_sub_u32_e32 v24, 0, v24
	s_mov_b64 s[4:5], 9
	s_mov_b32 s14, 40
	s_mov_b64 s[12:13], 0
.LBB4_25:                               ; =>This Inner Loop Header: Depth=1
	s_add_i32 s15, s4, -7
	s_cmp_eq_u32 s15, 1
	s_cselect_b64 vcc, -1, 0
	s_cmp_eq_u32 s15, 2
	v_mov_b32_e32 v30, s14
	v_cndmask_b32_e32 v34, v8, v9, vcc
	s_cselect_b64 vcc, -1, 0
	s_cmp_eq_u32 s15, 3
	ds_read2_b64 v[26:29], v30 offset1:1
	ds_read2_b64 v[30:33], v30 offset0:2 offset1:3
	v_cndmask_b32_e32 v34, v34, v10, vcc
	s_cselect_b64 vcc, -1, 0
	s_cmp_eq_u32 s15, 4
	v_cndmask_b32_e32 v34, v34, v11, vcc
	s_cselect_b64 vcc, -1, 0
	s_add_i32 s15, s4, -6
	s_cmp_eq_u32 s15, 1
	v_cndmask_b32_e32 v34, v34, v12, vcc
	s_cselect_b64 vcc, -1, 0
	s_cmp_eq_u32 s15, 2
	s_waitcnt lgkmcnt(1)
	v_fmac_f32_e32 v25, v34, v26
	v_cndmask_b32_e32 v26, v8, v9, vcc
	s_cselect_b64 vcc, -1, 0
	s_cmp_eq_u32 s15, 3
	v_cndmask_b32_e32 v26, v26, v10, vcc
	s_cselect_b64 vcc, -1, 0
	s_cmp_eq_u32 s15, 4
	v_cndmask_b32_e32 v26, v26, v11, vcc
	s_cselect_b64 vcc, -1, 0
	s_add_i32 s15, s4, -5
	s_cmp_eq_u32 s15, 1
	v_cndmask_b32_e32 v26, v26, v12, vcc
	s_cselect_b64 vcc, -1, 0
	s_cmp_eq_u32 s15, 2
	v_fmac_f32_e32 v25, v26, v27
	v_cndmask_b32_e32 v26, v8, v9, vcc
	s_cselect_b64 vcc, -1, 0
	s_cmp_eq_u32 s15, 3
	v_cndmask_b32_e32 v26, v26, v10, vcc
	s_cselect_b64 vcc, -1, 0
	s_cmp_eq_u32 s15, 4
	v_cndmask_b32_e32 v26, v26, v11, vcc
	s_cselect_b64 vcc, -1, 0
	s_add_i32 s15, s4, -4
	s_cmp_eq_u32 s15, 1
	v_cndmask_b32_e32 v26, v26, v12, vcc
	s_cselect_b64 vcc, -1, 0
	s_cmp_eq_u32 s15, 2
	;; [unrolled: 14-line block ×4, first 2 shown]
	s_waitcnt lgkmcnt(0)
	v_fmac_f32_e32 v25, v26, v30
	v_cndmask_b32_e32 v26, v8, v9, vcc
	s_cselect_b64 vcc, -1, 0
	s_cmp_eq_u32 s15, 3
	v_cndmask_b32_e32 v26, v26, v10, vcc
	s_cselect_b64 vcc, -1, 0
	s_cmp_eq_u32 s15, 4
	v_cndmask_b32_e32 v26, v26, v11, vcc
	s_cselect_b64 vcc, -1, 0
	s_add_i32 s15, s4, -1
	s_cmp_eq_u32 s15, 1
	v_cndmask_b32_e32 v26, v26, v12, vcc
	s_cselect_b64 vcc, -1, 0
	s_cmp_eq_u32 s15, 2
	v_fmac_f32_e32 v25, v26, v31
	v_cndmask_b32_e32 v26, v8, v9, vcc
	s_cselect_b64 vcc, -1, 0
	s_cmp_eq_u32 s15, 3
	v_cndmask_b32_e32 v26, v26, v10, vcc
	s_cselect_b64 vcc, -1, 0
	s_cmp_eq_u32 s15, 4
	;; [unrolled: 3-line block ×4, first 2 shown]
	v_fmac_f32_e32 v25, v26, v32
	v_cndmask_b32_e32 v26, v8, v9, vcc
	s_cselect_b64 vcc, -1, 0
	s_cmp_eq_u32 s4, 3
	v_cndmask_b32_e32 v26, v26, v10, vcc
	s_cselect_b64 vcc, -1, 0
	s_cmp_eq_u32 s4, 4
	v_cndmask_b32_e32 v26, v26, v11, vcc
	s_cselect_b64 vcc, -1, 0
	v_cndmask_b32_e32 v26, v26, v12, vcc
	s_add_u32 s4, s4, 8
	v_fmac_f32_e32 v25, v26, v33
	v_add_u32_e32 v26, s4, v24
	s_addc_u32 s5, s5, 0
	s_add_i32 s14, s14, 32
	s_add_i32 s15, s4, -7
	v_cmp_eq_u32_e32 vcc, 9, v26
	s_or_b64 s[12:13], vcc, s[12:13]
	v_mov_b32_e32 v26, s15
	s_andn2_b64 exec, exec, s[12:13]
	s_cbranch_execnz .LBB4_25
; %bb.26:
	s_or_b64 exec, exec, s[12:13]
.LBB4_27:
	s_or_b64 exec, exec, s[2:3]
	v_and_b32_e32 v24, 7, v7
	v_cmp_ne_u32_e32 vcc, 0, v24
	s_and_saveexec_b64 s[12:13], vcc
	s_cbranch_execz .LBB4_31
; %bb.28:
	v_lshl_add_u32 v27, v26, 2, 32
	v_mov_b32_e32 v7, 0
	s_mov_b64 s[14:15], 0
.LBB4_29:                               ; =>This Inner Loop Header: Depth=1
	v_cmp_eq_u32_e32 vcc, 1, v26
	ds_read_b32 v29, v27
	v_cndmask_b32_e32 v28, v8, v9, vcc
	v_cmp_eq_u32_e32 vcc, 2, v26
	v_cndmask_b32_e32 v28, v28, v10, vcc
	v_cmp_eq_u32_e64 s[2:3], 3, v26
	v_add_u32_e32 v24, -1, v24
	v_cndmask_b32_e64 v28, v28, v11, s[2:3]
	v_cmp_eq_u32_e64 s[2:3], 4, v26
	v_cmp_eq_u32_e32 vcc, 0, v24
	v_add_co_u32_e64 v26, s[4:5], 1, v26
	v_cndmask_b32_e64 v28, v28, v12, s[2:3]
	v_add_u32_e32 v27, 4, v27
	v_addc_co_u32_e64 v7, s[4:5], 0, v7, s[4:5]
	s_or_b64 s[14:15], vcc, s[14:15]
	s_waitcnt lgkmcnt(0)
	v_fmac_f32_e32 v25, v28, v29
	s_andn2_b64 exec, exec, s[14:15]
	s_cbranch_execnz .LBB4_29
; %bb.30:
	s_or_b64 exec, exec, s[14:15]
.LBB4_31:
	s_or_b64 exec, exec, s[12:13]
.LBB4_32:
	s_or_b64 exec, exec, s[8:9]
	v_mov_b32_e32 v7, 0
	ds_read_b32 v7, v7 offset:4
	s_waitcnt lgkmcnt(0)
	v_mul_f32_e32 v9, v25, v7
.LBB4_33:
	s_or_b64 exec, exec, s[6:7]
	v_cmp_ne_u32_e32 vcc, 0, v0
	ds_write_b32 v13, v8
	s_waitcnt lgkmcnt(0)
	; wave barrier
	s_waitcnt lgkmcnt(0)
	s_and_saveexec_b64 s[4:5], vcc
	s_cbranch_execz .LBB4_49
; %bb.34:
	s_andn2_b64 vcc, exec, s[10:11]
	s_cbranch_vccnz .LBB4_36
; %bb.35:
	v_cmp_eq_u32_e32 vcc, 1, v0
	ds_read_b32 v24, v13
	v_cndmask_b32_e32 v7, v8, v9, vcc
	v_cmp_eq_u32_e32 vcc, 2, v0
	v_cndmask_b32_e32 v7, v7, v10, vcc
	v_cmp_eq_u32_e32 vcc, 3, v0
	;; [unrolled: 2-line block ×3, first 2 shown]
	v_cndmask_b32_e32 v7, v7, v12, vcc
	s_waitcnt lgkmcnt(0)
	v_mul_f32_e32 v25, v7, v24
	s_cbranch_execz .LBB4_37
	s_branch .LBB4_38
.LBB4_36:
                                        ; implicit-def: $vgpr25
.LBB4_37:
	ds_read_b32 v25, v13
.LBB4_38:
	s_and_saveexec_b64 s[6:7], s[0:1]
	s_cbranch_execz .LBB4_48
; %bb.39:
	v_add_u32_e32 v24, -2, v0
	v_add_u32_e32 v7, -1, v0
	v_cmp_lt_u32_e32 vcc, 6, v24
	v_mov_b32_e32 v26, 1
	s_and_saveexec_b64 s[0:1], vcc
	s_cbranch_execz .LBB4_43
; %bb.40:
	v_and_b32_e32 v24, -8, v7
	v_sub_u32_e32 v24, 0, v24
	s_mov_b64 s[2:3], 8
	s_mov_b32 s12, 36
	s_mov_b64 s[8:9], 0
.LBB4_41:                               ; =>This Inner Loop Header: Depth=1
	s_add_i32 s13, s2, -7
	s_cmp_eq_u32 s13, 1
	s_cselect_b64 vcc, -1, 0
	s_cmp_eq_u32 s13, 2
	v_cndmask_b32_e32 v34, v8, v9, vcc
	s_cselect_b64 vcc, -1, 0
	s_cmp_eq_u32 s13, 3
	v_cndmask_b32_e32 v34, v34, v10, vcc
	s_cselect_b64 vcc, -1, 0
	s_cmp_eq_u32 s13, 4
	v_mov_b32_e32 v32, s12
	v_cndmask_b32_e32 v34, v34, v11, vcc
	s_cselect_b64 vcc, -1, 0
	s_add_i32 s13, s2, -6
	ds_read2_b32 v[26:27], v32 offset1:1
	ds_read2_b32 v[28:29], v32 offset0:2 offset1:3
	ds_read2_b32 v[30:31], v32 offset0:4 offset1:5
	;; [unrolled: 1-line block ×3, first 2 shown]
	s_cmp_eq_u32 s13, 1
	v_cndmask_b32_e32 v34, v34, v12, vcc
	s_cselect_b64 vcc, -1, 0
	s_cmp_eq_u32 s13, 2
	s_waitcnt lgkmcnt(3)
	v_fmac_f32_e32 v25, v34, v26
	v_cndmask_b32_e32 v26, v8, v9, vcc
	s_cselect_b64 vcc, -1, 0
	s_cmp_eq_u32 s13, 3
	v_cndmask_b32_e32 v26, v26, v10, vcc
	s_cselect_b64 vcc, -1, 0
	s_cmp_eq_u32 s13, 4
	v_cndmask_b32_e32 v26, v26, v11, vcc
	s_cselect_b64 vcc, -1, 0
	s_add_i32 s13, s2, -5
	s_cmp_eq_u32 s13, 1
	v_cndmask_b32_e32 v26, v26, v12, vcc
	s_cselect_b64 vcc, -1, 0
	s_cmp_eq_u32 s13, 2
	v_fmac_f32_e32 v25, v26, v27
	v_cndmask_b32_e32 v26, v8, v9, vcc
	s_cselect_b64 vcc, -1, 0
	s_cmp_eq_u32 s13, 3
	v_cndmask_b32_e32 v26, v26, v10, vcc
	s_cselect_b64 vcc, -1, 0
	s_cmp_eq_u32 s13, 4
	v_cndmask_b32_e32 v26, v26, v11, vcc
	s_cselect_b64 vcc, -1, 0
	s_add_i32 s13, s2, -4
	s_cmp_eq_u32 s13, 1
	v_cndmask_b32_e32 v26, v26, v12, vcc
	s_cselect_b64 vcc, -1, 0
	s_cmp_eq_u32 s13, 2
	s_waitcnt lgkmcnt(2)
	v_fmac_f32_e32 v25, v26, v28
	v_cndmask_b32_e32 v26, v8, v9, vcc
	s_cselect_b64 vcc, -1, 0
	s_cmp_eq_u32 s13, 3
	v_cndmask_b32_e32 v26, v26, v10, vcc
	s_cselect_b64 vcc, -1, 0
	s_cmp_eq_u32 s13, 4
	v_cndmask_b32_e32 v26, v26, v11, vcc
	s_cselect_b64 vcc, -1, 0
	s_add_i32 s13, s2, -3
	s_cmp_eq_u32 s13, 1
	v_cndmask_b32_e32 v26, v26, v12, vcc
	s_cselect_b64 vcc, -1, 0
	s_cmp_eq_u32 s13, 2
	v_fmac_f32_e32 v25, v26, v29
	v_cndmask_b32_e32 v26, v8, v9, vcc
	s_cselect_b64 vcc, -1, 0
	s_cmp_eq_u32 s13, 3
	v_cndmask_b32_e32 v26, v26, v10, vcc
	s_cselect_b64 vcc, -1, 0
	s_cmp_eq_u32 s13, 4
	v_cndmask_b32_e32 v26, v26, v11, vcc
	s_cselect_b64 vcc, -1, 0
	s_add_i32 s13, s2, -2
	s_cmp_eq_u32 s13, 1
	v_cndmask_b32_e32 v26, v26, v12, vcc
	s_cselect_b64 vcc, -1, 0
	s_cmp_eq_u32 s13, 2
	s_waitcnt lgkmcnt(1)
	v_fmac_f32_e32 v25, v26, v30
	v_cndmask_b32_e32 v26, v8, v9, vcc
	s_cselect_b64 vcc, -1, 0
	s_cmp_eq_u32 s13, 3
	v_cndmask_b32_e32 v26, v26, v10, vcc
	s_cselect_b64 vcc, -1, 0
	s_cmp_eq_u32 s13, 4
	v_cndmask_b32_e32 v26, v26, v11, vcc
	s_cselect_b64 vcc, -1, 0
	s_add_i32 s13, s2, -1
	s_cmp_eq_u32 s13, 1
	v_cndmask_b32_e32 v26, v26, v12, vcc
	s_cselect_b64 vcc, -1, 0
	s_cmp_eq_u32 s13, 2
	v_fmac_f32_e32 v25, v26, v31
	v_cndmask_b32_e32 v26, v8, v9, vcc
	s_cselect_b64 vcc, -1, 0
	s_cmp_eq_u32 s13, 3
	v_cndmask_b32_e32 v26, v26, v10, vcc
	s_cselect_b64 vcc, -1, 0
	s_cmp_eq_u32 s13, 4
	;; [unrolled: 3-line block ×4, first 2 shown]
	s_waitcnt lgkmcnt(0)
	v_fmac_f32_e32 v25, v26, v32
	v_cndmask_b32_e32 v26, v8, v9, vcc
	s_cselect_b64 vcc, -1, 0
	s_cmp_eq_u32 s2, 3
	v_cndmask_b32_e32 v26, v26, v10, vcc
	s_cselect_b64 vcc, -1, 0
	s_cmp_eq_u32 s2, 4
	v_cndmask_b32_e32 v26, v26, v11, vcc
	s_cselect_b64 vcc, -1, 0
	v_cndmask_b32_e32 v26, v26, v12, vcc
	s_add_u32 s2, s2, 8
	v_fmac_f32_e32 v25, v26, v33
	v_add_u32_e32 v26, s2, v24
	s_addc_u32 s3, s3, 0
	s_add_i32 s12, s12, 32
	s_add_i32 s13, s2, -7
	v_cmp_eq_u32_e32 vcc, 8, v26
	s_or_b64 s[8:9], vcc, s[8:9]
	v_mov_b32_e32 v26, s13
	s_andn2_b64 exec, exec, s[8:9]
	s_cbranch_execnz .LBB4_41
; %bb.42:
	s_or_b64 exec, exec, s[8:9]
.LBB4_43:
	s_or_b64 exec, exec, s[0:1]
	v_and_b32_e32 v24, 7, v7
	v_cmp_ne_u32_e32 vcc, 0, v24
	s_and_saveexec_b64 s[8:9], vcc
	s_cbranch_execz .LBB4_47
; %bb.44:
	v_lshl_add_u32 v27, v26, 2, 32
	v_mov_b32_e32 v7, 0
	s_mov_b64 s[12:13], 0
.LBB4_45:                               ; =>This Inner Loop Header: Depth=1
	v_cmp_eq_u32_e32 vcc, 1, v26
	ds_read_b32 v29, v27
	v_cndmask_b32_e32 v28, v8, v9, vcc
	v_cmp_eq_u32_e32 vcc, 2, v26
	v_cndmask_b32_e32 v28, v28, v10, vcc
	v_cmp_eq_u32_e64 s[0:1], 3, v26
	v_add_u32_e32 v24, -1, v24
	v_cndmask_b32_e64 v28, v28, v11, s[0:1]
	v_cmp_eq_u32_e64 s[0:1], 4, v26
	v_cmp_eq_u32_e32 vcc, 0, v24
	v_add_co_u32_e64 v26, s[2:3], 1, v26
	v_cndmask_b32_e64 v28, v28, v12, s[0:1]
	v_add_u32_e32 v27, 4, v27
	v_addc_co_u32_e64 v7, s[2:3], 0, v7, s[2:3]
	s_or_b64 s[12:13], vcc, s[12:13]
	s_waitcnt lgkmcnt(0)
	v_fmac_f32_e32 v25, v28, v29
	s_andn2_b64 exec, exec, s[12:13]
	s_cbranch_execnz .LBB4_45
; %bb.46:
	s_or_b64 exec, exec, s[12:13]
.LBB4_47:
	s_or_b64 exec, exec, s[8:9]
.LBB4_48:
	s_or_b64 exec, exec, s[6:7]
	v_mov_b32_e32 v7, 0
	ds_read_b32 v7, v7
	s_waitcnt lgkmcnt(0)
	v_mul_f32_e32 v8, v25, v7
.LBB4_49:
	s_or_b64 exec, exec, s[4:5]
	s_branch .LBB4_83
.LBB4_50:
	v_cmp_eq_u32_e64 s[0:1], 0, v0
	s_waitcnt vmcnt(4)
	ds_write_b32 v13, v3
	s_waitcnt lgkmcnt(0)
	; wave barrier
	s_waitcnt lgkmcnt(0)
	s_and_saveexec_b64 s[2:3], s[0:1]
	s_cbranch_execz .LBB4_56
; %bb.51:
	s_and_b64 vcc, exec, s[10:11]
	s_cbranch_vccz .LBB4_53
; %bb.52:
	v_cmp_eq_u32_e32 vcc, 1, v0
	ds_read_b32 v7, v13
	s_waitcnt vmcnt(1)
	v_cndmask_b32_e32 v3, v2, v3, vcc
	v_cmp_eq_u32_e32 vcc, 2, v0
	v_cndmask_b32_e32 v3, v3, v4, vcc
	v_cmp_eq_u32_e32 vcc, 3, v0
	;; [unrolled: 2-line block ×3, first 2 shown]
	s_waitcnt vmcnt(0)
	v_cndmask_b32_e32 v3, v3, v6, vcc
	s_waitcnt lgkmcnt(0)
	v_mul_f32_e32 v3, v3, v7
	s_cbranch_execz .LBB4_54
	s_branch .LBB4_55
.LBB4_53:
                                        ; implicit-def: $vgpr3
.LBB4_54:
	ds_read_b32 v3, v13
.LBB4_55:
	v_mov_b32_e32 v7, 0
	ds_read_b32 v7, v7 offset:4
	s_waitcnt lgkmcnt(0)
	v_mul_f32_e32 v3, v3, v7
.LBB4_56:
	s_or_b64 exec, exec, s[2:3]
	v_cndmask_b32_e64 v8, 0, 1, s[10:11]
	v_add_u32_e32 v7, 1, v0
	v_cmp_gt_u32_e32 vcc, 2, v0
	v_cmp_ne_u32_e64 s[2:3], 1, v8
	s_waitcnt vmcnt(3)
	ds_write_b32 v13, v4
	s_waitcnt lgkmcnt(0)
	; wave barrier
	s_waitcnt lgkmcnt(0)
	s_and_saveexec_b64 s[4:5], vcc
	s_cbranch_execz .LBB4_64
; %bb.57:
	s_and_b64 vcc, exec, s[2:3]
	s_cbranch_vccnz .LBB4_59
; %bb.58:
	v_cmp_eq_u32_e32 vcc, 1, v0
	ds_read_b32 v9, v13
	s_waitcnt vmcnt(1)
	v_cndmask_b32_e32 v8, v2, v3, vcc
	v_cmp_eq_u32_e32 vcc, 2, v0
	v_cndmask_b32_e32 v8, v8, v4, vcc
	v_cmp_eq_u32_e32 vcc, 3, v0
	;; [unrolled: 2-line block ×3, first 2 shown]
	s_waitcnt vmcnt(0)
	v_cndmask_b32_e32 v8, v8, v6, vcc
	s_waitcnt lgkmcnt(0)
	v_mul_f32_e32 v8, v8, v9
	s_cbranch_execz .LBB4_60
	s_branch .LBB4_61
.LBB4_59:
                                        ; implicit-def: $vgpr8
.LBB4_60:
	ds_read_b32 v8, v13
.LBB4_61:
	s_and_saveexec_b64 s[6:7], s[0:1]
	s_cbranch_execz .LBB4_63
; %bb.62:
	v_cmp_eq_u32_e32 vcc, 1, v7
	s_waitcnt vmcnt(1)
	v_cndmask_b32_e32 v9, v2, v3, vcc
	v_cmp_eq_u32_e32 vcc, 2, v7
	v_cndmask_b32_e32 v4, v9, v4, vcc
	ds_read_b32 v9, v13 offset:4
	v_cmp_eq_u32_e32 vcc, 3, v7
	v_cndmask_b32_e32 v4, v4, v5, vcc
	v_cmp_eq_u32_e32 vcc, 4, v7
	s_waitcnt vmcnt(0)
	v_cndmask_b32_e32 v4, v4, v6, vcc
	s_waitcnt lgkmcnt(0)
	v_fmac_f32_e32 v8, v4, v9
.LBB4_63:
	s_or_b64 exec, exec, s[6:7]
	v_mov_b32_e32 v4, 0
	ds_read_b32 v4, v4 offset:8
	s_waitcnt lgkmcnt(0)
	v_mul_f32_e32 v4, v8, v4
.LBB4_64:
	s_or_b64 exec, exec, s[4:5]
	v_cmp_gt_u32_e64 s[4:5], 3, v0
	s_waitcnt vmcnt(2)
	ds_write_b32 v13, v5
	s_waitcnt lgkmcnt(0)
	; wave barrier
	s_waitcnt lgkmcnt(0)
	s_and_saveexec_b64 s[6:7], s[4:5]
	s_cbranch_execz .LBB4_72
; %bb.65:
	s_and_b64 vcc, exec, s[2:3]
	s_cbranch_vccnz .LBB4_67
; %bb.66:
	v_cmp_eq_u32_e32 vcc, 1, v0
	ds_read_b32 v9, v13
	s_waitcnt vmcnt(1)
	v_cndmask_b32_e32 v8, v2, v3, vcc
	v_cmp_eq_u32_e32 vcc, 2, v0
	v_cndmask_b32_e32 v8, v8, v4, vcc
	v_cmp_eq_u32_e32 vcc, 3, v0
	;; [unrolled: 2-line block ×3, first 2 shown]
	s_waitcnt vmcnt(0)
	v_cndmask_b32_e32 v8, v8, v6, vcc
	s_waitcnt lgkmcnt(0)
	v_mul_f32_e32 v8, v8, v9
	s_cbranch_execz .LBB4_68
	s_branch .LBB4_69
.LBB4_67:
                                        ; implicit-def: $vgpr8
.LBB4_68:
	ds_read_b32 v8, v13
.LBB4_69:
	v_cmp_ne_u32_e32 vcc, 2, v0
	s_and_saveexec_b64 s[8:9], vcc
	s_cbranch_execz .LBB4_71
; %bb.70:
	v_cmp_eq_u32_e32 vcc, 1, v7
	v_mov_b32_e32 v10, 0
	s_waitcnt vmcnt(1)
	v_cndmask_b32_e32 v9, v2, v3, vcc
	v_cmp_eq_u32_e32 vcc, 2, v7
	ds_read_b32 v11, v13 offset:4
	ds_read_b32 v10, v10 offset:40
	v_cndmask_b32_e32 v9, v9, v4, vcc
	v_cmp_eq_u32_e32 vcc, 3, v7
	v_cndmask_b32_e32 v5, v9, v5, vcc
	v_cmp_eq_u32_e32 vcc, 4, v7
	s_waitcnt vmcnt(0)
	v_cndmask_b32_e32 v5, v5, v6, vcc
	s_waitcnt lgkmcnt(1)
	v_fmac_f32_e32 v8, v5, v11
	s_waitcnt lgkmcnt(0)
	v_fma_f32 v5, v4, v10, v8
	v_cndmask_b32_e64 v8, v8, v5, s[0:1]
.LBB4_71:
	s_or_b64 exec, exec, s[8:9]
	v_mov_b32_e32 v5, 0
	ds_read_b32 v5, v5 offset:12
	s_waitcnt lgkmcnt(0)
	v_mul_f32_e32 v5, v8, v5
.LBB4_72:
	s_or_b64 exec, exec, s[6:7]
	v_cmp_ne_u32_e32 vcc, 4, v0
	s_waitcnt vmcnt(0)
	ds_write_b32 v13, v6
	s_waitcnt lgkmcnt(0)
	; wave barrier
	s_waitcnt lgkmcnt(0)
	s_and_saveexec_b64 s[6:7], vcc
	s_cbranch_execz .LBB4_82
; %bb.73:
	s_and_b64 vcc, exec, s[2:3]
	s_cbranch_vccnz .LBB4_75
; %bb.74:
	v_cmp_eq_u32_e32 vcc, 1, v0
	ds_read_b32 v8, v13
	v_cndmask_b32_e32 v7, v2, v3, vcc
	v_cmp_eq_u32_e32 vcc, 2, v0
	v_cndmask_b32_e32 v7, v7, v4, vcc
	v_cmp_eq_u32_e32 vcc, 3, v0
	;; [unrolled: 2-line block ×3, first 2 shown]
	v_cndmask_b32_e32 v7, v7, v6, vcc
	s_waitcnt lgkmcnt(0)
	v_mul_f32_e32 v7, v7, v8
	s_cbranch_execz .LBB4_76
	s_branch .LBB4_77
.LBB4_75:
                                        ; implicit-def: $vgpr7
.LBB4_76:
	ds_read_b32 v7, v13
.LBB4_77:
	s_and_saveexec_b64 s[2:3], s[4:5]
	s_cbranch_execz .LBB4_81
; %bb.78:
	v_lshl_add_u32 v8, v0, 2, 36
	s_mov_b64 s[4:5], 0
.LBB4_79:                               ; =>This Inner Loop Header: Depth=1
	v_add_co_u32_e32 v0, vcc, 1, v0
	v_addc_co_u32_e32 v1, vcc, 0, v1, vcc
	ds_read_b32 v9, v8
	v_cmp_eq_u32_e32 vcc, 1, v0
	v_cndmask_b32_e32 v10, v2, v3, vcc
	v_cmp_lt_u32_e32 vcc, 2, v0
	v_cmp_eq_u32_e64 s[0:1], 2, v0
	v_cndmask_b32_e64 v10, v10, v4, s[0:1]
	s_or_b64 s[4:5], vcc, s[4:5]
	v_cmp_eq_u32_e32 vcc, 3, v0
	v_cndmask_b32_e32 v10, v10, v5, vcc
	v_cmp_eq_u32_e32 vcc, 4, v0
	v_cndmask_b32_e32 v10, v10, v6, vcc
	v_add_u32_e32 v8, 4, v8
	s_waitcnt lgkmcnt(0)
	v_fmac_f32_e32 v7, v10, v9
	s_andn2_b64 exec, exec, s[4:5]
	s_cbranch_execnz .LBB4_79
; %bb.80:
	s_or_b64 exec, exec, s[4:5]
.LBB4_81:
	s_or_b64 exec, exec, s[2:3]
	v_mov_b32_e32 v0, 0
	ds_read_b32 v0, v0 offset:16
	s_waitcnt lgkmcnt(0)
	v_mul_f32_e32 v6, v7, v0
.LBB4_82:
	s_or_b64 exec, exec, s[6:7]
	v_mov_b32_e32 v12, v6
	v_mov_b32_e32 v11, v5
	;; [unrolled: 1-line block ×5, first 2 shown]
.LBB4_83:
	global_store_dword v[14:15], v8, off
	global_store_dword v[16:17], v9, off
	;; [unrolled: 1-line block ×5, first 2 shown]
.LBB4_84:
	s_endpgm
	.section	.rodata,"a",@progbits
	.p2align	6, 0x0
	.amdhsa_kernel _ZN9rocsolver6v33100L18trti2_kernel_smallILi5EfPfEEv13rocblas_fill_17rocblas_diagonal_T1_iil
		.amdhsa_group_segment_fixed_size 52
		.amdhsa_private_segment_fixed_size 0
		.amdhsa_kernarg_size 32
		.amdhsa_user_sgpr_count 6
		.amdhsa_user_sgpr_private_segment_buffer 1
		.amdhsa_user_sgpr_dispatch_ptr 0
		.amdhsa_user_sgpr_queue_ptr 0
		.amdhsa_user_sgpr_kernarg_segment_ptr 1
		.amdhsa_user_sgpr_dispatch_id 0
		.amdhsa_user_sgpr_flat_scratch_init 0
		.amdhsa_user_sgpr_kernarg_preload_length 0
		.amdhsa_user_sgpr_kernarg_preload_offset 0
		.amdhsa_user_sgpr_private_segment_size 0
		.amdhsa_uses_dynamic_stack 0
		.amdhsa_system_sgpr_private_segment_wavefront_offset 0
		.amdhsa_system_sgpr_workgroup_id_x 1
		.amdhsa_system_sgpr_workgroup_id_y 0
		.amdhsa_system_sgpr_workgroup_id_z 0
		.amdhsa_system_sgpr_workgroup_info 0
		.amdhsa_system_vgpr_workitem_id 0
		.amdhsa_next_free_vgpr 35
		.amdhsa_next_free_sgpr 20
		.amdhsa_accum_offset 36
		.amdhsa_reserve_vcc 1
		.amdhsa_reserve_flat_scratch 0
		.amdhsa_float_round_mode_32 0
		.amdhsa_float_round_mode_16_64 0
		.amdhsa_float_denorm_mode_32 3
		.amdhsa_float_denorm_mode_16_64 3
		.amdhsa_dx10_clamp 1
		.amdhsa_ieee_mode 1
		.amdhsa_fp16_overflow 0
		.amdhsa_tg_split 0
		.amdhsa_exception_fp_ieee_invalid_op 0
		.amdhsa_exception_fp_denorm_src 0
		.amdhsa_exception_fp_ieee_div_zero 0
		.amdhsa_exception_fp_ieee_overflow 0
		.amdhsa_exception_fp_ieee_underflow 0
		.amdhsa_exception_fp_ieee_inexact 0
		.amdhsa_exception_int_div_zero 0
	.end_amdhsa_kernel
	.section	.text._ZN9rocsolver6v33100L18trti2_kernel_smallILi5EfPfEEv13rocblas_fill_17rocblas_diagonal_T1_iil,"axG",@progbits,_ZN9rocsolver6v33100L18trti2_kernel_smallILi5EfPfEEv13rocblas_fill_17rocblas_diagonal_T1_iil,comdat
.Lfunc_end4:
	.size	_ZN9rocsolver6v33100L18trti2_kernel_smallILi5EfPfEEv13rocblas_fill_17rocblas_diagonal_T1_iil, .Lfunc_end4-_ZN9rocsolver6v33100L18trti2_kernel_smallILi5EfPfEEv13rocblas_fill_17rocblas_diagonal_T1_iil
                                        ; -- End function
	.section	.AMDGPU.csdata,"",@progbits
; Kernel info:
; codeLenInByte = 3448
; NumSgprs: 24
; NumVgprs: 35
; NumAgprs: 0
; TotalNumVgprs: 35
; ScratchSize: 0
; MemoryBound: 0
; FloatMode: 240
; IeeeMode: 1
; LDSByteSize: 52 bytes/workgroup (compile time only)
; SGPRBlocks: 2
; VGPRBlocks: 4
; NumSGPRsForWavesPerEU: 24
; NumVGPRsForWavesPerEU: 35
; AccumOffset: 36
; Occupancy: 8
; WaveLimiterHint : 0
; COMPUTE_PGM_RSRC2:SCRATCH_EN: 0
; COMPUTE_PGM_RSRC2:USER_SGPR: 6
; COMPUTE_PGM_RSRC2:TRAP_HANDLER: 0
; COMPUTE_PGM_RSRC2:TGID_X_EN: 1
; COMPUTE_PGM_RSRC2:TGID_Y_EN: 0
; COMPUTE_PGM_RSRC2:TGID_Z_EN: 0
; COMPUTE_PGM_RSRC2:TIDIG_COMP_CNT: 0
; COMPUTE_PGM_RSRC3_GFX90A:ACCUM_OFFSET: 8
; COMPUTE_PGM_RSRC3_GFX90A:TG_SPLIT: 0
	.section	.text._ZN9rocsolver6v33100L18trti2_kernel_smallILi6EfPfEEv13rocblas_fill_17rocblas_diagonal_T1_iil,"axG",@progbits,_ZN9rocsolver6v33100L18trti2_kernel_smallILi6EfPfEEv13rocblas_fill_17rocblas_diagonal_T1_iil,comdat
	.globl	_ZN9rocsolver6v33100L18trti2_kernel_smallILi6EfPfEEv13rocblas_fill_17rocblas_diagonal_T1_iil ; -- Begin function _ZN9rocsolver6v33100L18trti2_kernel_smallILi6EfPfEEv13rocblas_fill_17rocblas_diagonal_T1_iil
	.p2align	8
	.type	_ZN9rocsolver6v33100L18trti2_kernel_smallILi6EfPfEEv13rocblas_fill_17rocblas_diagonal_T1_iil,@function
_ZN9rocsolver6v33100L18trti2_kernel_smallILi6EfPfEEv13rocblas_fill_17rocblas_diagonal_T1_iil: ; @_ZN9rocsolver6v33100L18trti2_kernel_smallILi6EfPfEEv13rocblas_fill_17rocblas_diagonal_T1_iil
; %bb.0:
	v_cmp_gt_u32_e32 vcc, 6, v0
	s_and_saveexec_b64 s[0:1], vcc
	s_cbranch_execz .LBB5_110
; %bb.1:
	s_load_dwordx8 s[12:19], s[4:5], 0x0
	s_ashr_i32 s2, s6, 31
	v_lshlrev_b32_e32 v8, 2, v0
	v_mov_b32_e32 v9, -1.0
	s_waitcnt lgkmcnt(0)
	s_mul_i32 s3, s6, s19
	s_mul_hi_u32 s4, s6, s18
	s_add_i32 s3, s4, s3
	s_mul_i32 s2, s2, s18
	s_add_i32 s3, s3, s2
	s_mul_i32 s2, s6, s18
	s_ashr_i32 s1, s16, 31
	s_lshl_b64 s[2:3], s[2:3], 2
	s_mov_b32 s0, s16
	s_add_u32 s2, s14, s2
	s_addc_u32 s3, s15, s3
	s_lshl_b64 s[0:1], s[0:1], 2
	s_add_u32 s0, s2, s0
	s_addc_u32 s1, s3, s1
	v_mov_b32_e32 v1, s1
	v_add_co_u32_e32 v14, vcc, s0, v8
	s_ashr_i32 s3, s17, 31
	s_mov_b32 s2, s17
	v_addc_co_u32_e32 v15, vcc, 0, v1, vcc
	s_lshl_b64 s[2:3], s[2:3], 2
	v_add_co_u32_e32 v16, vcc, s2, v14
	s_add_i32 s2, s17, s17
	v_add_u32_e32 v2, s2, v0
	v_mov_b32_e32 v1, s3
	v_ashrrev_i32_e32 v3, 31, v2
	v_addc_co_u32_e32 v17, vcc, v15, v1, vcc
	v_lshlrev_b64 v[4:5], 2, v[2:3]
	v_add_u32_e32 v2, s17, v2
	v_mov_b32_e32 v1, s1
	v_add_co_u32_e32 v18, vcc, s0, v4
	v_ashrrev_i32_e32 v3, 31, v2
	v_addc_co_u32_e32 v19, vcc, v1, v5, vcc
	v_lshlrev_b64 v[4:5], 2, v[2:3]
	v_add_u32_e32 v2, s17, v2
	v_add_co_u32_e32 v20, vcc, s0, v4
	v_ashrrev_i32_e32 v3, 31, v2
	v_addc_co_u32_e32 v21, vcc, v1, v5, vcc
	v_lshlrev_b64 v[4:5], 2, v[2:3]
	v_add_u32_e32 v10, s17, v2
	v_add_co_u32_e32 v22, vcc, s0, v4
	v_ashrrev_i32_e32 v11, 31, v10
	v_addc_co_u32_e32 v23, vcc, v1, v5, vcc
	global_load_dword v3, v[16:17], off
	global_load_dword v4, v[18:19], off
	;; [unrolled: 1-line block ×4, first 2 shown]
	v_lshlrev_b64 v[10:11], 2, v[10:11]
	v_add_co_u32_e32 v24, vcc, s0, v10
	v_addc_co_u32_e32 v25, vcc, v1, v11, vcc
	global_load_dword v2, v8, s[0:1]
	global_load_dword v7, v[24:25], off
	s_cmpk_lg_i32 s13, 0x84
	v_mov_b32_e32 v1, 0
	s_cselect_b64 s[14:15], -1, 0
	s_cmpk_eq_i32 s13, 0x84
	v_cmp_eq_u32_e64 s[0:1], 0, v0
	s_cbranch_scc1 .LBB5_3
; %bb.2:
	v_cmp_eq_u32_e64 s[2:3], 1, v0
	s_waitcnt vmcnt(1)
	v_cndmask_b32_e64 v9, v2, v3, s[2:3]
	v_cmp_eq_u32_e64 s[4:5], 2, v0
	v_cndmask_b32_e64 v9, v9, v4, s[4:5]
	v_cmp_eq_u32_e64 s[6:7], 3, v0
	;; [unrolled: 2-line block ×4, first 2 shown]
	s_waitcnt vmcnt(0)
	v_cndmask_b32_e64 v9, v9, v7, s[10:11]
	v_div_scale_f32 v10, s[16:17], v9, v9, 1.0
	v_rcp_f32_e32 v11, v10
	v_fma_f32 v12, -v10, v11, 1.0
	v_fmac_f32_e32 v11, v12, v11
	v_div_scale_f32 v12, vcc, 1.0, v9, 1.0
	v_mul_f32_e32 v13, v12, v11
	v_fma_f32 v26, -v10, v13, v12
	v_fmac_f32_e32 v13, v26, v11
	v_fma_f32 v10, -v10, v13, v12
	v_div_fmas_f32 v10, v10, v11, v13
	v_div_fixup_f32 v9, v10, v9, 1.0
	v_cndmask_b32_e64 v7, v7, v9, s[10:11]
	v_cndmask_b32_e64 v6, v6, v9, s[8:9]
	;; [unrolled: 1-line block ×6, first 2 shown]
	v_xor_b32_e32 v9, 0x80000000, v9
.LBB5_3:
	s_cmpk_eq_i32 s12, 0x79
	v_add_u32_e32 v29, 32, v8
	ds_write_b32 v8, v9
	s_cbranch_scc1 .LBB5_7
; %bb.4:
	s_waitcnt vmcnt(0)
	v_pk_mov_b32 v[12:13], v[6:7], v[6:7] op_sel:[0,1]
	v_cmp_eq_u32_e64 s[0:1], 5, v0
	v_pk_mov_b32 v[10:11], v[4:5], v[4:5] op_sel:[0,1]
	v_pk_mov_b32 v[8:9], v[2:3], v[2:3] op_sel:[0,1]
	ds_write_b32 v29, v6
	s_waitcnt lgkmcnt(0)
	; wave barrier
	s_waitcnt lgkmcnt(0)
	s_and_saveexec_b64 s[2:3], s[0:1]
	s_cbranch_execz .LBB5_11
; %bb.5:
	s_and_b64 vcc, exec, s[14:15]
	s_cbranch_vccz .LBB5_8
; %bb.6:
	v_cmp_eq_u32_e32 vcc, 1, v0
	v_cndmask_b32_e32 v8, v2, v3, vcc
	v_cmp_eq_u32_e32 vcc, 2, v0
	ds_read_b32 v9, v29
	v_cndmask_b32_e32 v8, v8, v4, vcc
	v_cmp_eq_u32_e32 vcc, 3, v0
	v_cndmask_b32_e32 v8, v8, v5, vcc
	v_cmp_eq_u32_e32 vcc, 4, v0
	;; [unrolled: 2-line block ×3, first 2 shown]
	v_cndmask_b32_e32 v8, v8, v7, vcc
	s_waitcnt lgkmcnt(0)
	v_mul_f32_e32 v8, v8, v9
	s_cbranch_execz .LBB5_9
	s_branch .LBB5_10
.LBB5_7:
                                        ; implicit-def: $vgpr8_vgpr9_vgpr10_vgpr11_vgpr12_vgpr13
	s_cbranch_execnz .LBB5_66
	s_branch .LBB5_109
.LBB5_8:
                                        ; implicit-def: $vgpr8
.LBB5_9:
	ds_read_b32 v8, v29
.LBB5_10:
	v_mov_b32_e32 v9, 0
	ds_read_b32 v9, v9 offset:16
	s_waitcnt lgkmcnt(0)
	v_mul_f32_e32 v26, v8, v9
	v_pk_mov_b32 v[12:13], v[6:7], v[6:7] op_sel:[0,1]
	v_pk_mov_b32 v[10:11], v[4:5], v[4:5] op_sel:[0,1]
	;; [unrolled: 1-line block ×3, first 2 shown]
	v_mov_b32_e32 v12, v26
.LBB5_11:
	s_or_b64 exec, exec, s[2:3]
	v_cmp_lt_u32_e64 s[2:3], 3, v0
	ds_write_b32 v29, v11
	s_waitcnt lgkmcnt(0)
	; wave barrier
	s_waitcnt lgkmcnt(0)
	s_and_saveexec_b64 s[4:5], s[2:3]
	s_cbranch_execz .LBB5_17
; %bb.12:
	s_andn2_b64 vcc, exec, s[14:15]
	s_cbranch_vccnz .LBB5_14
; %bb.13:
	v_cmp_eq_u32_e32 vcc, 1, v0
	v_cndmask_b32_e32 v26, v8, v9, vcc
	v_cmp_eq_u32_e32 vcc, 2, v0
	v_cndmask_b32_e32 v26, v26, v10, vcc
	;; [unrolled: 2-line block ×3, first 2 shown]
	ds_read_b32 v26, v29
	v_cmp_eq_u32_e32 vcc, 4, v0
	v_cndmask_b32_e32 v11, v11, v12, vcc
	v_cmp_eq_u32_e32 vcc, 5, v0
	v_cndmask_b32_e32 v11, v11, v13, vcc
	s_waitcnt lgkmcnt(0)
	v_mul_f32_e32 v11, v11, v26
	s_cbranch_execz .LBB5_15
	s_branch .LBB5_16
.LBB5_14:
                                        ; implicit-def: $vgpr11
.LBB5_15:
	ds_read_b32 v11, v29
.LBB5_16:
	v_mov_b32_e32 v26, 0
	ds_read2_b32 v[26:27], v26 offset0:3 offset1:12
	s_waitcnt lgkmcnt(0)
	v_fma_f32 v27, v12, v27, v11
	v_cndmask_b32_e64 v11, v11, v27, s[0:1]
	v_mul_f32_e32 v11, v11, v26
.LBB5_17:
	s_or_b64 exec, exec, s[4:5]
	v_cmp_lt_u32_e64 s[0:1], 2, v0
	ds_write_b32 v29, v10
	s_waitcnt lgkmcnt(0)
	; wave barrier
	s_waitcnt lgkmcnt(0)
	s_and_saveexec_b64 s[4:5], s[0:1]
	s_cbranch_execz .LBB5_33
; %bb.18:
	s_andn2_b64 vcc, exec, s[14:15]
	s_cbranch_vccnz .LBB5_20
; %bb.19:
	v_cmp_eq_u32_e32 vcc, 1, v0
	v_cndmask_b32_e32 v26, v8, v9, vcc
	v_cmp_eq_u32_e32 vcc, 2, v0
	ds_read_b32 v27, v29
	v_cndmask_b32_e32 v26, v26, v10, vcc
	v_cmp_eq_u32_e32 vcc, 3, v0
	v_cndmask_b32_e32 v26, v26, v11, vcc
	v_cmp_eq_u32_e32 vcc, 4, v0
	;; [unrolled: 2-line block ×3, first 2 shown]
	v_cndmask_b32_e32 v26, v26, v13, vcc
	s_waitcnt lgkmcnt(0)
	v_mul_f32_e32 v30, v26, v27
	s_cbranch_execz .LBB5_21
	s_branch .LBB5_22
.LBB5_20:
                                        ; implicit-def: $vgpr30
.LBB5_21:
	ds_read_b32 v30, v29
.LBB5_22:
	s_and_saveexec_b64 s[6:7], s[2:3]
	s_cbranch_execz .LBB5_32
; %bb.23:
	v_add_u32_e32 v26, -4, v0
	v_add_u32_e32 v27, -3, v0
	v_cmp_lt_u32_e32 vcc, 6, v26
	v_mov_b32_e32 v28, 3
	s_and_saveexec_b64 s[2:3], vcc
	s_cbranch_execz .LBB5_27
; %bb.24:
	v_and_b32_e32 v26, -8, v27
	v_sub_u32_e32 v26, 0, v26
	s_mov_b64 s[8:9], 10
	s_mov_b32 s12, 44
	s_mov_b64 s[10:11], 0
.LBB5_25:                               ; =>This Inner Loop Header: Depth=1
	s_add_i32 s13, s8, -7
	s_cmp_eq_u32 s13, 1
	v_mov_b32_e32 v28, s12
	s_cselect_b64 vcc, -1, 0
	s_cmp_eq_u32 s13, 2
	ds_read2_b32 v[32:33], v28 offset1:1
	ds_read2_b32 v[34:35], v28 offset0:2 offset1:3
	ds_read2_b32 v[36:37], v28 offset0:4 offset1:5
	ds_read2_b32 v[38:39], v28 offset0:6 offset1:7
	v_cndmask_b32_e32 v28, v8, v9, vcc
	s_cselect_b64 vcc, -1, 0
	s_cmp_eq_u32 s13, 3
	v_cndmask_b32_e32 v28, v28, v10, vcc
	s_cselect_b64 vcc, -1, 0
	s_cmp_eq_u32 s13, 4
	v_cndmask_b32_e32 v28, v28, v11, vcc
	s_cselect_b64 vcc, -1, 0
	s_cmp_eq_u32 s13, 5
	v_cndmask_b32_e32 v28, v28, v12, vcc
	s_cselect_b64 vcc, -1, 0
	s_add_i32 s13, s8, -6
	s_cmp_eq_u32 s13, 1
	v_cndmask_b32_e32 v28, v28, v13, vcc
	s_cselect_b64 vcc, -1, 0
	s_cmp_eq_u32 s13, 2
	s_waitcnt lgkmcnt(3)
	v_fmac_f32_e32 v30, v28, v32
	v_cndmask_b32_e32 v28, v8, v9, vcc
	s_cselect_b64 vcc, -1, 0
	s_cmp_eq_u32 s13, 3
	v_cndmask_b32_e32 v28, v28, v10, vcc
	s_cselect_b64 vcc, -1, 0
	s_cmp_eq_u32 s13, 4
	v_cndmask_b32_e32 v28, v28, v11, vcc
	s_cselect_b64 vcc, -1, 0
	s_cmp_eq_u32 s13, 5
	v_cndmask_b32_e32 v28, v28, v12, vcc
	s_cselect_b64 vcc, -1, 0
	s_add_i32 s13, s8, -5
	s_cmp_eq_u32 s13, 1
	v_cndmask_b32_e32 v28, v28, v13, vcc
	s_cselect_b64 vcc, -1, 0
	s_cmp_eq_u32 s13, 2
	v_fmac_f32_e32 v30, v28, v33
	v_cndmask_b32_e32 v28, v8, v9, vcc
	s_cselect_b64 vcc, -1, 0
	s_cmp_eq_u32 s13, 3
	v_cndmask_b32_e32 v28, v28, v10, vcc
	s_cselect_b64 vcc, -1, 0
	s_cmp_eq_u32 s13, 4
	v_cndmask_b32_e32 v28, v28, v11, vcc
	s_cselect_b64 vcc, -1, 0
	s_cmp_eq_u32 s13, 5
	v_cndmask_b32_e32 v28, v28, v12, vcc
	s_cselect_b64 vcc, -1, 0
	s_add_i32 s13, s8, -4
	s_cmp_eq_u32 s13, 1
	v_cndmask_b32_e32 v28, v28, v13, vcc
	s_cselect_b64 vcc, -1, 0
	s_cmp_eq_u32 s13, 2
	s_waitcnt lgkmcnt(2)
	v_fmac_f32_e32 v30, v28, v34
	v_cndmask_b32_e32 v28, v8, v9, vcc
	s_cselect_b64 vcc, -1, 0
	s_cmp_eq_u32 s13, 3
	v_cndmask_b32_e32 v28, v28, v10, vcc
	s_cselect_b64 vcc, -1, 0
	s_cmp_eq_u32 s13, 4
	v_cndmask_b32_e32 v28, v28, v11, vcc
	s_cselect_b64 vcc, -1, 0
	s_cmp_eq_u32 s13, 5
	v_cndmask_b32_e32 v28, v28, v12, vcc
	s_cselect_b64 vcc, -1, 0
	s_add_i32 s13, s8, -3
	s_cmp_eq_u32 s13, 1
	v_cndmask_b32_e32 v28, v28, v13, vcc
	s_cselect_b64 vcc, -1, 0
	s_cmp_eq_u32 s13, 2
	v_fmac_f32_e32 v30, v28, v35
	;; [unrolled: 35-line block ×3, first 2 shown]
	v_cndmask_b32_e32 v28, v8, v9, vcc
	s_cselect_b64 vcc, -1, 0
	s_cmp_eq_u32 s13, 3
	v_cndmask_b32_e32 v28, v28, v10, vcc
	s_cselect_b64 vcc, -1, 0
	s_cmp_eq_u32 s13, 4
	v_cndmask_b32_e32 v28, v28, v11, vcc
	s_cselect_b64 vcc, -1, 0
	s_cmp_eq_u32 s13, 5
	v_cndmask_b32_e32 v28, v28, v12, vcc
	s_cselect_b64 vcc, -1, 0
	s_cmp_eq_u32 s8, 1
	v_cndmask_b32_e32 v28, v28, v13, vcc
	s_cselect_b64 vcc, -1, 0
	s_cmp_eq_u32 s8, 2
	s_waitcnt lgkmcnt(0)
	v_fmac_f32_e32 v30, v28, v38
	v_cndmask_b32_e32 v28, v8, v9, vcc
	s_cselect_b64 vcc, -1, 0
	s_cmp_eq_u32 s8, 3
	v_cndmask_b32_e32 v28, v28, v10, vcc
	s_cselect_b64 vcc, -1, 0
	s_cmp_eq_u32 s8, 4
	;; [unrolled: 3-line block ×3, first 2 shown]
	v_cndmask_b32_e32 v28, v28, v12, vcc
	s_cselect_b64 vcc, -1, 0
	v_cndmask_b32_e32 v28, v28, v13, vcc
	s_add_u32 s8, s8, 8
	v_fmac_f32_e32 v30, v28, v39
	v_add_u32_e32 v28, s8, v26
	s_addc_u32 s9, s9, 0
	s_add_i32 s12, s12, 32
	s_add_i32 s13, s8, -7
	v_cmp_eq_u32_e32 vcc, 10, v28
	s_or_b64 s[10:11], vcc, s[10:11]
	v_mov_b32_e32 v28, s13
	s_andn2_b64 exec, exec, s[10:11]
	s_cbranch_execnz .LBB5_25
; %bb.26:
	s_or_b64 exec, exec, s[10:11]
.LBB5_27:
	s_or_b64 exec, exec, s[2:3]
	v_and_b32_e32 v26, 7, v27
	v_cmp_ne_u32_e32 vcc, 0, v26
	s_and_saveexec_b64 s[8:9], vcc
	s_cbranch_execz .LBB5_31
; %bb.28:
	v_lshl_add_u32 v31, v28, 2, 32
	v_mov_b32_e32 v27, 0
	s_mov_b64 s[10:11], 0
.LBB5_29:                               ; =>This Inner Loop Header: Depth=1
	v_cmp_eq_u32_e32 vcc, 1, v28
	v_cndmask_b32_e32 v32, v8, v9, vcc
	ds_read_b32 v33, v31
	v_add_u32_e32 v26, -1, v26
	v_cmp_eq_u32_e32 vcc, 2, v28
	v_cndmask_b32_e32 v32, v32, v10, vcc
	v_cmp_eq_u32_e32 vcc, 0, v26
	v_cmp_eq_u32_e64 s[2:3], 3, v28
	v_cndmask_b32_e64 v32, v32, v11, s[2:3]
	s_or_b64 s[10:11], vcc, s[10:11]
	v_cmp_eq_u32_e32 vcc, 4, v28
	v_cndmask_b32_e32 v32, v32, v12, vcc
	v_cmp_eq_u32_e32 vcc, 5, v28
	v_add_co_u32_e64 v28, s[2:3], 1, v28
	v_cndmask_b32_e32 v32, v32, v13, vcc
	v_add_u32_e32 v31, 4, v31
	v_addc_co_u32_e64 v27, s[2:3], 0, v27, s[2:3]
	s_waitcnt lgkmcnt(0)
	v_fmac_f32_e32 v30, v32, v33
	s_andn2_b64 exec, exec, s[10:11]
	s_cbranch_execnz .LBB5_29
; %bb.30:
	s_or_b64 exec, exec, s[10:11]
.LBB5_31:
	s_or_b64 exec, exec, s[8:9]
.LBB5_32:
	s_or_b64 exec, exec, s[6:7]
	v_mov_b32_e32 v10, 0
	ds_read_b32 v10, v10 offset:8
	s_waitcnt lgkmcnt(0)
	v_mul_f32_e32 v10, v30, v10
.LBB5_33:
	s_or_b64 exec, exec, s[4:5]
	v_cmp_lt_u32_e64 s[2:3], 1, v0
	ds_write_b32 v29, v9
	s_waitcnt lgkmcnt(0)
	; wave barrier
	s_waitcnt lgkmcnt(0)
	s_and_saveexec_b64 s[4:5], s[2:3]
	s_cbranch_execz .LBB5_49
; %bb.34:
	s_andn2_b64 vcc, exec, s[14:15]
	s_cbranch_vccnz .LBB5_36
; %bb.35:
	v_cmp_eq_u32_e32 vcc, 1, v0
	v_cndmask_b32_e32 v26, v8, v9, vcc
	v_cmp_eq_u32_e32 vcc, 2, v0
	ds_read_b32 v27, v29
	v_cndmask_b32_e32 v26, v26, v10, vcc
	v_cmp_eq_u32_e32 vcc, 3, v0
	v_cndmask_b32_e32 v26, v26, v11, vcc
	v_cmp_eq_u32_e32 vcc, 4, v0
	;; [unrolled: 2-line block ×3, first 2 shown]
	v_cndmask_b32_e32 v26, v26, v13, vcc
	s_waitcnt lgkmcnt(0)
	v_mul_f32_e32 v30, v26, v27
	s_cbranch_execz .LBB5_37
	s_branch .LBB5_38
.LBB5_36:
                                        ; implicit-def: $vgpr30
.LBB5_37:
	ds_read_b32 v30, v29
.LBB5_38:
	s_and_saveexec_b64 s[6:7], s[0:1]
	s_cbranch_execz .LBB5_48
; %bb.39:
	v_add_u32_e32 v26, -3, v0
	v_add_u32_e32 v27, -2, v0
	v_cmp_lt_u32_e32 vcc, 6, v26
	v_mov_b32_e32 v28, 2
	s_and_saveexec_b64 s[0:1], vcc
	s_cbranch_execz .LBB5_43
; %bb.40:
	v_and_b32_e32 v26, -8, v27
	v_sub_u32_e32 v26, 0, v26
	s_mov_b64 s[8:9], 9
	s_mov_b32 s12, 40
	s_mov_b64 s[10:11], 0
.LBB5_41:                               ; =>This Inner Loop Header: Depth=1
	s_add_i32 s13, s8, -7
	s_cmp_eq_u32 s13, 1
	v_mov_b32_e32 v28, s12
	s_cselect_b64 vcc, -1, 0
	s_cmp_eq_u32 s13, 2
	ds_read2_b64 v[32:35], v28 offset1:1
	ds_read2_b64 v[36:39], v28 offset0:2 offset1:3
	v_cndmask_b32_e32 v28, v8, v9, vcc
	s_cselect_b64 vcc, -1, 0
	s_cmp_eq_u32 s13, 3
	v_cndmask_b32_e32 v28, v28, v10, vcc
	s_cselect_b64 vcc, -1, 0
	s_cmp_eq_u32 s13, 4
	;; [unrolled: 3-line block ×3, first 2 shown]
	v_cndmask_b32_e32 v28, v28, v12, vcc
	s_cselect_b64 vcc, -1, 0
	s_add_i32 s13, s8, -6
	s_cmp_eq_u32 s13, 1
	v_cndmask_b32_e32 v28, v28, v13, vcc
	s_cselect_b64 vcc, -1, 0
	s_cmp_eq_u32 s13, 2
	s_waitcnt lgkmcnt(1)
	v_fmac_f32_e32 v30, v28, v32
	v_cndmask_b32_e32 v28, v8, v9, vcc
	s_cselect_b64 vcc, -1, 0
	s_cmp_eq_u32 s13, 3
	v_cndmask_b32_e32 v28, v28, v10, vcc
	s_cselect_b64 vcc, -1, 0
	s_cmp_eq_u32 s13, 4
	v_cndmask_b32_e32 v28, v28, v11, vcc
	s_cselect_b64 vcc, -1, 0
	s_cmp_eq_u32 s13, 5
	v_cndmask_b32_e32 v28, v28, v12, vcc
	s_cselect_b64 vcc, -1, 0
	s_add_i32 s13, s8, -5
	s_cmp_eq_u32 s13, 1
	v_cndmask_b32_e32 v28, v28, v13, vcc
	s_cselect_b64 vcc, -1, 0
	s_cmp_eq_u32 s13, 2
	v_fmac_f32_e32 v30, v28, v33
	v_cndmask_b32_e32 v28, v8, v9, vcc
	s_cselect_b64 vcc, -1, 0
	s_cmp_eq_u32 s13, 3
	v_cndmask_b32_e32 v28, v28, v10, vcc
	s_cselect_b64 vcc, -1, 0
	s_cmp_eq_u32 s13, 4
	v_cndmask_b32_e32 v28, v28, v11, vcc
	s_cselect_b64 vcc, -1, 0
	s_cmp_eq_u32 s13, 5
	v_cndmask_b32_e32 v28, v28, v12, vcc
	s_cselect_b64 vcc, -1, 0
	s_add_i32 s13, s8, -4
	s_cmp_eq_u32 s13, 1
	v_cndmask_b32_e32 v28, v28, v13, vcc
	s_cselect_b64 vcc, -1, 0
	s_cmp_eq_u32 s13, 2
	;; [unrolled: 17-line block ×4, first 2 shown]
	s_waitcnt lgkmcnt(0)
	v_fmac_f32_e32 v30, v28, v36
	v_cndmask_b32_e32 v28, v8, v9, vcc
	s_cselect_b64 vcc, -1, 0
	s_cmp_eq_u32 s13, 3
	v_cndmask_b32_e32 v28, v28, v10, vcc
	s_cselect_b64 vcc, -1, 0
	s_cmp_eq_u32 s13, 4
	;; [unrolled: 3-line block ×3, first 2 shown]
	v_cndmask_b32_e32 v28, v28, v12, vcc
	s_cselect_b64 vcc, -1, 0
	s_add_i32 s13, s8, -1
	s_cmp_eq_u32 s13, 1
	v_cndmask_b32_e32 v28, v28, v13, vcc
	s_cselect_b64 vcc, -1, 0
	s_cmp_eq_u32 s13, 2
	v_fmac_f32_e32 v30, v28, v37
	v_cndmask_b32_e32 v28, v8, v9, vcc
	s_cselect_b64 vcc, -1, 0
	s_cmp_eq_u32 s13, 3
	v_cndmask_b32_e32 v28, v28, v10, vcc
	s_cselect_b64 vcc, -1, 0
	s_cmp_eq_u32 s13, 4
	;; [unrolled: 3-line block ×5, first 2 shown]
	v_fmac_f32_e32 v30, v28, v38
	v_cndmask_b32_e32 v28, v8, v9, vcc
	s_cselect_b64 vcc, -1, 0
	s_cmp_eq_u32 s8, 3
	v_cndmask_b32_e32 v28, v28, v10, vcc
	s_cselect_b64 vcc, -1, 0
	s_cmp_eq_u32 s8, 4
	;; [unrolled: 3-line block ×3, first 2 shown]
	v_cndmask_b32_e32 v28, v28, v12, vcc
	s_cselect_b64 vcc, -1, 0
	v_cndmask_b32_e32 v28, v28, v13, vcc
	s_add_u32 s8, s8, 8
	v_fmac_f32_e32 v30, v28, v39
	v_add_u32_e32 v28, s8, v26
	s_addc_u32 s9, s9, 0
	s_add_i32 s12, s12, 32
	s_add_i32 s13, s8, -7
	v_cmp_eq_u32_e32 vcc, 9, v28
	s_or_b64 s[10:11], vcc, s[10:11]
	v_mov_b32_e32 v28, s13
	s_andn2_b64 exec, exec, s[10:11]
	s_cbranch_execnz .LBB5_41
; %bb.42:
	s_or_b64 exec, exec, s[10:11]
.LBB5_43:
	s_or_b64 exec, exec, s[0:1]
	v_and_b32_e32 v26, 7, v27
	v_cmp_ne_u32_e32 vcc, 0, v26
	s_and_saveexec_b64 s[8:9], vcc
	s_cbranch_execz .LBB5_47
; %bb.44:
	v_lshl_add_u32 v31, v28, 2, 32
	v_mov_b32_e32 v27, 0
	s_mov_b64 s[10:11], 0
.LBB5_45:                               ; =>This Inner Loop Header: Depth=1
	v_cmp_eq_u32_e32 vcc, 1, v28
	v_cndmask_b32_e32 v32, v8, v9, vcc
	ds_read_b32 v33, v31
	v_add_u32_e32 v26, -1, v26
	v_cmp_eq_u32_e32 vcc, 2, v28
	v_cndmask_b32_e32 v32, v32, v10, vcc
	v_cmp_eq_u32_e32 vcc, 0, v26
	v_cmp_eq_u32_e64 s[0:1], 3, v28
	v_cndmask_b32_e64 v32, v32, v11, s[0:1]
	s_or_b64 s[10:11], vcc, s[10:11]
	v_cmp_eq_u32_e32 vcc, 4, v28
	v_cndmask_b32_e32 v32, v32, v12, vcc
	v_cmp_eq_u32_e32 vcc, 5, v28
	v_add_co_u32_e64 v28, s[0:1], 1, v28
	v_cndmask_b32_e32 v32, v32, v13, vcc
	v_add_u32_e32 v31, 4, v31
	v_addc_co_u32_e64 v27, s[0:1], 0, v27, s[0:1]
	s_waitcnt lgkmcnt(0)
	v_fmac_f32_e32 v30, v32, v33
	s_andn2_b64 exec, exec, s[10:11]
	s_cbranch_execnz .LBB5_45
; %bb.46:
	s_or_b64 exec, exec, s[10:11]
.LBB5_47:
	s_or_b64 exec, exec, s[8:9]
.LBB5_48:
	s_or_b64 exec, exec, s[6:7]
	v_mov_b32_e32 v9, 0
	ds_read_b32 v9, v9 offset:4
	s_waitcnt lgkmcnt(0)
	v_mul_f32_e32 v9, v30, v9
.LBB5_49:
	s_or_b64 exec, exec, s[4:5]
	v_cmp_ne_u32_e32 vcc, 0, v0
	ds_write_b32 v29, v8
	s_waitcnt lgkmcnt(0)
	; wave barrier
	s_waitcnt lgkmcnt(0)
	s_and_saveexec_b64 s[4:5], vcc
	s_cbranch_execz .LBB5_65
; %bb.50:
	s_andn2_b64 vcc, exec, s[14:15]
	s_cbranch_vccnz .LBB5_52
; %bb.51:
	v_cmp_eq_u32_e32 vcc, 1, v0
	v_cndmask_b32_e32 v26, v8, v9, vcc
	v_cmp_eq_u32_e32 vcc, 2, v0
	ds_read_b32 v27, v29
	v_cndmask_b32_e32 v26, v26, v10, vcc
	v_cmp_eq_u32_e32 vcc, 3, v0
	v_cndmask_b32_e32 v26, v26, v11, vcc
	v_cmp_eq_u32_e32 vcc, 4, v0
	;; [unrolled: 2-line block ×3, first 2 shown]
	v_cndmask_b32_e32 v26, v26, v13, vcc
	s_waitcnt lgkmcnt(0)
	v_mul_f32_e32 v30, v26, v27
	s_cbranch_execz .LBB5_53
	s_branch .LBB5_54
.LBB5_52:
                                        ; implicit-def: $vgpr30
.LBB5_53:
	ds_read_b32 v30, v29
.LBB5_54:
	s_and_saveexec_b64 s[6:7], s[2:3]
	s_cbranch_execz .LBB5_64
; %bb.55:
	v_add_u32_e32 v26, -2, v0
	v_add_u32_e32 v27, -1, v0
	v_cmp_lt_u32_e32 vcc, 6, v26
	v_mov_b32_e32 v28, 1
	s_and_saveexec_b64 s[0:1], vcc
	s_cbranch_execz .LBB5_59
; %bb.56:
	v_and_b32_e32 v26, -8, v27
	v_sub_u32_e32 v26, 0, v26
	s_mov_b64 s[2:3], 8
	s_mov_b32 s10, 36
	s_mov_b64 s[8:9], 0
.LBB5_57:                               ; =>This Inner Loop Header: Depth=1
	s_add_i32 s11, s2, -7
	s_cmp_eq_u32 s11, 1
	v_mov_b32_e32 v28, s10
	s_cselect_b64 vcc, -1, 0
	s_cmp_eq_u32 s11, 2
	ds_read2_b32 v[32:33], v28 offset1:1
	ds_read2_b32 v[34:35], v28 offset0:2 offset1:3
	ds_read2_b32 v[36:37], v28 offset0:4 offset1:5
	;; [unrolled: 1-line block ×3, first 2 shown]
	v_cndmask_b32_e32 v28, v8, v9, vcc
	s_cselect_b64 vcc, -1, 0
	s_cmp_eq_u32 s11, 3
	v_cndmask_b32_e32 v28, v28, v10, vcc
	s_cselect_b64 vcc, -1, 0
	s_cmp_eq_u32 s11, 4
	v_cndmask_b32_e32 v28, v28, v11, vcc
	s_cselect_b64 vcc, -1, 0
	s_cmp_eq_u32 s11, 5
	v_cndmask_b32_e32 v28, v28, v12, vcc
	s_cselect_b64 vcc, -1, 0
	s_add_i32 s11, s2, -6
	s_cmp_eq_u32 s11, 1
	v_cndmask_b32_e32 v28, v28, v13, vcc
	s_cselect_b64 vcc, -1, 0
	s_cmp_eq_u32 s11, 2
	s_waitcnt lgkmcnt(3)
	v_fmac_f32_e32 v30, v28, v32
	v_cndmask_b32_e32 v28, v8, v9, vcc
	s_cselect_b64 vcc, -1, 0
	s_cmp_eq_u32 s11, 3
	v_cndmask_b32_e32 v28, v28, v10, vcc
	s_cselect_b64 vcc, -1, 0
	s_cmp_eq_u32 s11, 4
	v_cndmask_b32_e32 v28, v28, v11, vcc
	s_cselect_b64 vcc, -1, 0
	s_cmp_eq_u32 s11, 5
	v_cndmask_b32_e32 v28, v28, v12, vcc
	s_cselect_b64 vcc, -1, 0
	s_add_i32 s11, s2, -5
	s_cmp_eq_u32 s11, 1
	v_cndmask_b32_e32 v28, v28, v13, vcc
	s_cselect_b64 vcc, -1, 0
	s_cmp_eq_u32 s11, 2
	v_fmac_f32_e32 v30, v28, v33
	v_cndmask_b32_e32 v28, v8, v9, vcc
	s_cselect_b64 vcc, -1, 0
	s_cmp_eq_u32 s11, 3
	v_cndmask_b32_e32 v28, v28, v10, vcc
	s_cselect_b64 vcc, -1, 0
	s_cmp_eq_u32 s11, 4
	v_cndmask_b32_e32 v28, v28, v11, vcc
	s_cselect_b64 vcc, -1, 0
	s_cmp_eq_u32 s11, 5
	v_cndmask_b32_e32 v28, v28, v12, vcc
	s_cselect_b64 vcc, -1, 0
	s_add_i32 s11, s2, -4
	s_cmp_eq_u32 s11, 1
	v_cndmask_b32_e32 v28, v28, v13, vcc
	s_cselect_b64 vcc, -1, 0
	s_cmp_eq_u32 s11, 2
	s_waitcnt lgkmcnt(2)
	v_fmac_f32_e32 v30, v28, v34
	v_cndmask_b32_e32 v28, v8, v9, vcc
	s_cselect_b64 vcc, -1, 0
	s_cmp_eq_u32 s11, 3
	v_cndmask_b32_e32 v28, v28, v10, vcc
	s_cselect_b64 vcc, -1, 0
	s_cmp_eq_u32 s11, 4
	v_cndmask_b32_e32 v28, v28, v11, vcc
	s_cselect_b64 vcc, -1, 0
	s_cmp_eq_u32 s11, 5
	v_cndmask_b32_e32 v28, v28, v12, vcc
	s_cselect_b64 vcc, -1, 0
	s_add_i32 s11, s2, -3
	s_cmp_eq_u32 s11, 1
	v_cndmask_b32_e32 v28, v28, v13, vcc
	s_cselect_b64 vcc, -1, 0
	s_cmp_eq_u32 s11, 2
	v_fmac_f32_e32 v30, v28, v35
	;; [unrolled: 35-line block ×3, first 2 shown]
	v_cndmask_b32_e32 v28, v8, v9, vcc
	s_cselect_b64 vcc, -1, 0
	s_cmp_eq_u32 s11, 3
	v_cndmask_b32_e32 v28, v28, v10, vcc
	s_cselect_b64 vcc, -1, 0
	s_cmp_eq_u32 s11, 4
	;; [unrolled: 3-line block ×5, first 2 shown]
	s_waitcnt lgkmcnt(0)
	v_fmac_f32_e32 v30, v28, v38
	v_cndmask_b32_e32 v28, v8, v9, vcc
	s_cselect_b64 vcc, -1, 0
	s_cmp_eq_u32 s2, 3
	v_cndmask_b32_e32 v28, v28, v10, vcc
	s_cselect_b64 vcc, -1, 0
	s_cmp_eq_u32 s2, 4
	;; [unrolled: 3-line block ×3, first 2 shown]
	v_cndmask_b32_e32 v28, v28, v12, vcc
	s_cselect_b64 vcc, -1, 0
	v_cndmask_b32_e32 v28, v28, v13, vcc
	s_add_u32 s2, s2, 8
	v_fmac_f32_e32 v30, v28, v39
	v_add_u32_e32 v28, s2, v26
	s_addc_u32 s3, s3, 0
	s_add_i32 s10, s10, 32
	s_add_i32 s11, s2, -7
	v_cmp_eq_u32_e32 vcc, 8, v28
	s_or_b64 s[8:9], vcc, s[8:9]
	v_mov_b32_e32 v28, s11
	s_andn2_b64 exec, exec, s[8:9]
	s_cbranch_execnz .LBB5_57
; %bb.58:
	s_or_b64 exec, exec, s[8:9]
.LBB5_59:
	s_or_b64 exec, exec, s[0:1]
	v_and_b32_e32 v26, 7, v27
	v_cmp_ne_u32_e32 vcc, 0, v26
	s_and_saveexec_b64 s[2:3], vcc
	s_cbranch_execz .LBB5_63
; %bb.60:
	v_lshl_add_u32 v31, v28, 2, 32
	v_mov_b32_e32 v27, 0
	s_mov_b64 s[8:9], 0
.LBB5_61:                               ; =>This Inner Loop Header: Depth=1
	v_cmp_eq_u32_e32 vcc, 1, v28
	v_cndmask_b32_e32 v32, v8, v9, vcc
	ds_read_b32 v33, v31
	v_add_u32_e32 v26, -1, v26
	v_cmp_eq_u32_e32 vcc, 2, v28
	v_cndmask_b32_e32 v32, v32, v10, vcc
	v_cmp_eq_u32_e32 vcc, 0, v26
	v_cmp_eq_u32_e64 s[0:1], 3, v28
	v_cndmask_b32_e64 v32, v32, v11, s[0:1]
	s_or_b64 s[8:9], vcc, s[8:9]
	v_cmp_eq_u32_e32 vcc, 4, v28
	v_cndmask_b32_e32 v32, v32, v12, vcc
	v_cmp_eq_u32_e32 vcc, 5, v28
	v_add_co_u32_e64 v28, s[0:1], 1, v28
	v_cndmask_b32_e32 v32, v32, v13, vcc
	v_add_u32_e32 v31, 4, v31
	v_addc_co_u32_e64 v27, s[0:1], 0, v27, s[0:1]
	s_waitcnt lgkmcnt(0)
	v_fmac_f32_e32 v30, v32, v33
	s_andn2_b64 exec, exec, s[8:9]
	s_cbranch_execnz .LBB5_61
; %bb.62:
	s_or_b64 exec, exec, s[8:9]
.LBB5_63:
	s_or_b64 exec, exec, s[2:3]
.LBB5_64:
	s_or_b64 exec, exec, s[6:7]
	v_mov_b32_e32 v8, 0
	ds_read_b32 v8, v8
	s_waitcnt lgkmcnt(0)
	v_mul_f32_e32 v8, v30, v8
.LBB5_65:
	s_or_b64 exec, exec, s[4:5]
	s_branch .LBB5_109
.LBB5_66:
	v_cmp_eq_u32_e64 s[2:3], 0, v0
	s_waitcnt vmcnt(5)
	ds_write_b32 v29, v3
	s_waitcnt lgkmcnt(0)
	; wave barrier
	s_waitcnt lgkmcnt(0)
	s_and_saveexec_b64 s[0:1], s[2:3]
	s_cbranch_execz .LBB5_72
; %bb.67:
	s_and_b64 vcc, exec, s[14:15]
	s_cbranch_vccz .LBB5_69
; %bb.68:
	v_cmp_eq_u32_e32 vcc, 1, v0
	s_waitcnt vmcnt(1)
	v_cndmask_b32_e32 v3, v2, v3, vcc
	v_cmp_eq_u32_e32 vcc, 2, v0
	ds_read_b32 v8, v29
	v_cndmask_b32_e32 v3, v3, v4, vcc
	v_cmp_eq_u32_e32 vcc, 3, v0
	v_cndmask_b32_e32 v3, v3, v5, vcc
	v_cmp_eq_u32_e32 vcc, 4, v0
	;; [unrolled: 2-line block ×3, first 2 shown]
	s_waitcnt vmcnt(0)
	v_cndmask_b32_e32 v3, v3, v7, vcc
	s_waitcnt lgkmcnt(0)
	v_mul_f32_e32 v3, v3, v8
	s_cbranch_execz .LBB5_70
	s_branch .LBB5_71
.LBB5_69:
                                        ; implicit-def: $vgpr3
.LBB5_70:
	ds_read_b32 v3, v29
.LBB5_71:
	v_mov_b32_e32 v8, 0
	ds_read_b32 v8, v8 offset:4
	s_waitcnt lgkmcnt(0)
	v_mul_f32_e32 v3, v3, v8
.LBB5_72:
	s_or_b64 exec, exec, s[0:1]
	v_cndmask_b32_e64 v9, 0, 1, s[14:15]
	v_add_u32_e32 v8, 1, v0
	v_cmp_gt_u32_e32 vcc, 2, v0
	v_cmp_ne_u32_e64 s[0:1], 1, v9
	s_waitcnt vmcnt(4)
	ds_write_b32 v29, v4
	s_waitcnt lgkmcnt(0)
	; wave barrier
	s_waitcnt lgkmcnt(0)
	s_and_saveexec_b64 s[4:5], vcc
	s_cbranch_execz .LBB5_80
; %bb.73:
	s_and_b64 vcc, exec, s[0:1]
	s_cbranch_vccnz .LBB5_75
; %bb.74:
	v_cmp_eq_u32_e32 vcc, 1, v0
	s_waitcnt vmcnt(1)
	v_cndmask_b32_e32 v9, v2, v3, vcc
	v_cmp_eq_u32_e32 vcc, 2, v0
	ds_read_b32 v10, v29
	v_cndmask_b32_e32 v9, v9, v4, vcc
	v_cmp_eq_u32_e32 vcc, 3, v0
	v_cndmask_b32_e32 v9, v9, v5, vcc
	v_cmp_eq_u32_e32 vcc, 4, v0
	;; [unrolled: 2-line block ×3, first 2 shown]
	s_waitcnt vmcnt(0)
	v_cndmask_b32_e32 v9, v9, v7, vcc
	s_waitcnt lgkmcnt(0)
	v_mul_f32_e32 v9, v9, v10
	s_cbranch_execz .LBB5_76
	s_branch .LBB5_77
.LBB5_75:
                                        ; implicit-def: $vgpr9
.LBB5_76:
	ds_read_b32 v9, v29
.LBB5_77:
	s_and_saveexec_b64 s[6:7], s[2:3]
	s_cbranch_execz .LBB5_79
; %bb.78:
	v_cmp_eq_u32_e32 vcc, 1, v8
	s_waitcnt vmcnt(1)
	v_cndmask_b32_e32 v10, v2, v3, vcc
	v_cmp_eq_u32_e32 vcc, 2, v8
	v_cndmask_b32_e32 v4, v10, v4, vcc
	ds_read_b32 v10, v29 offset:4
	v_cmp_eq_u32_e32 vcc, 3, v8
	v_cndmask_b32_e32 v4, v4, v5, vcc
	v_cmp_eq_u32_e32 vcc, 4, v8
	v_cndmask_b32_e32 v4, v4, v6, vcc
	v_cmp_eq_u32_e32 vcc, 5, v8
	s_waitcnt vmcnt(0)
	v_cndmask_b32_e32 v4, v4, v7, vcc
	s_waitcnt lgkmcnt(0)
	v_fmac_f32_e32 v9, v4, v10
.LBB5_79:
	s_or_b64 exec, exec, s[6:7]
	v_mov_b32_e32 v4, 0
	ds_read_b32 v4, v4 offset:8
	s_waitcnt lgkmcnt(0)
	v_mul_f32_e32 v4, v9, v4
.LBB5_80:
	s_or_b64 exec, exec, s[4:5]
	v_cmp_gt_u32_e32 vcc, 3, v0
	s_waitcnt vmcnt(3)
	ds_write_b32 v29, v5
	s_waitcnt lgkmcnt(0)
	; wave barrier
	s_waitcnt lgkmcnt(0)
	s_and_saveexec_b64 s[4:5], vcc
	s_cbranch_execz .LBB5_88
; %bb.81:
	s_and_b64 vcc, exec, s[0:1]
	s_cbranch_vccnz .LBB5_83
; %bb.82:
	v_cmp_eq_u32_e32 vcc, 1, v0
	s_waitcnt vmcnt(1)
	v_cndmask_b32_e32 v9, v2, v3, vcc
	v_cmp_eq_u32_e32 vcc, 2, v0
	ds_read_b32 v10, v29
	v_cndmask_b32_e32 v9, v9, v4, vcc
	v_cmp_eq_u32_e32 vcc, 3, v0
	v_cndmask_b32_e32 v9, v9, v5, vcc
	v_cmp_eq_u32_e32 vcc, 4, v0
	;; [unrolled: 2-line block ×3, first 2 shown]
	s_waitcnt vmcnt(0)
	v_cndmask_b32_e32 v9, v9, v7, vcc
	s_waitcnt lgkmcnt(0)
	v_mul_f32_e32 v9, v9, v10
	s_cbranch_execz .LBB5_84
	s_branch .LBB5_85
.LBB5_83:
                                        ; implicit-def: $vgpr9
.LBB5_84:
	ds_read_b32 v9, v29
.LBB5_85:
	v_cmp_ne_u32_e32 vcc, 2, v0
	s_and_saveexec_b64 s[6:7], vcc
	s_cbranch_execz .LBB5_87
; %bb.86:
	v_cmp_eq_u32_e32 vcc, 1, v8
	s_waitcnt vmcnt(1)
	v_cndmask_b32_e32 v10, v2, v3, vcc
	v_cmp_eq_u32_e32 vcc, 2, v8
	v_cndmask_b32_e32 v10, v10, v4, vcc
	v_cmp_eq_u32_e32 vcc, 3, v8
	v_cndmask_b32_e32 v5, v10, v5, vcc
	v_mov_b32_e32 v10, 0
	ds_read_b32 v11, v29 offset:4
	ds_read_b32 v10, v10 offset:40
	v_cmp_eq_u32_e32 vcc, 4, v8
	v_cndmask_b32_e32 v5, v5, v6, vcc
	v_cmp_eq_u32_e32 vcc, 5, v8
	s_waitcnt vmcnt(0)
	v_cndmask_b32_e32 v5, v5, v7, vcc
	s_waitcnt lgkmcnt(1)
	v_fmac_f32_e32 v9, v5, v11
	s_waitcnt lgkmcnt(0)
	v_fma_f32 v5, v4, v10, v9
	v_cndmask_b32_e64 v9, v9, v5, s[2:3]
.LBB5_87:
	s_or_b64 exec, exec, s[6:7]
	v_mov_b32_e32 v5, 0
	ds_read_b32 v5, v5 offset:12
	s_waitcnt lgkmcnt(0)
	v_mul_f32_e32 v5, v9, v5
.LBB5_88:
	s_or_b64 exec, exec, s[4:5]
	v_cmp_gt_u32_e64 s[2:3], 4, v0
	s_waitcnt vmcnt(2)
	ds_write_b32 v29, v6
	s_waitcnt lgkmcnt(0)
	; wave barrier
	s_waitcnt lgkmcnt(0)
	s_and_saveexec_b64 s[6:7], s[2:3]
	s_cbranch_execz .LBB5_98
; %bb.89:
	s_and_b64 vcc, exec, s[0:1]
	s_cbranch_vccnz .LBB5_91
; %bb.90:
	v_cmp_eq_u32_e32 vcc, 1, v0
	s_waitcnt vmcnt(1)
	v_cndmask_b32_e32 v8, v2, v3, vcc
	v_cmp_eq_u32_e32 vcc, 2, v0
	ds_read_b32 v9, v29
	v_cndmask_b32_e32 v8, v8, v4, vcc
	v_cmp_eq_u32_e32 vcc, 3, v0
	v_cndmask_b32_e32 v8, v8, v5, vcc
	v_cmp_eq_u32_e32 vcc, 4, v0
	;; [unrolled: 2-line block ×3, first 2 shown]
	s_waitcnt vmcnt(0)
	v_cndmask_b32_e32 v8, v8, v7, vcc
	s_waitcnt lgkmcnt(0)
	v_mul_f32_e32 v10, v8, v9
	s_cbranch_execz .LBB5_92
	s_branch .LBB5_93
.LBB5_91:
                                        ; implicit-def: $vgpr10
.LBB5_92:
	ds_read_b32 v10, v29
.LBB5_93:
	v_cmp_ne_u32_e32 vcc, 3, v0
	s_and_saveexec_b64 s[8:9], vcc
	s_cbranch_execz .LBB5_97
; %bb.94:
	v_lshl_add_u32 v11, v0, 2, 36
	s_mov_b64 s[10:11], 0
	v_pk_mov_b32 v[8:9], v[0:1], v[0:1] op_sel:[0,1]
.LBB5_95:                               ; =>This Inner Loop Header: Depth=1
	v_add_co_u32_e32 v8, vcc, 1, v8
	v_addc_co_u32_e32 v9, vcc, 0, v9, vcc
	v_cmp_eq_u32_e32 vcc, 1, v8
	ds_read_b32 v12, v11
	s_waitcnt vmcnt(1)
	v_cndmask_b32_e32 v13, v2, v3, vcc
	v_cmp_lt_u32_e32 vcc, 2, v8
	v_cmp_eq_u32_e64 s[4:5], 2, v8
	v_cndmask_b32_e64 v13, v13, v4, s[4:5]
	s_or_b64 s[10:11], vcc, s[10:11]
	v_cmp_eq_u32_e32 vcc, 3, v8
	v_cndmask_b32_e32 v13, v13, v5, vcc
	v_cmp_eq_u32_e32 vcc, 4, v8
	v_cndmask_b32_e32 v13, v13, v6, vcc
	v_cmp_eq_u32_e32 vcc, 5, v8
	s_waitcnt vmcnt(0)
	v_cndmask_b32_e32 v13, v13, v7, vcc
	v_add_u32_e32 v11, 4, v11
	s_waitcnt lgkmcnt(0)
	v_fmac_f32_e32 v10, v13, v12
	s_andn2_b64 exec, exec, s[10:11]
	s_cbranch_execnz .LBB5_95
; %bb.96:
	s_or_b64 exec, exec, s[10:11]
.LBB5_97:
	s_or_b64 exec, exec, s[8:9]
	v_mov_b32_e32 v6, 0
	ds_read_b32 v6, v6 offset:16
	s_waitcnt lgkmcnt(0)
	v_mul_f32_e32 v6, v10, v6
.LBB5_98:
	s_or_b64 exec, exec, s[6:7]
	v_cmp_ne_u32_e32 vcc, 5, v0
	s_waitcnt vmcnt(0)
	ds_write_b32 v29, v7
	s_waitcnt lgkmcnt(0)
	; wave barrier
	s_waitcnt lgkmcnt(0)
	s_and_saveexec_b64 s[4:5], vcc
	s_cbranch_execz .LBB5_108
; %bb.99:
	s_and_b64 vcc, exec, s[0:1]
	s_cbranch_vccnz .LBB5_101
; %bb.100:
	v_cmp_eq_u32_e32 vcc, 1, v0
	v_cndmask_b32_e32 v8, v2, v3, vcc
	v_cmp_eq_u32_e32 vcc, 2, v0
	ds_read_b32 v9, v29
	v_cndmask_b32_e32 v8, v8, v4, vcc
	v_cmp_eq_u32_e32 vcc, 3, v0
	v_cndmask_b32_e32 v8, v8, v5, vcc
	v_cmp_eq_u32_e32 vcc, 4, v0
	;; [unrolled: 2-line block ×3, first 2 shown]
	v_cndmask_b32_e32 v8, v8, v7, vcc
	s_waitcnt lgkmcnt(0)
	v_mul_f32_e32 v8, v8, v9
	s_cbranch_execz .LBB5_102
	s_branch .LBB5_103
.LBB5_101:
                                        ; implicit-def: $vgpr8
.LBB5_102:
	ds_read_b32 v8, v29
.LBB5_103:
	s_and_saveexec_b64 s[6:7], s[2:3]
	s_cbranch_execz .LBB5_107
; %bb.104:
	v_lshl_add_u32 v9, v0, 2, 36
	s_mov_b64 s[2:3], 0
.LBB5_105:                              ; =>This Inner Loop Header: Depth=1
	v_add_co_u32_e32 v0, vcc, 1, v0
	v_addc_co_u32_e32 v1, vcc, 0, v1, vcc
	v_cmp_eq_u32_e32 vcc, 1, v0
	ds_read_b32 v10, v9
	v_cndmask_b32_e32 v11, v2, v3, vcc
	v_cmp_lt_u32_e32 vcc, 3, v0
	v_cmp_eq_u32_e64 s[0:1], 2, v0
	v_cndmask_b32_e64 v11, v11, v4, s[0:1]
	s_or_b64 s[2:3], vcc, s[2:3]
	v_cmp_eq_u32_e32 vcc, 3, v0
	v_cndmask_b32_e32 v11, v11, v5, vcc
	v_cmp_eq_u32_e32 vcc, 4, v0
	v_cndmask_b32_e32 v11, v11, v6, vcc
	;; [unrolled: 2-line block ×3, first 2 shown]
	v_add_u32_e32 v9, 4, v9
	s_waitcnt lgkmcnt(0)
	v_fmac_f32_e32 v8, v11, v10
	s_andn2_b64 exec, exec, s[2:3]
	s_cbranch_execnz .LBB5_105
; %bb.106:
	s_or_b64 exec, exec, s[2:3]
.LBB5_107:
	s_or_b64 exec, exec, s[6:7]
	v_mov_b32_e32 v0, 0
	ds_read_b32 v0, v0 offset:20
	s_waitcnt lgkmcnt(0)
	v_mul_f32_e32 v7, v8, v0
.LBB5_108:
	s_or_b64 exec, exec, s[4:5]
	v_pk_mov_b32 v[12:13], v[6:7], v[6:7] op_sel:[0,1]
	v_pk_mov_b32 v[10:11], v[4:5], v[4:5] op_sel:[0,1]
	;; [unrolled: 1-line block ×3, first 2 shown]
.LBB5_109:
	global_store_dword v[14:15], v8, off
	global_store_dword v[16:17], v9, off
	global_store_dword v[18:19], v10, off
	global_store_dword v[20:21], v11, off
	global_store_dword v[22:23], v12, off
	global_store_dword v[24:25], v13, off
.LBB5_110:
	s_endpgm
	.section	.rodata,"a",@progbits
	.p2align	6, 0x0
	.amdhsa_kernel _ZN9rocsolver6v33100L18trti2_kernel_smallILi6EfPfEEv13rocblas_fill_17rocblas_diagonal_T1_iil
		.amdhsa_group_segment_fixed_size 56
		.amdhsa_private_segment_fixed_size 0
		.amdhsa_kernarg_size 32
		.amdhsa_user_sgpr_count 6
		.amdhsa_user_sgpr_private_segment_buffer 1
		.amdhsa_user_sgpr_dispatch_ptr 0
		.amdhsa_user_sgpr_queue_ptr 0
		.amdhsa_user_sgpr_kernarg_segment_ptr 1
		.amdhsa_user_sgpr_dispatch_id 0
		.amdhsa_user_sgpr_flat_scratch_init 0
		.amdhsa_user_sgpr_kernarg_preload_length 0
		.amdhsa_user_sgpr_kernarg_preload_offset 0
		.amdhsa_user_sgpr_private_segment_size 0
		.amdhsa_uses_dynamic_stack 0
		.amdhsa_system_sgpr_private_segment_wavefront_offset 0
		.amdhsa_system_sgpr_workgroup_id_x 1
		.amdhsa_system_sgpr_workgroup_id_y 0
		.amdhsa_system_sgpr_workgroup_id_z 0
		.amdhsa_system_sgpr_workgroup_info 0
		.amdhsa_system_vgpr_workitem_id 0
		.amdhsa_next_free_vgpr 40
		.amdhsa_next_free_sgpr 20
		.amdhsa_accum_offset 40
		.amdhsa_reserve_vcc 1
		.amdhsa_reserve_flat_scratch 0
		.amdhsa_float_round_mode_32 0
		.amdhsa_float_round_mode_16_64 0
		.amdhsa_float_denorm_mode_32 3
		.amdhsa_float_denorm_mode_16_64 3
		.amdhsa_dx10_clamp 1
		.amdhsa_ieee_mode 1
		.amdhsa_fp16_overflow 0
		.amdhsa_tg_split 0
		.amdhsa_exception_fp_ieee_invalid_op 0
		.amdhsa_exception_fp_denorm_src 0
		.amdhsa_exception_fp_ieee_div_zero 0
		.amdhsa_exception_fp_ieee_overflow 0
		.amdhsa_exception_fp_ieee_underflow 0
		.amdhsa_exception_fp_ieee_inexact 0
		.amdhsa_exception_int_div_zero 0
	.end_amdhsa_kernel
	.section	.text._ZN9rocsolver6v33100L18trti2_kernel_smallILi6EfPfEEv13rocblas_fill_17rocblas_diagonal_T1_iil,"axG",@progbits,_ZN9rocsolver6v33100L18trti2_kernel_smallILi6EfPfEEv13rocblas_fill_17rocblas_diagonal_T1_iil,comdat
.Lfunc_end5:
	.size	_ZN9rocsolver6v33100L18trti2_kernel_smallILi6EfPfEEv13rocblas_fill_17rocblas_diagonal_T1_iil, .Lfunc_end5-_ZN9rocsolver6v33100L18trti2_kernel_smallILi6EfPfEEv13rocblas_fill_17rocblas_diagonal_T1_iil
                                        ; -- End function
	.section	.AMDGPU.csdata,"",@progbits
; Kernel info:
; codeLenInByte = 5064
; NumSgprs: 24
; NumVgprs: 40
; NumAgprs: 0
; TotalNumVgprs: 40
; ScratchSize: 0
; MemoryBound: 0
; FloatMode: 240
; IeeeMode: 1
; LDSByteSize: 56 bytes/workgroup (compile time only)
; SGPRBlocks: 2
; VGPRBlocks: 4
; NumSGPRsForWavesPerEU: 24
; NumVGPRsForWavesPerEU: 40
; AccumOffset: 40
; Occupancy: 8
; WaveLimiterHint : 0
; COMPUTE_PGM_RSRC2:SCRATCH_EN: 0
; COMPUTE_PGM_RSRC2:USER_SGPR: 6
; COMPUTE_PGM_RSRC2:TRAP_HANDLER: 0
; COMPUTE_PGM_RSRC2:TGID_X_EN: 1
; COMPUTE_PGM_RSRC2:TGID_Y_EN: 0
; COMPUTE_PGM_RSRC2:TGID_Z_EN: 0
; COMPUTE_PGM_RSRC2:TIDIG_COMP_CNT: 0
; COMPUTE_PGM_RSRC3_GFX90A:ACCUM_OFFSET: 9
; COMPUTE_PGM_RSRC3_GFX90A:TG_SPLIT: 0
	.section	.text._ZN9rocsolver6v33100L18trti2_kernel_smallILi7EfPfEEv13rocblas_fill_17rocblas_diagonal_T1_iil,"axG",@progbits,_ZN9rocsolver6v33100L18trti2_kernel_smallILi7EfPfEEv13rocblas_fill_17rocblas_diagonal_T1_iil,comdat
	.globl	_ZN9rocsolver6v33100L18trti2_kernel_smallILi7EfPfEEv13rocblas_fill_17rocblas_diagonal_T1_iil ; -- Begin function _ZN9rocsolver6v33100L18trti2_kernel_smallILi7EfPfEEv13rocblas_fill_17rocblas_diagonal_T1_iil
	.p2align	8
	.type	_ZN9rocsolver6v33100L18trti2_kernel_smallILi7EfPfEEv13rocblas_fill_17rocblas_diagonal_T1_iil,@function
_ZN9rocsolver6v33100L18trti2_kernel_smallILi7EfPfEEv13rocblas_fill_17rocblas_diagonal_T1_iil: ; @_ZN9rocsolver6v33100L18trti2_kernel_smallILi7EfPfEEv13rocblas_fill_17rocblas_diagonal_T1_iil
; %bb.0:
	v_cmp_gt_u32_e32 vcc, 7, v0
	s_and_saveexec_b64 s[0:1], vcc
	s_cbranch_execz .LBB6_136
; %bb.1:
	s_load_dwordx8 s[16:23], s[4:5], 0x0
	s_ashr_i32 s2, s6, 31
	v_lshlrev_b32_e32 v9, 2, v0
	s_waitcnt lgkmcnt(0)
	s_mul_i32 s3, s6, s23
	s_mul_hi_u32 s4, s6, s22
	s_add_i32 s3, s4, s3
	s_mul_i32 s2, s2, s22
	s_add_i32 s3, s3, s2
	s_mul_i32 s2, s6, s22
	s_ashr_i32 s1, s20, 31
	s_lshl_b64 s[2:3], s[2:3], 2
	s_mov_b32 s0, s20
	s_add_u32 s2, s18, s2
	s_addc_u32 s3, s19, s3
	s_lshl_b64 s[0:1], s[0:1], 2
	s_add_u32 s0, s2, s0
	s_addc_u32 s1, s3, s1
	v_mov_b32_e32 v1, s1
	v_add_co_u32_e32 v18, vcc, s0, v9
	s_ashr_i32 s3, s21, 31
	s_mov_b32 s2, s21
	v_addc_co_u32_e32 v19, vcc, 0, v1, vcc
	s_lshl_b64 s[2:3], s[2:3], 2
	v_add_co_u32_e32 v20, vcc, s2, v18
	s_add_i32 s2, s21, s21
	v_add_u32_e32 v2, s2, v0
	v_mov_b32_e32 v1, s3
	v_ashrrev_i32_e32 v3, 31, v2
	v_addc_co_u32_e32 v21, vcc, v19, v1, vcc
	v_lshlrev_b64 v[4:5], 2, v[2:3]
	v_add_u32_e32 v2, s21, v2
	v_mov_b32_e32 v1, s1
	v_add_co_u32_e32 v22, vcc, s0, v4
	v_ashrrev_i32_e32 v3, 31, v2
	v_addc_co_u32_e32 v23, vcc, v1, v5, vcc
	v_lshlrev_b64 v[4:5], 2, v[2:3]
	v_add_u32_e32 v2, s21, v2
	v_add_co_u32_e32 v24, vcc, s0, v4
	v_ashrrev_i32_e32 v3, 31, v2
	v_addc_co_u32_e32 v25, vcc, v1, v5, vcc
	v_lshlrev_b64 v[4:5], 2, v[2:3]
	v_add_u32_e32 v2, s21, v2
	v_add_co_u32_e32 v26, vcc, s0, v4
	v_ashrrev_i32_e32 v3, 31, v2
	v_addc_co_u32_e32 v27, vcc, v1, v5, vcc
	v_lshlrev_b64 v[4:5], 2, v[2:3]
	v_add_co_u32_e32 v28, vcc, s0, v4
	v_add_u32_e32 v10, s21, v2
	v_addc_co_u32_e32 v29, vcc, v1, v5, vcc
	global_load_dword v3, v[20:21], off
	global_load_dword v4, v[22:23], off
	;; [unrolled: 1-line block ×5, first 2 shown]
	v_ashrrev_i32_e32 v11, 31, v10
	v_lshlrev_b64 v[10:11], 2, v[10:11]
	v_add_co_u32_e32 v30, vcc, s0, v10
	v_addc_co_u32_e32 v31, vcc, v1, v11, vcc
	global_load_dword v2, v9, s[0:1]
	global_load_dword v8, v[30:31], off
	s_cmpk_lg_i32 s17, 0x84
	v_mov_b32_e32 v1, 0
	s_cselect_b64 s[14:15], -1, 0
	s_cmpk_eq_i32 s17, 0x84
	v_mov_b32_e32 v10, -1.0
	v_cmp_eq_u32_e64 s[0:1], 0, v0
	s_cbranch_scc1 .LBB6_3
; %bb.2:
	v_cmp_eq_u32_e64 s[2:3], 1, v0
	s_waitcnt vmcnt(1)
	v_cndmask_b32_e64 v10, v2, v3, s[2:3]
	v_cmp_eq_u32_e64 s[4:5], 2, v0
	v_cndmask_b32_e64 v10, v10, v4, s[4:5]
	v_cmp_eq_u32_e64 s[6:7], 3, v0
	;; [unrolled: 2-line block ×5, first 2 shown]
	s_waitcnt vmcnt(0)
	v_cndmask_b32_e64 v10, v10, v8, s[12:13]
	v_div_scale_f32 v11, s[18:19], v10, v10, 1.0
	v_rcp_f32_e32 v12, v11
	v_fma_f32 v13, -v11, v12, 1.0
	v_fmac_f32_e32 v12, v13, v12
	v_div_scale_f32 v13, vcc, 1.0, v10, 1.0
	v_mul_f32_e32 v14, v13, v12
	v_fma_f32 v15, -v11, v14, v13
	v_fmac_f32_e32 v14, v15, v12
	v_fma_f32 v11, -v11, v14, v13
	v_div_fmas_f32 v11, v11, v12, v14
	v_div_fixup_f32 v10, v11, v10, 1.0
	v_cndmask_b32_e64 v8, v8, v10, s[12:13]
	v_cndmask_b32_e64 v7, v7, v10, s[10:11]
	;; [unrolled: 1-line block ×7, first 2 shown]
	v_xor_b32_e32 v10, 0x80000000, v10
.LBB6_3:
	s_cmpk_eq_i32 s16, 0x79
	v_add_u32_e32 v17, 32, v9
	ds_write_b32 v9, v10
	s_cbranch_scc1 .LBB6_7
; %bb.4:
	s_waitcnt vmcnt(0)
	v_mov_b32_e32 v16, v8
	v_cmp_eq_u32_e64 s[2:3], 6, v0
	v_mov_b32_e32 v15, v7
	v_mov_b32_e32 v14, v6
	v_mov_b32_e32 v13, v5
	v_mov_b32_e32 v12, v4
	v_mov_b32_e32 v11, v3
	v_mov_b32_e32 v10, v2
	ds_write_b32 v17, v7
	s_waitcnt lgkmcnt(0)
	; wave barrier
	s_waitcnt lgkmcnt(0)
	s_and_saveexec_b64 s[0:1], s[2:3]
	s_cbranch_execz .LBB6_11
; %bb.5:
	s_and_b64 vcc, exec, s[14:15]
	s_cbranch_vccz .LBB6_8
; %bb.6:
	v_cmp_eq_u32_e32 vcc, 1, v0
	v_cndmask_b32_e32 v9, v2, v3, vcc
	v_cmp_eq_u32_e32 vcc, 2, v0
	v_cndmask_b32_e32 v9, v9, v4, vcc
	v_cmp_eq_u32_e32 vcc, 3, v0
	ds_read_b32 v10, v17
	v_cndmask_b32_e32 v9, v9, v5, vcc
	v_cmp_eq_u32_e32 vcc, 4, v0
	v_cndmask_b32_e32 v9, v9, v6, vcc
	v_cmp_eq_u32_e32 vcc, 5, v0
	;; [unrolled: 2-line block ×3, first 2 shown]
	v_cndmask_b32_e32 v9, v9, v8, vcc
	s_waitcnt lgkmcnt(0)
	v_mul_f32_e32 v9, v9, v10
	s_cbranch_execz .LBB6_9
	s_branch .LBB6_10
.LBB6_7:
                                        ; implicit-def: $vgpr10_vgpr11_vgpr12_vgpr13_vgpr14_vgpr15_vgpr16
	s_cbranch_execnz .LBB6_82
	s_branch .LBB6_135
.LBB6_8:
                                        ; implicit-def: $vgpr9
.LBB6_9:
	ds_read_b32 v9, v17
.LBB6_10:
	v_mov_b32_e32 v10, 0
	ds_read_b32 v10, v10 offset:20
	s_waitcnt lgkmcnt(0)
	v_mul_f32_e32 v9, v9, v10
	v_mov_b32_e32 v16, v8
	v_mov_b32_e32 v15, v7
	;; [unrolled: 1-line block ×8, first 2 shown]
.LBB6_11:
	s_or_b64 exec, exec, s[0:1]
	v_cmp_lt_u32_e64 s[0:1], 4, v0
	ds_write_b32 v17, v14
	s_waitcnt lgkmcnt(0)
	; wave barrier
	s_waitcnt lgkmcnt(0)
	s_and_saveexec_b64 s[4:5], s[0:1]
	s_cbranch_execz .LBB6_17
; %bb.12:
	s_andn2_b64 vcc, exec, s[14:15]
	s_cbranch_vccnz .LBB6_14
; %bb.13:
	v_cmp_eq_u32_e32 vcc, 1, v0
	v_cndmask_b32_e32 v9, v10, v11, vcc
	v_cmp_eq_u32_e32 vcc, 2, v0
	v_cndmask_b32_e32 v9, v9, v12, vcc
	;; [unrolled: 2-line block ×4, first 2 shown]
	ds_read_b32 v14, v17
	v_cmp_eq_u32_e32 vcc, 5, v0
	v_cndmask_b32_e32 v9, v9, v15, vcc
	v_cmp_eq_u32_e32 vcc, 6, v0
	v_cndmask_b32_e32 v9, v9, v16, vcc
	s_waitcnt lgkmcnt(0)
	v_mul_f32_e32 v9, v9, v14
	s_cbranch_execz .LBB6_15
	s_branch .LBB6_16
.LBB6_14:
                                        ; implicit-def: $vgpr9
.LBB6_15:
	ds_read_b32 v9, v17
.LBB6_16:
	v_mov_b32_e32 v14, 0
	ds_read2_b32 v[32:33], v14 offset0:4 offset1:13
	s_waitcnt lgkmcnt(0)
	v_fma_f32 v14, v15, v33, v9
	v_cndmask_b32_e64 v9, v9, v14, s[2:3]
	v_mul_f32_e32 v14, v9, v32
.LBB6_17:
	s_or_b64 exec, exec, s[4:5]
	v_cmp_lt_u32_e64 s[2:3], 3, v0
	ds_write_b32 v17, v13
	s_waitcnt lgkmcnt(0)
	; wave barrier
	s_waitcnt lgkmcnt(0)
	s_and_saveexec_b64 s[4:5], s[2:3]
	s_cbranch_execz .LBB6_33
; %bb.18:
	s_andn2_b64 vcc, exec, s[14:15]
	s_cbranch_vccnz .LBB6_20
; %bb.19:
	v_cmp_eq_u32_e32 vcc, 1, v0
	v_cndmask_b32_e32 v9, v10, v11, vcc
	v_cmp_eq_u32_e32 vcc, 2, v0
	v_cndmask_b32_e32 v9, v9, v12, vcc
	v_cmp_eq_u32_e32 vcc, 3, v0
	ds_read_b32 v32, v17
	v_cndmask_b32_e32 v9, v9, v13, vcc
	v_cmp_eq_u32_e32 vcc, 4, v0
	v_cndmask_b32_e32 v9, v9, v14, vcc
	v_cmp_eq_u32_e32 vcc, 5, v0
	;; [unrolled: 2-line block ×3, first 2 shown]
	v_cndmask_b32_e32 v9, v9, v16, vcc
	s_waitcnt lgkmcnt(0)
	v_mul_f32_e32 v33, v9, v32
	s_cbranch_execz .LBB6_21
	s_branch .LBB6_22
.LBB6_20:
                                        ; implicit-def: $vgpr33
.LBB6_21:
	ds_read_b32 v33, v17
.LBB6_22:
	s_and_saveexec_b64 s[6:7], s[0:1]
	s_cbranch_execz .LBB6_32
; %bb.23:
	v_add_u32_e32 v32, -5, v0
	v_add_u32_e32 v9, -4, v0
	v_cmp_lt_u32_e32 vcc, 6, v32
	v_mov_b32_e32 v34, 4
	s_and_saveexec_b64 s[0:1], vcc
	s_cbranch_execz .LBB6_27
; %bb.24:
	v_and_b32_e32 v32, -8, v9
	v_sub_u32_e32 v32, 0, v32
	s_mov_b64 s[8:9], 5
	s_mov_b32 s12, 48
	s_mov_b64 s[10:11], 0
.LBB6_25:                               ; =>This Inner Loop Header: Depth=1
	s_add_i32 s13, s8, -1
	s_cmp_eq_u32 s13, 1
	s_cselect_b64 vcc, -1, 0
	s_cmp_eq_u32 s13, 2
	v_cndmask_b32_e32 v42, v10, v11, vcc
	s_cselect_b64 vcc, -1, 0
	s_cmp_eq_u32 s13, 3
	v_mov_b32_e32 v38, s12
	v_cndmask_b32_e32 v42, v42, v12, vcc
	s_cselect_b64 vcc, -1, 0
	s_cmp_eq_u32 s13, 4
	ds_read_b128 v[34:37], v38
	ds_read_b128 v[38:41], v38 offset:16
	v_cndmask_b32_e32 v42, v42, v13, vcc
	s_cselect_b64 vcc, -1, 0
	s_cmp_eq_u32 s13, 5
	v_cndmask_b32_e32 v42, v42, v14, vcc
	s_cselect_b64 vcc, -1, 0
	s_cmp_eq_u32 s13, 6
	;; [unrolled: 3-line block ×4, first 2 shown]
	s_waitcnt lgkmcnt(1)
	v_fmac_f32_e32 v33, v42, v34
	v_cndmask_b32_e32 v34, v10, v11, vcc
	s_cselect_b64 vcc, -1, 0
	s_cmp_eq_u32 s8, 3
	v_cndmask_b32_e32 v34, v34, v12, vcc
	s_cselect_b64 vcc, -1, 0
	s_cmp_eq_u32 s8, 4
	v_cndmask_b32_e32 v34, v34, v13, vcc
	s_cselect_b64 vcc, -1, 0
	s_cmp_eq_u32 s8, 5
	v_cndmask_b32_e32 v34, v34, v14, vcc
	s_cselect_b64 vcc, -1, 0
	s_cmp_eq_u32 s8, 6
	v_cndmask_b32_e32 v34, v34, v15, vcc
	s_cselect_b64 vcc, -1, 0
	s_add_i32 s13, s8, 1
	s_cmp_eq_u32 s13, 1
	v_cndmask_b32_e32 v34, v34, v16, vcc
	s_cselect_b64 vcc, -1, 0
	s_cmp_eq_u32 s13, 2
	v_fmac_f32_e32 v33, v34, v35
	v_cndmask_b32_e32 v34, v10, v11, vcc
	s_cselect_b64 vcc, -1, 0
	s_cmp_eq_u32 s13, 3
	v_cndmask_b32_e32 v34, v34, v12, vcc
	s_cselect_b64 vcc, -1, 0
	s_cmp_eq_u32 s13, 4
	v_cndmask_b32_e32 v34, v34, v13, vcc
	s_cselect_b64 vcc, -1, 0
	s_cmp_eq_u32 s13, 5
	v_cndmask_b32_e32 v34, v34, v14, vcc
	s_cselect_b64 vcc, -1, 0
	s_cmp_eq_u32 s13, 6
	v_cndmask_b32_e32 v34, v34, v15, vcc
	s_cselect_b64 vcc, -1, 0
	s_add_i32 s13, s8, 2
	s_cmp_eq_u32 s13, 1
	v_cndmask_b32_e32 v34, v34, v16, vcc
	s_cselect_b64 vcc, -1, 0
	s_cmp_eq_u32 s13, 2
	;; [unrolled: 20-line block ×4, first 2 shown]
	s_waitcnt lgkmcnt(0)
	v_fmac_f32_e32 v33, v34, v38
	v_cndmask_b32_e32 v34, v10, v11, vcc
	s_cselect_b64 vcc, -1, 0
	s_cmp_eq_u32 s13, 3
	v_cndmask_b32_e32 v34, v34, v12, vcc
	s_cselect_b64 vcc, -1, 0
	s_cmp_eq_u32 s13, 4
	;; [unrolled: 3-line block ×4, first 2 shown]
	v_cndmask_b32_e32 v34, v34, v15, vcc
	s_cselect_b64 vcc, -1, 0
	s_add_i32 s13, s8, 5
	s_cmp_eq_u32 s13, 1
	v_cndmask_b32_e32 v34, v34, v16, vcc
	s_cselect_b64 vcc, -1, 0
	s_cmp_eq_u32 s13, 2
	v_fmac_f32_e32 v33, v34, v39
	v_cndmask_b32_e32 v34, v10, v11, vcc
	s_cselect_b64 vcc, -1, 0
	s_cmp_eq_u32 s13, 3
	v_cndmask_b32_e32 v34, v34, v12, vcc
	s_cselect_b64 vcc, -1, 0
	s_cmp_eq_u32 s13, 4
	;; [unrolled: 3-line block ×4, first 2 shown]
	v_cndmask_b32_e32 v34, v34, v15, vcc
	s_cselect_b64 vcc, -1, 0
	s_add_i32 s13, s8, 6
	s_cmp_eq_u32 s13, 1
	v_cndmask_b32_e32 v34, v34, v16, vcc
	s_cselect_b64 vcc, -1, 0
	s_cmp_eq_u32 s13, 2
	v_fmac_f32_e32 v33, v34, v40
	v_cndmask_b32_e32 v34, v10, v11, vcc
	s_cselect_b64 vcc, -1, 0
	s_cmp_eq_u32 s13, 3
	v_cndmask_b32_e32 v34, v34, v12, vcc
	s_cselect_b64 vcc, -1, 0
	s_cmp_eq_u32 s13, 4
	;; [unrolled: 3-line block ×4, first 2 shown]
	v_cndmask_b32_e32 v34, v34, v15, vcc
	s_cselect_b64 vcc, -1, 0
	v_cndmask_b32_e32 v34, v34, v16, vcc
	s_add_u32 s8, s8, 8
	v_fmac_f32_e32 v33, v34, v41
	v_add_u32_e32 v34, s8, v32
	s_addc_u32 s9, s9, 0
	s_add_i32 s12, s12, 32
	s_add_i32 s13, s8, -1
	v_cmp_eq_u32_e32 vcc, 5, v34
	s_or_b64 s[10:11], vcc, s[10:11]
	v_mov_b32_e32 v34, s13
	s_andn2_b64 exec, exec, s[10:11]
	s_cbranch_execnz .LBB6_25
; %bb.26:
	s_or_b64 exec, exec, s[10:11]
.LBB6_27:
	s_or_b64 exec, exec, s[0:1]
	v_and_b32_e32 v32, 7, v9
	v_cmp_ne_u32_e32 vcc, 0, v32
	s_and_saveexec_b64 s[8:9], vcc
	s_cbranch_execz .LBB6_31
; %bb.28:
	v_lshl_add_u32 v35, v34, 2, 32
	v_mov_b32_e32 v9, 0
	s_mov_b64 s[10:11], 0
.LBB6_29:                               ; =>This Inner Loop Header: Depth=1
	v_cmp_eq_u32_e32 vcc, 1, v34
	v_cndmask_b32_e32 v36, v10, v11, vcc
	v_add_u32_e32 v32, -1, v32
	v_cmp_eq_u32_e32 vcc, 2, v34
	ds_read_b32 v37, v35
	v_cndmask_b32_e32 v36, v36, v12, vcc
	v_cmp_eq_u32_e32 vcc, 0, v32
	v_cmp_eq_u32_e64 s[0:1], 3, v34
	v_cndmask_b32_e64 v36, v36, v13, s[0:1]
	s_or_b64 s[10:11], vcc, s[10:11]
	v_cmp_eq_u32_e32 vcc, 4, v34
	v_cndmask_b32_e32 v36, v36, v14, vcc
	v_cmp_eq_u32_e32 vcc, 5, v34
	v_cndmask_b32_e32 v36, v36, v15, vcc
	v_cmp_eq_u32_e32 vcc, 6, v34
	v_add_co_u32_e64 v34, s[0:1], 1, v34
	v_cndmask_b32_e32 v36, v36, v16, vcc
	v_add_u32_e32 v35, 4, v35
	v_addc_co_u32_e64 v9, s[0:1], 0, v9, s[0:1]
	s_waitcnt lgkmcnt(0)
	v_fmac_f32_e32 v33, v36, v37
	s_andn2_b64 exec, exec, s[10:11]
	s_cbranch_execnz .LBB6_29
; %bb.30:
	s_or_b64 exec, exec, s[10:11]
.LBB6_31:
	s_or_b64 exec, exec, s[8:9]
.LBB6_32:
	s_or_b64 exec, exec, s[6:7]
	v_mov_b32_e32 v9, 0
	ds_read_b32 v9, v9 offset:12
	s_waitcnt lgkmcnt(0)
	v_mul_f32_e32 v13, v33, v9
.LBB6_33:
	s_or_b64 exec, exec, s[4:5]
	v_cmp_lt_u32_e64 s[0:1], 2, v0
	ds_write_b32 v17, v12
	s_waitcnt lgkmcnt(0)
	; wave barrier
	s_waitcnt lgkmcnt(0)
	s_and_saveexec_b64 s[4:5], s[0:1]
	s_cbranch_execz .LBB6_49
; %bb.34:
	s_andn2_b64 vcc, exec, s[14:15]
	s_cbranch_vccnz .LBB6_36
; %bb.35:
	v_cmp_eq_u32_e32 vcc, 1, v0
	v_cndmask_b32_e32 v9, v10, v11, vcc
	v_cmp_eq_u32_e32 vcc, 2, v0
	v_cndmask_b32_e32 v9, v9, v12, vcc
	v_cmp_eq_u32_e32 vcc, 3, v0
	ds_read_b32 v32, v17
	v_cndmask_b32_e32 v9, v9, v13, vcc
	v_cmp_eq_u32_e32 vcc, 4, v0
	v_cndmask_b32_e32 v9, v9, v14, vcc
	v_cmp_eq_u32_e32 vcc, 5, v0
	;; [unrolled: 2-line block ×3, first 2 shown]
	v_cndmask_b32_e32 v9, v9, v16, vcc
	s_waitcnt lgkmcnt(0)
	v_mul_f32_e32 v33, v9, v32
	s_cbranch_execz .LBB6_37
	s_branch .LBB6_38
.LBB6_36:
                                        ; implicit-def: $vgpr33
.LBB6_37:
	ds_read_b32 v33, v17
.LBB6_38:
	s_and_saveexec_b64 s[6:7], s[2:3]
	s_cbranch_execz .LBB6_48
; %bb.39:
	v_add_u32_e32 v32, -4, v0
	v_add_u32_e32 v9, -3, v0
	v_cmp_lt_u32_e32 vcc, 6, v32
	v_mov_b32_e32 v34, 3
	s_and_saveexec_b64 s[2:3], vcc
	s_cbranch_execz .LBB6_43
; %bb.40:
	v_and_b32_e32 v32, -8, v9
	v_sub_u32_e32 v32, 0, v32
	s_mov_b64 s[8:9], 10
	s_mov_b32 s12, 44
	s_mov_b64 s[10:11], 0
.LBB6_41:                               ; =>This Inner Loop Header: Depth=1
	s_add_i32 s13, s8, -7
	s_cmp_eq_u32 s13, 1
	s_cselect_b64 vcc, -1, 0
	s_cmp_eq_u32 s13, 2
	v_cndmask_b32_e32 v42, v10, v11, vcc
	s_cselect_b64 vcc, -1, 0
	s_cmp_eq_u32 s13, 3
	v_cndmask_b32_e32 v42, v42, v12, vcc
	;; [unrolled: 3-line block ×4, first 2 shown]
	s_cselect_b64 vcc, -1, 0
	s_cmp_eq_u32 s13, 6
	v_mov_b32_e32 v40, s12
	v_cndmask_b32_e32 v42, v42, v15, vcc
	s_cselect_b64 vcc, -1, 0
	s_add_i32 s13, s8, -6
	ds_read2_b32 v[34:35], v40 offset1:1
	ds_read2_b32 v[36:37], v40 offset0:2 offset1:3
	ds_read2_b32 v[38:39], v40 offset0:4 offset1:5
	;; [unrolled: 1-line block ×3, first 2 shown]
	s_cmp_eq_u32 s13, 1
	v_cndmask_b32_e32 v42, v42, v16, vcc
	s_cselect_b64 vcc, -1, 0
	s_cmp_eq_u32 s13, 2
	s_waitcnt lgkmcnt(3)
	v_fmac_f32_e32 v33, v42, v34
	v_cndmask_b32_e32 v34, v10, v11, vcc
	s_cselect_b64 vcc, -1, 0
	s_cmp_eq_u32 s13, 3
	v_cndmask_b32_e32 v34, v34, v12, vcc
	s_cselect_b64 vcc, -1, 0
	s_cmp_eq_u32 s13, 4
	;; [unrolled: 3-line block ×4, first 2 shown]
	v_cndmask_b32_e32 v34, v34, v15, vcc
	s_cselect_b64 vcc, -1, 0
	s_add_i32 s13, s8, -5
	s_cmp_eq_u32 s13, 1
	v_cndmask_b32_e32 v34, v34, v16, vcc
	s_cselect_b64 vcc, -1, 0
	s_cmp_eq_u32 s13, 2
	v_fmac_f32_e32 v33, v34, v35
	v_cndmask_b32_e32 v34, v10, v11, vcc
	s_cselect_b64 vcc, -1, 0
	s_cmp_eq_u32 s13, 3
	v_cndmask_b32_e32 v34, v34, v12, vcc
	s_cselect_b64 vcc, -1, 0
	s_cmp_eq_u32 s13, 4
	;; [unrolled: 3-line block ×4, first 2 shown]
	v_cndmask_b32_e32 v34, v34, v15, vcc
	s_cselect_b64 vcc, -1, 0
	s_add_i32 s13, s8, -4
	s_cmp_eq_u32 s13, 1
	v_cndmask_b32_e32 v34, v34, v16, vcc
	s_cselect_b64 vcc, -1, 0
	s_cmp_eq_u32 s13, 2
	s_waitcnt lgkmcnt(2)
	v_fmac_f32_e32 v33, v34, v36
	v_cndmask_b32_e32 v34, v10, v11, vcc
	s_cselect_b64 vcc, -1, 0
	s_cmp_eq_u32 s13, 3
	v_cndmask_b32_e32 v34, v34, v12, vcc
	s_cselect_b64 vcc, -1, 0
	s_cmp_eq_u32 s13, 4
	v_cndmask_b32_e32 v34, v34, v13, vcc
	s_cselect_b64 vcc, -1, 0
	s_cmp_eq_u32 s13, 5
	v_cndmask_b32_e32 v34, v34, v14, vcc
	s_cselect_b64 vcc, -1, 0
	s_cmp_eq_u32 s13, 6
	v_cndmask_b32_e32 v34, v34, v15, vcc
	s_cselect_b64 vcc, -1, 0
	s_add_i32 s13, s8, -3
	s_cmp_eq_u32 s13, 1
	v_cndmask_b32_e32 v34, v34, v16, vcc
	s_cselect_b64 vcc, -1, 0
	s_cmp_eq_u32 s13, 2
	v_fmac_f32_e32 v33, v34, v37
	v_cndmask_b32_e32 v34, v10, v11, vcc
	s_cselect_b64 vcc, -1, 0
	s_cmp_eq_u32 s13, 3
	v_cndmask_b32_e32 v34, v34, v12, vcc
	s_cselect_b64 vcc, -1, 0
	s_cmp_eq_u32 s13, 4
	;; [unrolled: 3-line block ×4, first 2 shown]
	v_cndmask_b32_e32 v34, v34, v15, vcc
	s_cselect_b64 vcc, -1, 0
	s_add_i32 s13, s8, -2
	s_cmp_eq_u32 s13, 1
	v_cndmask_b32_e32 v34, v34, v16, vcc
	s_cselect_b64 vcc, -1, 0
	s_cmp_eq_u32 s13, 2
	s_waitcnt lgkmcnt(1)
	v_fmac_f32_e32 v33, v34, v38
	v_cndmask_b32_e32 v34, v10, v11, vcc
	s_cselect_b64 vcc, -1, 0
	s_cmp_eq_u32 s13, 3
	v_cndmask_b32_e32 v34, v34, v12, vcc
	s_cselect_b64 vcc, -1, 0
	s_cmp_eq_u32 s13, 4
	v_cndmask_b32_e32 v34, v34, v13, vcc
	s_cselect_b64 vcc, -1, 0
	s_cmp_eq_u32 s13, 5
	v_cndmask_b32_e32 v34, v34, v14, vcc
	s_cselect_b64 vcc, -1, 0
	s_cmp_eq_u32 s13, 6
	v_cndmask_b32_e32 v34, v34, v15, vcc
	s_cselect_b64 vcc, -1, 0
	s_add_i32 s13, s8, -1
	s_cmp_eq_u32 s13, 1
	v_cndmask_b32_e32 v34, v34, v16, vcc
	s_cselect_b64 vcc, -1, 0
	s_cmp_eq_u32 s13, 2
	v_fmac_f32_e32 v33, v34, v39
	v_cndmask_b32_e32 v34, v10, v11, vcc
	s_cselect_b64 vcc, -1, 0
	s_cmp_eq_u32 s13, 3
	v_cndmask_b32_e32 v34, v34, v12, vcc
	s_cselect_b64 vcc, -1, 0
	s_cmp_eq_u32 s13, 4
	;; [unrolled: 3-line block ×6, first 2 shown]
	s_waitcnt lgkmcnt(0)
	v_fmac_f32_e32 v33, v34, v40
	v_cndmask_b32_e32 v34, v10, v11, vcc
	s_cselect_b64 vcc, -1, 0
	s_cmp_eq_u32 s8, 3
	v_cndmask_b32_e32 v34, v34, v12, vcc
	s_cselect_b64 vcc, -1, 0
	s_cmp_eq_u32 s8, 4
	;; [unrolled: 3-line block ×4, first 2 shown]
	v_cndmask_b32_e32 v34, v34, v15, vcc
	s_cselect_b64 vcc, -1, 0
	v_cndmask_b32_e32 v34, v34, v16, vcc
	s_add_u32 s8, s8, 8
	v_fmac_f32_e32 v33, v34, v41
	v_add_u32_e32 v34, s8, v32
	s_addc_u32 s9, s9, 0
	s_add_i32 s12, s12, 32
	s_add_i32 s13, s8, -7
	v_cmp_eq_u32_e32 vcc, 10, v34
	s_or_b64 s[10:11], vcc, s[10:11]
	v_mov_b32_e32 v34, s13
	s_andn2_b64 exec, exec, s[10:11]
	s_cbranch_execnz .LBB6_41
; %bb.42:
	s_or_b64 exec, exec, s[10:11]
.LBB6_43:
	s_or_b64 exec, exec, s[2:3]
	v_and_b32_e32 v32, 7, v9
	v_cmp_ne_u32_e32 vcc, 0, v32
	s_and_saveexec_b64 s[8:9], vcc
	s_cbranch_execz .LBB6_47
; %bb.44:
	v_lshl_add_u32 v35, v34, 2, 32
	v_mov_b32_e32 v9, 0
	s_mov_b64 s[10:11], 0
.LBB6_45:                               ; =>This Inner Loop Header: Depth=1
	v_cmp_eq_u32_e32 vcc, 1, v34
	v_cndmask_b32_e32 v36, v10, v11, vcc
	v_add_u32_e32 v32, -1, v32
	v_cmp_eq_u32_e32 vcc, 2, v34
	ds_read_b32 v37, v35
	v_cndmask_b32_e32 v36, v36, v12, vcc
	v_cmp_eq_u32_e32 vcc, 0, v32
	v_cmp_eq_u32_e64 s[2:3], 3, v34
	v_cndmask_b32_e64 v36, v36, v13, s[2:3]
	s_or_b64 s[10:11], vcc, s[10:11]
	v_cmp_eq_u32_e32 vcc, 4, v34
	v_cndmask_b32_e32 v36, v36, v14, vcc
	v_cmp_eq_u32_e32 vcc, 5, v34
	v_cndmask_b32_e32 v36, v36, v15, vcc
	v_cmp_eq_u32_e32 vcc, 6, v34
	v_add_co_u32_e64 v34, s[2:3], 1, v34
	v_cndmask_b32_e32 v36, v36, v16, vcc
	v_add_u32_e32 v35, 4, v35
	v_addc_co_u32_e64 v9, s[2:3], 0, v9, s[2:3]
	s_waitcnt lgkmcnt(0)
	v_fmac_f32_e32 v33, v36, v37
	s_andn2_b64 exec, exec, s[10:11]
	s_cbranch_execnz .LBB6_45
; %bb.46:
	s_or_b64 exec, exec, s[10:11]
.LBB6_47:
	s_or_b64 exec, exec, s[8:9]
.LBB6_48:
	s_or_b64 exec, exec, s[6:7]
	v_mov_b32_e32 v9, 0
	ds_read_b32 v9, v9 offset:8
	s_waitcnt lgkmcnt(0)
	v_mul_f32_e32 v12, v33, v9
.LBB6_49:
	s_or_b64 exec, exec, s[4:5]
	v_cmp_lt_u32_e64 s[2:3], 1, v0
	ds_write_b32 v17, v11
	s_waitcnt lgkmcnt(0)
	; wave barrier
	s_waitcnt lgkmcnt(0)
	s_and_saveexec_b64 s[4:5], s[2:3]
	s_cbranch_execz .LBB6_65
; %bb.50:
	s_andn2_b64 vcc, exec, s[14:15]
	s_cbranch_vccnz .LBB6_52
; %bb.51:
	v_cmp_eq_u32_e32 vcc, 1, v0
	v_cndmask_b32_e32 v9, v10, v11, vcc
	v_cmp_eq_u32_e32 vcc, 2, v0
	v_cndmask_b32_e32 v9, v9, v12, vcc
	v_cmp_eq_u32_e32 vcc, 3, v0
	ds_read_b32 v32, v17
	v_cndmask_b32_e32 v9, v9, v13, vcc
	v_cmp_eq_u32_e32 vcc, 4, v0
	v_cndmask_b32_e32 v9, v9, v14, vcc
	v_cmp_eq_u32_e32 vcc, 5, v0
	;; [unrolled: 2-line block ×3, first 2 shown]
	v_cndmask_b32_e32 v9, v9, v16, vcc
	s_waitcnt lgkmcnt(0)
	v_mul_f32_e32 v33, v9, v32
	s_cbranch_execz .LBB6_53
	s_branch .LBB6_54
.LBB6_52:
                                        ; implicit-def: $vgpr33
.LBB6_53:
	ds_read_b32 v33, v17
.LBB6_54:
	s_and_saveexec_b64 s[6:7], s[0:1]
	s_cbranch_execz .LBB6_64
; %bb.55:
	v_add_u32_e32 v32, -3, v0
	v_add_u32_e32 v9, -2, v0
	v_cmp_lt_u32_e32 vcc, 6, v32
	v_mov_b32_e32 v34, 2
	s_and_saveexec_b64 s[0:1], vcc
	s_cbranch_execz .LBB6_59
; %bb.56:
	v_and_b32_e32 v32, -8, v9
	v_sub_u32_e32 v32, 0, v32
	s_mov_b64 s[8:9], 9
	s_mov_b32 s12, 40
	s_mov_b64 s[10:11], 0
.LBB6_57:                               ; =>This Inner Loop Header: Depth=1
	s_add_i32 s13, s8, -7
	s_cmp_eq_u32 s13, 1
	s_cselect_b64 vcc, -1, 0
	s_cmp_eq_u32 s13, 2
	v_cndmask_b32_e32 v42, v10, v11, vcc
	s_cselect_b64 vcc, -1, 0
	s_cmp_eq_u32 s13, 3
	v_cndmask_b32_e32 v42, v42, v12, vcc
	s_cselect_b64 vcc, -1, 0
	s_cmp_eq_u32 s13, 4
	v_mov_b32_e32 v38, s12
	v_cndmask_b32_e32 v42, v42, v13, vcc
	s_cselect_b64 vcc, -1, 0
	s_cmp_eq_u32 s13, 5
	ds_read2_b64 v[34:37], v38 offset1:1
	ds_read2_b64 v[38:41], v38 offset0:2 offset1:3
	v_cndmask_b32_e32 v42, v42, v14, vcc
	s_cselect_b64 vcc, -1, 0
	s_cmp_eq_u32 s13, 6
	v_cndmask_b32_e32 v42, v42, v15, vcc
	s_cselect_b64 vcc, -1, 0
	s_add_i32 s13, s8, -6
	s_cmp_eq_u32 s13, 1
	v_cndmask_b32_e32 v42, v42, v16, vcc
	s_cselect_b64 vcc, -1, 0
	s_cmp_eq_u32 s13, 2
	s_waitcnt lgkmcnt(1)
	v_fmac_f32_e32 v33, v42, v34
	v_cndmask_b32_e32 v34, v10, v11, vcc
	s_cselect_b64 vcc, -1, 0
	s_cmp_eq_u32 s13, 3
	v_cndmask_b32_e32 v34, v34, v12, vcc
	s_cselect_b64 vcc, -1, 0
	s_cmp_eq_u32 s13, 4
	v_cndmask_b32_e32 v34, v34, v13, vcc
	s_cselect_b64 vcc, -1, 0
	s_cmp_eq_u32 s13, 5
	v_cndmask_b32_e32 v34, v34, v14, vcc
	s_cselect_b64 vcc, -1, 0
	s_cmp_eq_u32 s13, 6
	v_cndmask_b32_e32 v34, v34, v15, vcc
	s_cselect_b64 vcc, -1, 0
	s_add_i32 s13, s8, -5
	s_cmp_eq_u32 s13, 1
	v_cndmask_b32_e32 v34, v34, v16, vcc
	s_cselect_b64 vcc, -1, 0
	s_cmp_eq_u32 s13, 2
	v_fmac_f32_e32 v33, v34, v35
	v_cndmask_b32_e32 v34, v10, v11, vcc
	s_cselect_b64 vcc, -1, 0
	s_cmp_eq_u32 s13, 3
	v_cndmask_b32_e32 v34, v34, v12, vcc
	s_cselect_b64 vcc, -1, 0
	s_cmp_eq_u32 s13, 4
	v_cndmask_b32_e32 v34, v34, v13, vcc
	s_cselect_b64 vcc, -1, 0
	s_cmp_eq_u32 s13, 5
	v_cndmask_b32_e32 v34, v34, v14, vcc
	s_cselect_b64 vcc, -1, 0
	s_cmp_eq_u32 s13, 6
	v_cndmask_b32_e32 v34, v34, v15, vcc
	s_cselect_b64 vcc, -1, 0
	s_add_i32 s13, s8, -4
	s_cmp_eq_u32 s13, 1
	v_cndmask_b32_e32 v34, v34, v16, vcc
	s_cselect_b64 vcc, -1, 0
	s_cmp_eq_u32 s13, 2
	;; [unrolled: 20-line block ×4, first 2 shown]
	s_waitcnt lgkmcnt(0)
	v_fmac_f32_e32 v33, v34, v38
	v_cndmask_b32_e32 v34, v10, v11, vcc
	s_cselect_b64 vcc, -1, 0
	s_cmp_eq_u32 s13, 3
	v_cndmask_b32_e32 v34, v34, v12, vcc
	s_cselect_b64 vcc, -1, 0
	s_cmp_eq_u32 s13, 4
	;; [unrolled: 3-line block ×4, first 2 shown]
	v_cndmask_b32_e32 v34, v34, v15, vcc
	s_cselect_b64 vcc, -1, 0
	s_add_i32 s13, s8, -1
	s_cmp_eq_u32 s13, 1
	v_cndmask_b32_e32 v34, v34, v16, vcc
	s_cselect_b64 vcc, -1, 0
	s_cmp_eq_u32 s13, 2
	v_fmac_f32_e32 v33, v34, v39
	v_cndmask_b32_e32 v34, v10, v11, vcc
	s_cselect_b64 vcc, -1, 0
	s_cmp_eq_u32 s13, 3
	v_cndmask_b32_e32 v34, v34, v12, vcc
	s_cselect_b64 vcc, -1, 0
	s_cmp_eq_u32 s13, 4
	v_cndmask_b32_e32 v34, v34, v13, vcc
	s_cselect_b64 vcc, -1, 0
	s_cmp_eq_u32 s13, 5
	v_cndmask_b32_e32 v34, v34, v14, vcc
	s_cselect_b64 vcc, -1, 0
	s_cmp_eq_u32 s13, 6
	v_cndmask_b32_e32 v34, v34, v15, vcc
	s_cselect_b64 vcc, -1, 0
	s_cmp_eq_u32 s8, 1
	v_cndmask_b32_e32 v34, v34, v16, vcc
	s_cselect_b64 vcc, -1, 0
	s_cmp_eq_u32 s8, 2
	v_fmac_f32_e32 v33, v34, v40
	v_cndmask_b32_e32 v34, v10, v11, vcc
	s_cselect_b64 vcc, -1, 0
	s_cmp_eq_u32 s8, 3
	v_cndmask_b32_e32 v34, v34, v12, vcc
	s_cselect_b64 vcc, -1, 0
	s_cmp_eq_u32 s8, 4
	;; [unrolled: 3-line block ×4, first 2 shown]
	v_cndmask_b32_e32 v34, v34, v15, vcc
	s_cselect_b64 vcc, -1, 0
	v_cndmask_b32_e32 v34, v34, v16, vcc
	s_add_u32 s8, s8, 8
	v_fmac_f32_e32 v33, v34, v41
	v_add_u32_e32 v34, s8, v32
	s_addc_u32 s9, s9, 0
	s_add_i32 s12, s12, 32
	s_add_i32 s13, s8, -7
	v_cmp_eq_u32_e32 vcc, 9, v34
	s_or_b64 s[10:11], vcc, s[10:11]
	v_mov_b32_e32 v34, s13
	s_andn2_b64 exec, exec, s[10:11]
	s_cbranch_execnz .LBB6_57
; %bb.58:
	s_or_b64 exec, exec, s[10:11]
.LBB6_59:
	s_or_b64 exec, exec, s[0:1]
	v_and_b32_e32 v32, 7, v9
	v_cmp_ne_u32_e32 vcc, 0, v32
	s_and_saveexec_b64 s[8:9], vcc
	s_cbranch_execz .LBB6_63
; %bb.60:
	v_lshl_add_u32 v35, v34, 2, 32
	v_mov_b32_e32 v9, 0
	s_mov_b64 s[10:11], 0
.LBB6_61:                               ; =>This Inner Loop Header: Depth=1
	v_cmp_eq_u32_e32 vcc, 1, v34
	v_cndmask_b32_e32 v36, v10, v11, vcc
	v_add_u32_e32 v32, -1, v32
	v_cmp_eq_u32_e32 vcc, 2, v34
	ds_read_b32 v37, v35
	v_cndmask_b32_e32 v36, v36, v12, vcc
	v_cmp_eq_u32_e32 vcc, 0, v32
	v_cmp_eq_u32_e64 s[0:1], 3, v34
	v_cndmask_b32_e64 v36, v36, v13, s[0:1]
	s_or_b64 s[10:11], vcc, s[10:11]
	v_cmp_eq_u32_e32 vcc, 4, v34
	v_cndmask_b32_e32 v36, v36, v14, vcc
	v_cmp_eq_u32_e32 vcc, 5, v34
	v_cndmask_b32_e32 v36, v36, v15, vcc
	v_cmp_eq_u32_e32 vcc, 6, v34
	v_add_co_u32_e64 v34, s[0:1], 1, v34
	v_cndmask_b32_e32 v36, v36, v16, vcc
	v_add_u32_e32 v35, 4, v35
	v_addc_co_u32_e64 v9, s[0:1], 0, v9, s[0:1]
	s_waitcnt lgkmcnt(0)
	v_fmac_f32_e32 v33, v36, v37
	s_andn2_b64 exec, exec, s[10:11]
	s_cbranch_execnz .LBB6_61
; %bb.62:
	s_or_b64 exec, exec, s[10:11]
.LBB6_63:
	s_or_b64 exec, exec, s[8:9]
.LBB6_64:
	s_or_b64 exec, exec, s[6:7]
	v_mov_b32_e32 v9, 0
	ds_read_b32 v9, v9 offset:4
	s_waitcnt lgkmcnt(0)
	v_mul_f32_e32 v11, v33, v9
.LBB6_65:
	s_or_b64 exec, exec, s[4:5]
	v_cmp_ne_u32_e32 vcc, 0, v0
	ds_write_b32 v17, v10
	s_waitcnt lgkmcnt(0)
	; wave barrier
	s_waitcnt lgkmcnt(0)
	s_and_saveexec_b64 s[4:5], vcc
	s_cbranch_execz .LBB6_81
; %bb.66:
	s_andn2_b64 vcc, exec, s[14:15]
	s_cbranch_vccnz .LBB6_68
; %bb.67:
	v_cmp_eq_u32_e32 vcc, 1, v0
	v_cndmask_b32_e32 v9, v10, v11, vcc
	v_cmp_eq_u32_e32 vcc, 2, v0
	v_cndmask_b32_e32 v9, v9, v12, vcc
	v_cmp_eq_u32_e32 vcc, 3, v0
	ds_read_b32 v32, v17
	v_cndmask_b32_e32 v9, v9, v13, vcc
	v_cmp_eq_u32_e32 vcc, 4, v0
	v_cndmask_b32_e32 v9, v9, v14, vcc
	v_cmp_eq_u32_e32 vcc, 5, v0
	;; [unrolled: 2-line block ×3, first 2 shown]
	v_cndmask_b32_e32 v9, v9, v16, vcc
	s_waitcnt lgkmcnt(0)
	v_mul_f32_e32 v33, v9, v32
	s_cbranch_execz .LBB6_69
	s_branch .LBB6_70
.LBB6_68:
                                        ; implicit-def: $vgpr33
.LBB6_69:
	ds_read_b32 v33, v17
.LBB6_70:
	s_and_saveexec_b64 s[6:7], s[2:3]
	s_cbranch_execz .LBB6_80
; %bb.71:
	v_add_u32_e32 v32, -2, v0
	v_add_u32_e32 v9, -1, v0
	v_cmp_lt_u32_e32 vcc, 6, v32
	v_mov_b32_e32 v34, 1
	s_and_saveexec_b64 s[0:1], vcc
	s_cbranch_execz .LBB6_75
; %bb.72:
	v_and_b32_e32 v32, -8, v9
	v_sub_u32_e32 v32, 0, v32
	s_mov_b64 s[2:3], 8
	s_mov_b32 s10, 36
	s_mov_b64 s[8:9], 0
.LBB6_73:                               ; =>This Inner Loop Header: Depth=1
	s_add_i32 s11, s2, -7
	s_cmp_eq_u32 s11, 1
	s_cselect_b64 vcc, -1, 0
	s_cmp_eq_u32 s11, 2
	v_cndmask_b32_e32 v42, v10, v11, vcc
	s_cselect_b64 vcc, -1, 0
	s_cmp_eq_u32 s11, 3
	v_cndmask_b32_e32 v42, v42, v12, vcc
	s_cselect_b64 vcc, -1, 0
	s_cmp_eq_u32 s11, 4
	v_cndmask_b32_e32 v42, v42, v13, vcc
	s_cselect_b64 vcc, -1, 0
	s_cmp_eq_u32 s11, 5
	v_cndmask_b32_e32 v42, v42, v14, vcc
	s_cselect_b64 vcc, -1, 0
	s_cmp_eq_u32 s11, 6
	v_mov_b32_e32 v40, s10
	v_cndmask_b32_e32 v42, v42, v15, vcc
	s_cselect_b64 vcc, -1, 0
	s_add_i32 s11, s2, -6
	ds_read2_b32 v[34:35], v40 offset1:1
	ds_read2_b32 v[36:37], v40 offset0:2 offset1:3
	ds_read2_b32 v[38:39], v40 offset0:4 offset1:5
	;; [unrolled: 1-line block ×3, first 2 shown]
	s_cmp_eq_u32 s11, 1
	v_cndmask_b32_e32 v42, v42, v16, vcc
	s_cselect_b64 vcc, -1, 0
	s_cmp_eq_u32 s11, 2
	s_waitcnt lgkmcnt(3)
	v_fmac_f32_e32 v33, v42, v34
	v_cndmask_b32_e32 v34, v10, v11, vcc
	s_cselect_b64 vcc, -1, 0
	s_cmp_eq_u32 s11, 3
	v_cndmask_b32_e32 v34, v34, v12, vcc
	s_cselect_b64 vcc, -1, 0
	s_cmp_eq_u32 s11, 4
	;; [unrolled: 3-line block ×4, first 2 shown]
	v_cndmask_b32_e32 v34, v34, v15, vcc
	s_cselect_b64 vcc, -1, 0
	s_add_i32 s11, s2, -5
	s_cmp_eq_u32 s11, 1
	v_cndmask_b32_e32 v34, v34, v16, vcc
	s_cselect_b64 vcc, -1, 0
	s_cmp_eq_u32 s11, 2
	v_fmac_f32_e32 v33, v34, v35
	v_cndmask_b32_e32 v34, v10, v11, vcc
	s_cselect_b64 vcc, -1, 0
	s_cmp_eq_u32 s11, 3
	v_cndmask_b32_e32 v34, v34, v12, vcc
	s_cselect_b64 vcc, -1, 0
	s_cmp_eq_u32 s11, 4
	v_cndmask_b32_e32 v34, v34, v13, vcc
	s_cselect_b64 vcc, -1, 0
	s_cmp_eq_u32 s11, 5
	v_cndmask_b32_e32 v34, v34, v14, vcc
	s_cselect_b64 vcc, -1, 0
	s_cmp_eq_u32 s11, 6
	v_cndmask_b32_e32 v34, v34, v15, vcc
	s_cselect_b64 vcc, -1, 0
	s_add_i32 s11, s2, -4
	s_cmp_eq_u32 s11, 1
	v_cndmask_b32_e32 v34, v34, v16, vcc
	s_cselect_b64 vcc, -1, 0
	s_cmp_eq_u32 s11, 2
	s_waitcnt lgkmcnt(2)
	v_fmac_f32_e32 v33, v34, v36
	v_cndmask_b32_e32 v34, v10, v11, vcc
	s_cselect_b64 vcc, -1, 0
	s_cmp_eq_u32 s11, 3
	v_cndmask_b32_e32 v34, v34, v12, vcc
	s_cselect_b64 vcc, -1, 0
	s_cmp_eq_u32 s11, 4
	;; [unrolled: 3-line block ×4, first 2 shown]
	v_cndmask_b32_e32 v34, v34, v15, vcc
	s_cselect_b64 vcc, -1, 0
	s_add_i32 s11, s2, -3
	s_cmp_eq_u32 s11, 1
	v_cndmask_b32_e32 v34, v34, v16, vcc
	s_cselect_b64 vcc, -1, 0
	s_cmp_eq_u32 s11, 2
	v_fmac_f32_e32 v33, v34, v37
	v_cndmask_b32_e32 v34, v10, v11, vcc
	s_cselect_b64 vcc, -1, 0
	s_cmp_eq_u32 s11, 3
	v_cndmask_b32_e32 v34, v34, v12, vcc
	s_cselect_b64 vcc, -1, 0
	s_cmp_eq_u32 s11, 4
	;; [unrolled: 3-line block ×4, first 2 shown]
	v_cndmask_b32_e32 v34, v34, v15, vcc
	s_cselect_b64 vcc, -1, 0
	s_add_i32 s11, s2, -2
	s_cmp_eq_u32 s11, 1
	v_cndmask_b32_e32 v34, v34, v16, vcc
	s_cselect_b64 vcc, -1, 0
	s_cmp_eq_u32 s11, 2
	s_waitcnt lgkmcnt(1)
	v_fmac_f32_e32 v33, v34, v38
	v_cndmask_b32_e32 v34, v10, v11, vcc
	s_cselect_b64 vcc, -1, 0
	s_cmp_eq_u32 s11, 3
	v_cndmask_b32_e32 v34, v34, v12, vcc
	s_cselect_b64 vcc, -1, 0
	s_cmp_eq_u32 s11, 4
	;; [unrolled: 3-line block ×4, first 2 shown]
	v_cndmask_b32_e32 v34, v34, v15, vcc
	s_cselect_b64 vcc, -1, 0
	s_add_i32 s11, s2, -1
	s_cmp_eq_u32 s11, 1
	v_cndmask_b32_e32 v34, v34, v16, vcc
	s_cselect_b64 vcc, -1, 0
	s_cmp_eq_u32 s11, 2
	v_fmac_f32_e32 v33, v34, v39
	v_cndmask_b32_e32 v34, v10, v11, vcc
	s_cselect_b64 vcc, -1, 0
	s_cmp_eq_u32 s11, 3
	v_cndmask_b32_e32 v34, v34, v12, vcc
	s_cselect_b64 vcc, -1, 0
	s_cmp_eq_u32 s11, 4
	;; [unrolled: 3-line block ×6, first 2 shown]
	s_waitcnt lgkmcnt(0)
	v_fmac_f32_e32 v33, v34, v40
	v_cndmask_b32_e32 v34, v10, v11, vcc
	s_cselect_b64 vcc, -1, 0
	s_cmp_eq_u32 s2, 3
	v_cndmask_b32_e32 v34, v34, v12, vcc
	s_cselect_b64 vcc, -1, 0
	s_cmp_eq_u32 s2, 4
	;; [unrolled: 3-line block ×4, first 2 shown]
	v_cndmask_b32_e32 v34, v34, v15, vcc
	s_cselect_b64 vcc, -1, 0
	v_cndmask_b32_e32 v34, v34, v16, vcc
	s_add_u32 s2, s2, 8
	v_fmac_f32_e32 v33, v34, v41
	v_add_u32_e32 v34, s2, v32
	s_addc_u32 s3, s3, 0
	s_add_i32 s10, s10, 32
	s_add_i32 s11, s2, -7
	v_cmp_eq_u32_e32 vcc, 8, v34
	s_or_b64 s[8:9], vcc, s[8:9]
	v_mov_b32_e32 v34, s11
	s_andn2_b64 exec, exec, s[8:9]
	s_cbranch_execnz .LBB6_73
; %bb.74:
	s_or_b64 exec, exec, s[8:9]
.LBB6_75:
	s_or_b64 exec, exec, s[0:1]
	v_and_b32_e32 v32, 7, v9
	v_cmp_ne_u32_e32 vcc, 0, v32
	s_and_saveexec_b64 s[2:3], vcc
	s_cbranch_execz .LBB6_79
; %bb.76:
	v_lshl_add_u32 v35, v34, 2, 32
	v_mov_b32_e32 v9, 0
	s_mov_b64 s[8:9], 0
.LBB6_77:                               ; =>This Inner Loop Header: Depth=1
	v_cmp_eq_u32_e32 vcc, 1, v34
	v_cndmask_b32_e32 v36, v10, v11, vcc
	v_add_u32_e32 v32, -1, v32
	v_cmp_eq_u32_e32 vcc, 2, v34
	ds_read_b32 v37, v35
	v_cndmask_b32_e32 v36, v36, v12, vcc
	v_cmp_eq_u32_e32 vcc, 0, v32
	v_cmp_eq_u32_e64 s[0:1], 3, v34
	v_cndmask_b32_e64 v36, v36, v13, s[0:1]
	s_or_b64 s[8:9], vcc, s[8:9]
	v_cmp_eq_u32_e32 vcc, 4, v34
	v_cndmask_b32_e32 v36, v36, v14, vcc
	v_cmp_eq_u32_e32 vcc, 5, v34
	v_cndmask_b32_e32 v36, v36, v15, vcc
	v_cmp_eq_u32_e32 vcc, 6, v34
	v_add_co_u32_e64 v34, s[0:1], 1, v34
	v_cndmask_b32_e32 v36, v36, v16, vcc
	v_add_u32_e32 v35, 4, v35
	v_addc_co_u32_e64 v9, s[0:1], 0, v9, s[0:1]
	s_waitcnt lgkmcnt(0)
	v_fmac_f32_e32 v33, v36, v37
	s_andn2_b64 exec, exec, s[8:9]
	s_cbranch_execnz .LBB6_77
; %bb.78:
	s_or_b64 exec, exec, s[8:9]
.LBB6_79:
	s_or_b64 exec, exec, s[2:3]
.LBB6_80:
	s_or_b64 exec, exec, s[6:7]
	v_mov_b32_e32 v9, 0
	ds_read_b32 v9, v9
	s_waitcnt lgkmcnt(0)
	v_mul_f32_e32 v10, v33, v9
.LBB6_81:
	s_or_b64 exec, exec, s[4:5]
	s_branch .LBB6_135
.LBB6_82:
	v_cmp_eq_u32_e64 s[2:3], 0, v0
	s_waitcnt vmcnt(6)
	ds_write_b32 v17, v3
	s_waitcnt lgkmcnt(0)
	; wave barrier
	s_waitcnt lgkmcnt(0)
	s_and_saveexec_b64 s[0:1], s[2:3]
	s_cbranch_execz .LBB6_88
; %bb.83:
	s_and_b64 vcc, exec, s[14:15]
	s_cbranch_vccz .LBB6_85
; %bb.84:
	v_cmp_eq_u32_e32 vcc, 1, v0
	s_waitcnt vmcnt(1)
	v_cndmask_b32_e32 v3, v2, v3, vcc
	v_cmp_eq_u32_e32 vcc, 2, v0
	v_cndmask_b32_e32 v3, v3, v4, vcc
	v_cmp_eq_u32_e32 vcc, 3, v0
	ds_read_b32 v9, v17
	v_cndmask_b32_e32 v3, v3, v5, vcc
	v_cmp_eq_u32_e32 vcc, 4, v0
	v_cndmask_b32_e32 v3, v3, v6, vcc
	v_cmp_eq_u32_e32 vcc, 5, v0
	;; [unrolled: 2-line block ×3, first 2 shown]
	s_waitcnt vmcnt(0)
	v_cndmask_b32_e32 v3, v3, v8, vcc
	s_waitcnt lgkmcnt(0)
	v_mul_f32_e32 v3, v3, v9
	s_cbranch_execz .LBB6_86
	s_branch .LBB6_87
.LBB6_85:
                                        ; implicit-def: $vgpr3
.LBB6_86:
	ds_read_b32 v3, v17
.LBB6_87:
	v_mov_b32_e32 v9, 0
	ds_read_b32 v9, v9 offset:4
	s_waitcnt lgkmcnt(0)
	v_mul_f32_e32 v3, v3, v9
.LBB6_88:
	s_or_b64 exec, exec, s[0:1]
	v_cndmask_b32_e64 v10, 0, 1, s[14:15]
	v_add_u32_e32 v9, 1, v0
	v_cmp_gt_u32_e32 vcc, 2, v0
	v_cmp_ne_u32_e64 s[0:1], 1, v10
	s_waitcnt vmcnt(5)
	ds_write_b32 v17, v4
	s_waitcnt lgkmcnt(0)
	; wave barrier
	s_waitcnt lgkmcnt(0)
	s_and_saveexec_b64 s[4:5], vcc
	s_cbranch_execz .LBB6_96
; %bb.89:
	s_and_b64 vcc, exec, s[0:1]
	s_cbranch_vccnz .LBB6_91
; %bb.90:
	v_cmp_eq_u32_e32 vcc, 1, v0
	s_waitcnt vmcnt(1)
	v_cndmask_b32_e32 v10, v2, v3, vcc
	v_cmp_eq_u32_e32 vcc, 2, v0
	v_cndmask_b32_e32 v10, v10, v4, vcc
	v_cmp_eq_u32_e32 vcc, 3, v0
	ds_read_b32 v11, v17
	v_cndmask_b32_e32 v10, v10, v5, vcc
	v_cmp_eq_u32_e32 vcc, 4, v0
	v_cndmask_b32_e32 v10, v10, v6, vcc
	v_cmp_eq_u32_e32 vcc, 5, v0
	;; [unrolled: 2-line block ×3, first 2 shown]
	s_waitcnt vmcnt(0)
	v_cndmask_b32_e32 v10, v10, v8, vcc
	s_waitcnt lgkmcnt(0)
	v_mul_f32_e32 v10, v10, v11
	s_cbranch_execz .LBB6_92
	s_branch .LBB6_93
.LBB6_91:
                                        ; implicit-def: $vgpr10
.LBB6_92:
	ds_read_b32 v10, v17
.LBB6_93:
	s_and_saveexec_b64 s[6:7], s[2:3]
	s_cbranch_execz .LBB6_95
; %bb.94:
	v_cmp_eq_u32_e32 vcc, 1, v9
	s_waitcnt vmcnt(1)
	v_cndmask_b32_e32 v11, v2, v3, vcc
	v_cmp_eq_u32_e32 vcc, 2, v9
	v_cndmask_b32_e32 v4, v11, v4, vcc
	v_cmp_eq_u32_e32 vcc, 3, v9
	ds_read_b32 v11, v17 offset:4
	v_cndmask_b32_e32 v4, v4, v5, vcc
	v_cmp_eq_u32_e32 vcc, 4, v9
	v_cndmask_b32_e32 v4, v4, v6, vcc
	v_cmp_eq_u32_e32 vcc, 5, v9
	;; [unrolled: 2-line block ×3, first 2 shown]
	s_waitcnt vmcnt(0)
	v_cndmask_b32_e32 v4, v4, v8, vcc
	s_waitcnt lgkmcnt(0)
	v_fmac_f32_e32 v10, v4, v11
.LBB6_95:
	s_or_b64 exec, exec, s[6:7]
	v_mov_b32_e32 v4, 0
	ds_read_b32 v4, v4 offset:8
	s_waitcnt lgkmcnt(0)
	v_mul_f32_e32 v4, v10, v4
.LBB6_96:
	s_or_b64 exec, exec, s[4:5]
	v_cmp_gt_u32_e32 vcc, 3, v0
	s_waitcnt vmcnt(4)
	ds_write_b32 v17, v5
	s_waitcnt lgkmcnt(0)
	; wave barrier
	s_waitcnt lgkmcnt(0)
	s_and_saveexec_b64 s[4:5], vcc
	s_cbranch_execz .LBB6_104
; %bb.97:
	s_and_b64 vcc, exec, s[0:1]
	s_cbranch_vccnz .LBB6_99
; %bb.98:
	v_cmp_eq_u32_e32 vcc, 1, v0
	s_waitcnt vmcnt(1)
	v_cndmask_b32_e32 v10, v2, v3, vcc
	v_cmp_eq_u32_e32 vcc, 2, v0
	v_cndmask_b32_e32 v10, v10, v4, vcc
	v_cmp_eq_u32_e32 vcc, 3, v0
	ds_read_b32 v11, v17
	v_cndmask_b32_e32 v10, v10, v5, vcc
	v_cmp_eq_u32_e32 vcc, 4, v0
	v_cndmask_b32_e32 v10, v10, v6, vcc
	v_cmp_eq_u32_e32 vcc, 5, v0
	;; [unrolled: 2-line block ×3, first 2 shown]
	s_waitcnt vmcnt(0)
	v_cndmask_b32_e32 v10, v10, v8, vcc
	s_waitcnt lgkmcnt(0)
	v_mul_f32_e32 v10, v10, v11
	s_cbranch_execz .LBB6_100
	s_branch .LBB6_101
.LBB6_99:
                                        ; implicit-def: $vgpr10
.LBB6_100:
	ds_read_b32 v10, v17
.LBB6_101:
	v_cmp_ne_u32_e32 vcc, 2, v0
	s_and_saveexec_b64 s[6:7], vcc
	s_cbranch_execz .LBB6_103
; %bb.102:
	v_cmp_eq_u32_e32 vcc, 1, v9
	s_waitcnt vmcnt(1)
	v_cndmask_b32_e32 v11, v2, v3, vcc
	v_cmp_eq_u32_e32 vcc, 2, v9
	v_cndmask_b32_e32 v11, v11, v4, vcc
	v_cmp_eq_u32_e32 vcc, 3, v9
	v_cndmask_b32_e32 v5, v11, v5, vcc
	v_mov_b32_e32 v11, 0
	v_cmp_eq_u32_e32 vcc, 4, v9
	ds_read_b32 v12, v17 offset:4
	ds_read_b32 v11, v11 offset:40
	v_cndmask_b32_e32 v5, v5, v6, vcc
	v_cmp_eq_u32_e32 vcc, 5, v9
	v_cndmask_b32_e32 v5, v5, v7, vcc
	v_cmp_eq_u32_e32 vcc, 6, v9
	s_waitcnt vmcnt(0)
	v_cndmask_b32_e32 v5, v5, v8, vcc
	s_waitcnt lgkmcnt(1)
	v_fmac_f32_e32 v10, v5, v12
	s_waitcnt lgkmcnt(0)
	v_fma_f32 v5, v4, v11, v10
	v_cndmask_b32_e64 v10, v10, v5, s[2:3]
.LBB6_103:
	s_or_b64 exec, exec, s[6:7]
	v_mov_b32_e32 v5, 0
	ds_read_b32 v5, v5 offset:12
	s_waitcnt lgkmcnt(0)
	v_mul_f32_e32 v5, v10, v5
.LBB6_104:
	s_or_b64 exec, exec, s[4:5]
	v_cmp_gt_u32_e32 vcc, 4, v0
	s_waitcnt vmcnt(3)
	ds_write_b32 v17, v6
	s_waitcnt lgkmcnt(0)
	; wave barrier
	s_waitcnt lgkmcnt(0)
	s_and_saveexec_b64 s[4:5], vcc
	s_cbranch_execz .LBB6_114
; %bb.105:
	s_and_b64 vcc, exec, s[0:1]
	s_cbranch_vccnz .LBB6_107
; %bb.106:
	v_cmp_eq_u32_e32 vcc, 1, v0
	s_waitcnt vmcnt(1)
	v_cndmask_b32_e32 v9, v2, v3, vcc
	v_cmp_eq_u32_e32 vcc, 2, v0
	v_cndmask_b32_e32 v9, v9, v4, vcc
	v_cmp_eq_u32_e32 vcc, 3, v0
	ds_read_b32 v10, v17
	v_cndmask_b32_e32 v9, v9, v5, vcc
	v_cmp_eq_u32_e32 vcc, 4, v0
	v_cndmask_b32_e32 v9, v9, v6, vcc
	v_cmp_eq_u32_e32 vcc, 5, v0
	;; [unrolled: 2-line block ×3, first 2 shown]
	s_waitcnt vmcnt(0)
	v_cndmask_b32_e32 v9, v9, v8, vcc
	s_waitcnt lgkmcnt(0)
	v_mul_f32_e32 v9, v9, v10
	s_cbranch_execz .LBB6_108
	s_branch .LBB6_109
.LBB6_107:
                                        ; implicit-def: $vgpr9
.LBB6_108:
	ds_read_b32 v9, v17
.LBB6_109:
	v_cmp_ne_u32_e32 vcc, 3, v0
	s_and_saveexec_b64 s[6:7], vcc
	s_cbranch_execz .LBB6_113
; %bb.110:
	v_lshl_add_u32 v12, v0, 2, 36
	s_mov_b64 s[8:9], 0
	v_pk_mov_b32 v[10:11], v[0:1], v[0:1] op_sel:[0,1]
.LBB6_111:                              ; =>This Inner Loop Header: Depth=1
	v_add_co_u32_e32 v10, vcc, 1, v10
	v_addc_co_u32_e32 v11, vcc, 0, v11, vcc
	v_cmp_eq_u32_e32 vcc, 1, v10
	s_waitcnt vmcnt(1)
	v_cndmask_b32_e32 v14, v2, v3, vcc
	v_cmp_lt_u32_e32 vcc, 2, v10
	v_cmp_eq_u32_e64 s[2:3], 2, v10
	ds_read_b32 v13, v12
	v_cndmask_b32_e64 v14, v14, v4, s[2:3]
	s_or_b64 s[8:9], vcc, s[8:9]
	v_cmp_eq_u32_e32 vcc, 3, v10
	v_cndmask_b32_e32 v14, v14, v5, vcc
	v_cmp_eq_u32_e32 vcc, 4, v10
	v_cndmask_b32_e32 v14, v14, v6, vcc
	;; [unrolled: 2-line block ×3, first 2 shown]
	v_cmp_eq_u32_e32 vcc, 6, v10
	s_waitcnt vmcnt(0)
	v_cndmask_b32_e32 v14, v14, v8, vcc
	v_add_u32_e32 v12, 4, v12
	s_waitcnt lgkmcnt(0)
	v_fmac_f32_e32 v9, v14, v13
	s_andn2_b64 exec, exec, s[8:9]
	s_cbranch_execnz .LBB6_111
; %bb.112:
	s_or_b64 exec, exec, s[8:9]
.LBB6_113:
	s_or_b64 exec, exec, s[6:7]
	v_mov_b32_e32 v6, 0
	ds_read_b32 v6, v6 offset:16
	s_waitcnt lgkmcnt(0)
	v_mul_f32_e32 v6, v9, v6
.LBB6_114:
	s_or_b64 exec, exec, s[4:5]
	v_cmp_gt_u32_e64 s[2:3], 5, v0
	s_waitcnt vmcnt(2)
	ds_write_b32 v17, v7
	s_waitcnt lgkmcnt(0)
	; wave barrier
	s_waitcnt lgkmcnt(0)
	s_and_saveexec_b64 s[6:7], s[2:3]
	s_cbranch_execz .LBB6_124
; %bb.115:
	s_and_b64 vcc, exec, s[0:1]
	s_cbranch_vccnz .LBB6_117
; %bb.116:
	v_cmp_eq_u32_e32 vcc, 1, v0
	s_waitcnt vmcnt(1)
	v_cndmask_b32_e32 v9, v2, v3, vcc
	v_cmp_eq_u32_e32 vcc, 2, v0
	v_cndmask_b32_e32 v9, v9, v4, vcc
	v_cmp_eq_u32_e32 vcc, 3, v0
	ds_read_b32 v10, v17
	v_cndmask_b32_e32 v9, v9, v5, vcc
	v_cmp_eq_u32_e32 vcc, 4, v0
	v_cndmask_b32_e32 v9, v9, v6, vcc
	v_cmp_eq_u32_e32 vcc, 5, v0
	v_cndmask_b32_e32 v9, v9, v7, vcc
	v_cmp_eq_u32_e32 vcc, 6, v0
	s_waitcnt vmcnt(0)
	v_cndmask_b32_e32 v9, v9, v8, vcc
	s_waitcnt lgkmcnt(0)
	v_mul_f32_e32 v9, v9, v10
	s_cbranch_execz .LBB6_118
	s_branch .LBB6_119
.LBB6_117:
                                        ; implicit-def: $vgpr9
.LBB6_118:
	ds_read_b32 v9, v17
.LBB6_119:
	v_cmp_ne_u32_e32 vcc, 4, v0
	s_and_saveexec_b64 s[8:9], vcc
	s_cbranch_execz .LBB6_123
; %bb.120:
	v_lshl_add_u32 v12, v0, 2, 36
	s_mov_b64 s[10:11], 0
	v_pk_mov_b32 v[10:11], v[0:1], v[0:1] op_sel:[0,1]
.LBB6_121:                              ; =>This Inner Loop Header: Depth=1
	v_add_co_u32_e32 v10, vcc, 1, v10
	v_addc_co_u32_e32 v11, vcc, 0, v11, vcc
	v_cmp_eq_u32_e32 vcc, 1, v10
	s_waitcnt vmcnt(1)
	v_cndmask_b32_e32 v14, v2, v3, vcc
	v_cmp_lt_u32_e32 vcc, 3, v10
	v_cmp_eq_u32_e64 s[4:5], 2, v10
	ds_read_b32 v13, v12
	v_cndmask_b32_e64 v14, v14, v4, s[4:5]
	s_or_b64 s[10:11], vcc, s[10:11]
	v_cmp_eq_u32_e32 vcc, 3, v10
	v_cndmask_b32_e32 v14, v14, v5, vcc
	v_cmp_eq_u32_e32 vcc, 4, v10
	v_cndmask_b32_e32 v14, v14, v6, vcc
	;; [unrolled: 2-line block ×3, first 2 shown]
	v_cmp_eq_u32_e32 vcc, 6, v10
	s_waitcnt vmcnt(0)
	v_cndmask_b32_e32 v14, v14, v8, vcc
	v_add_u32_e32 v12, 4, v12
	s_waitcnt lgkmcnt(0)
	v_fmac_f32_e32 v9, v14, v13
	s_andn2_b64 exec, exec, s[10:11]
	s_cbranch_execnz .LBB6_121
; %bb.122:
	s_or_b64 exec, exec, s[10:11]
.LBB6_123:
	s_or_b64 exec, exec, s[8:9]
	v_mov_b32_e32 v7, 0
	ds_read_b32 v7, v7 offset:20
	s_waitcnt lgkmcnt(0)
	v_mul_f32_e32 v7, v9, v7
.LBB6_124:
	s_or_b64 exec, exec, s[6:7]
	v_cmp_ne_u32_e32 vcc, 6, v0
	s_waitcnt vmcnt(0)
	ds_write_b32 v17, v8
	s_waitcnt lgkmcnt(0)
	; wave barrier
	s_waitcnt lgkmcnt(0)
	s_and_saveexec_b64 s[4:5], vcc
	s_cbranch_execz .LBB6_134
; %bb.125:
	s_and_b64 vcc, exec, s[0:1]
	s_cbranch_vccnz .LBB6_127
; %bb.126:
	v_cmp_eq_u32_e32 vcc, 1, v0
	v_cndmask_b32_e32 v9, v2, v3, vcc
	v_cmp_eq_u32_e32 vcc, 2, v0
	v_cndmask_b32_e32 v9, v9, v4, vcc
	v_cmp_eq_u32_e32 vcc, 3, v0
	ds_read_b32 v10, v17
	v_cndmask_b32_e32 v9, v9, v5, vcc
	v_cmp_eq_u32_e32 vcc, 4, v0
	v_cndmask_b32_e32 v9, v9, v6, vcc
	v_cmp_eq_u32_e32 vcc, 5, v0
	;; [unrolled: 2-line block ×3, first 2 shown]
	v_cndmask_b32_e32 v9, v9, v8, vcc
	s_waitcnt lgkmcnt(0)
	v_mul_f32_e32 v9, v9, v10
	s_cbranch_execz .LBB6_128
	s_branch .LBB6_129
.LBB6_127:
                                        ; implicit-def: $vgpr9
.LBB6_128:
	ds_read_b32 v9, v17
.LBB6_129:
	s_and_saveexec_b64 s[6:7], s[2:3]
	s_cbranch_execz .LBB6_133
; %bb.130:
	v_lshl_add_u32 v10, v0, 2, 36
	s_mov_b64 s[2:3], 0
.LBB6_131:                              ; =>This Inner Loop Header: Depth=1
	v_add_co_u32_e32 v0, vcc, 1, v0
	v_addc_co_u32_e32 v1, vcc, 0, v1, vcc
	v_cmp_eq_u32_e32 vcc, 1, v0
	v_cndmask_b32_e32 v12, v2, v3, vcc
	v_cmp_lt_u32_e32 vcc, 4, v0
	v_cmp_eq_u32_e64 s[0:1], 2, v0
	ds_read_b32 v11, v10
	v_cndmask_b32_e64 v12, v12, v4, s[0:1]
	s_or_b64 s[2:3], vcc, s[2:3]
	v_cmp_eq_u32_e32 vcc, 3, v0
	v_cndmask_b32_e32 v12, v12, v5, vcc
	v_cmp_eq_u32_e32 vcc, 4, v0
	v_cndmask_b32_e32 v12, v12, v6, vcc
	;; [unrolled: 2-line block ×4, first 2 shown]
	v_add_u32_e32 v10, 4, v10
	s_waitcnt lgkmcnt(0)
	v_fmac_f32_e32 v9, v12, v11
	s_andn2_b64 exec, exec, s[2:3]
	s_cbranch_execnz .LBB6_131
; %bb.132:
	s_or_b64 exec, exec, s[2:3]
.LBB6_133:
	s_or_b64 exec, exec, s[6:7]
	v_mov_b32_e32 v0, 0
	ds_read_b32 v0, v0 offset:24
	s_waitcnt lgkmcnt(0)
	v_mul_f32_e32 v8, v9, v0
.LBB6_134:
	s_or_b64 exec, exec, s[4:5]
	v_mov_b32_e32 v16, v8
	v_mov_b32_e32 v15, v7
	;; [unrolled: 1-line block ×7, first 2 shown]
.LBB6_135:
	global_store_dword v[18:19], v10, off
	global_store_dword v[20:21], v11, off
	;; [unrolled: 1-line block ×7, first 2 shown]
.LBB6_136:
	s_endpgm
	.section	.rodata,"a",@progbits
	.p2align	6, 0x0
	.amdhsa_kernel _ZN9rocsolver6v33100L18trti2_kernel_smallILi7EfPfEEv13rocblas_fill_17rocblas_diagonal_T1_iil
		.amdhsa_group_segment_fixed_size 60
		.amdhsa_private_segment_fixed_size 0
		.amdhsa_kernarg_size 32
		.amdhsa_user_sgpr_count 6
		.amdhsa_user_sgpr_private_segment_buffer 1
		.amdhsa_user_sgpr_dispatch_ptr 0
		.amdhsa_user_sgpr_queue_ptr 0
		.amdhsa_user_sgpr_kernarg_segment_ptr 1
		.amdhsa_user_sgpr_dispatch_id 0
		.amdhsa_user_sgpr_flat_scratch_init 0
		.amdhsa_user_sgpr_kernarg_preload_length 0
		.amdhsa_user_sgpr_kernarg_preload_offset 0
		.amdhsa_user_sgpr_private_segment_size 0
		.amdhsa_uses_dynamic_stack 0
		.amdhsa_system_sgpr_private_segment_wavefront_offset 0
		.amdhsa_system_sgpr_workgroup_id_x 1
		.amdhsa_system_sgpr_workgroup_id_y 0
		.amdhsa_system_sgpr_workgroup_id_z 0
		.amdhsa_system_sgpr_workgroup_info 0
		.amdhsa_system_vgpr_workitem_id 0
		.amdhsa_next_free_vgpr 43
		.amdhsa_next_free_sgpr 24
		.amdhsa_accum_offset 44
		.amdhsa_reserve_vcc 1
		.amdhsa_reserve_flat_scratch 0
		.amdhsa_float_round_mode_32 0
		.amdhsa_float_round_mode_16_64 0
		.amdhsa_float_denorm_mode_32 3
		.amdhsa_float_denorm_mode_16_64 3
		.amdhsa_dx10_clamp 1
		.amdhsa_ieee_mode 1
		.amdhsa_fp16_overflow 0
		.amdhsa_tg_split 0
		.amdhsa_exception_fp_ieee_invalid_op 0
		.amdhsa_exception_fp_denorm_src 0
		.amdhsa_exception_fp_ieee_div_zero 0
		.amdhsa_exception_fp_ieee_overflow 0
		.amdhsa_exception_fp_ieee_underflow 0
		.amdhsa_exception_fp_ieee_inexact 0
		.amdhsa_exception_int_div_zero 0
	.end_amdhsa_kernel
	.section	.text._ZN9rocsolver6v33100L18trti2_kernel_smallILi7EfPfEEv13rocblas_fill_17rocblas_diagonal_T1_iil,"axG",@progbits,_ZN9rocsolver6v33100L18trti2_kernel_smallILi7EfPfEEv13rocblas_fill_17rocblas_diagonal_T1_iil,comdat
.Lfunc_end6:
	.size	_ZN9rocsolver6v33100L18trti2_kernel_smallILi7EfPfEEv13rocblas_fill_17rocblas_diagonal_T1_iil, .Lfunc_end6-_ZN9rocsolver6v33100L18trti2_kernel_smallILi7EfPfEEv13rocblas_fill_17rocblas_diagonal_T1_iil
                                        ; -- End function
	.section	.AMDGPU.csdata,"",@progbits
; Kernel info:
; codeLenInByte = 6928
; NumSgprs: 28
; NumVgprs: 43
; NumAgprs: 0
; TotalNumVgprs: 43
; ScratchSize: 0
; MemoryBound: 0
; FloatMode: 240
; IeeeMode: 1
; LDSByteSize: 60 bytes/workgroup (compile time only)
; SGPRBlocks: 3
; VGPRBlocks: 5
; NumSGPRsForWavesPerEU: 28
; NumVGPRsForWavesPerEU: 43
; AccumOffset: 44
; Occupancy: 8
; WaveLimiterHint : 0
; COMPUTE_PGM_RSRC2:SCRATCH_EN: 0
; COMPUTE_PGM_RSRC2:USER_SGPR: 6
; COMPUTE_PGM_RSRC2:TRAP_HANDLER: 0
; COMPUTE_PGM_RSRC2:TGID_X_EN: 1
; COMPUTE_PGM_RSRC2:TGID_Y_EN: 0
; COMPUTE_PGM_RSRC2:TGID_Z_EN: 0
; COMPUTE_PGM_RSRC2:TIDIG_COMP_CNT: 0
; COMPUTE_PGM_RSRC3_GFX90A:ACCUM_OFFSET: 10
; COMPUTE_PGM_RSRC3_GFX90A:TG_SPLIT: 0
	.section	.text._ZN9rocsolver6v33100L18trti2_kernel_smallILi8EfPfEEv13rocblas_fill_17rocblas_diagonal_T1_iil,"axG",@progbits,_ZN9rocsolver6v33100L18trti2_kernel_smallILi8EfPfEEv13rocblas_fill_17rocblas_diagonal_T1_iil,comdat
	.globl	_ZN9rocsolver6v33100L18trti2_kernel_smallILi8EfPfEEv13rocblas_fill_17rocblas_diagonal_T1_iil ; -- Begin function _ZN9rocsolver6v33100L18trti2_kernel_smallILi8EfPfEEv13rocblas_fill_17rocblas_diagonal_T1_iil
	.p2align	8
	.type	_ZN9rocsolver6v33100L18trti2_kernel_smallILi8EfPfEEv13rocblas_fill_17rocblas_diagonal_T1_iil,@function
_ZN9rocsolver6v33100L18trti2_kernel_smallILi8EfPfEEv13rocblas_fill_17rocblas_diagonal_T1_iil: ; @_ZN9rocsolver6v33100L18trti2_kernel_smallILi8EfPfEEv13rocblas_fill_17rocblas_diagonal_T1_iil
; %bb.0:
	v_cmp_gt_u32_e32 vcc, 8, v0
	s_and_saveexec_b64 s[0:1], vcc
	s_cbranch_execz .LBB7_162
; %bb.1:
	s_load_dwordx8 s[16:23], s[4:5], 0x0
	s_ashr_i32 s2, s6, 31
	v_lshlrev_b32_e32 v10, 2, v0
	v_mov_b32_e32 v11, -1.0
	s_waitcnt lgkmcnt(0)
	s_mul_i32 s3, s6, s23
	s_mul_hi_u32 s4, s6, s22
	s_add_i32 s3, s4, s3
	s_mul_i32 s2, s2, s22
	s_add_i32 s3, s3, s2
	s_mul_i32 s2, s6, s22
	s_ashr_i32 s1, s20, 31
	s_lshl_b64 s[2:3], s[2:3], 2
	s_mov_b32 s0, s20
	s_add_u32 s2, s18, s2
	s_addc_u32 s3, s19, s3
	s_lshl_b64 s[0:1], s[0:1], 2
	s_add_u32 s0, s2, s0
	s_addc_u32 s1, s3, s1
	v_mov_b32_e32 v1, s1
	v_add_co_u32_e32 v18, vcc, s0, v10
	s_ashr_i32 s3, s21, 31
	s_mov_b32 s2, s21
	v_addc_co_u32_e32 v19, vcc, 0, v1, vcc
	s_lshl_b64 s[2:3], s[2:3], 2
	v_add_co_u32_e32 v20, vcc, s2, v18
	s_add_i32 s2, s21, s21
	v_add_u32_e32 v2, s2, v0
	v_mov_b32_e32 v1, s3
	v_ashrrev_i32_e32 v3, 31, v2
	v_addc_co_u32_e32 v21, vcc, v19, v1, vcc
	v_lshlrev_b64 v[4:5], 2, v[2:3]
	v_add_u32_e32 v2, s21, v2
	v_mov_b32_e32 v1, s1
	v_add_co_u32_e32 v22, vcc, s0, v4
	v_ashrrev_i32_e32 v3, 31, v2
	v_addc_co_u32_e32 v23, vcc, v1, v5, vcc
	v_lshlrev_b64 v[4:5], 2, v[2:3]
	v_add_u32_e32 v2, s21, v2
	v_add_co_u32_e32 v24, vcc, s0, v4
	v_ashrrev_i32_e32 v3, 31, v2
	v_addc_co_u32_e32 v25, vcc, v1, v5, vcc
	v_lshlrev_b64 v[4:5], 2, v[2:3]
	v_add_u32_e32 v2, s21, v2
	;; [unrolled: 5-line block ×3, first 2 shown]
	v_add_co_u32_e32 v28, vcc, s0, v4
	v_ashrrev_i32_e32 v3, 31, v2
	v_addc_co_u32_e32 v29, vcc, v1, v5, vcc
	v_lshlrev_b64 v[4:5], 2, v[2:3]
	v_add_co_u32_e32 v30, vcc, s0, v4
	v_addc_co_u32_e32 v31, vcc, v1, v5, vcc
	global_load_dword v3, v[20:21], off
	global_load_dword v4, v[22:23], off
	;; [unrolled: 1-line block ×6, first 2 shown]
	v_add_u32_e32 v12, s21, v2
	v_ashrrev_i32_e32 v13, 31, v12
	v_lshlrev_b64 v[12:13], 2, v[12:13]
	v_add_co_u32_e32 v32, vcc, s0, v12
	v_addc_co_u32_e32 v33, vcc, v1, v13, vcc
	global_load_dword v2, v10, s[0:1]
	global_load_dword v9, v[32:33], off
	s_cmpk_lg_i32 s17, 0x84
	v_mov_b32_e32 v1, 0
	s_cselect_b64 s[18:19], -1, 0
	s_cmpk_eq_i32 s17, 0x84
	v_cmp_eq_u32_e64 s[0:1], 0, v0
	s_cbranch_scc1 .LBB7_3
; %bb.2:
	v_cmp_eq_u32_e64 s[2:3], 1, v0
	s_waitcnt vmcnt(1)
	v_cndmask_b32_e64 v11, v2, v3, s[2:3]
	v_cmp_eq_u32_e64 s[4:5], 2, v0
	v_cndmask_b32_e64 v11, v11, v4, s[4:5]
	v_cmp_eq_u32_e64 s[6:7], 3, v0
	v_cndmask_b32_e64 v11, v11, v5, s[6:7]
	v_cmp_eq_u32_e64 s[8:9], 4, v0
	v_cndmask_b32_e64 v11, v11, v6, s[8:9]
	v_cmp_eq_u32_e64 s[10:11], 5, v0
	v_cndmask_b32_e64 v11, v11, v7, s[10:11]
	v_cmp_eq_u32_e64 s[12:13], 6, v0
	v_cndmask_b32_e64 v11, v11, v8, s[12:13]
	v_cmp_eq_u32_e64 s[14:15], 7, v0
	s_waitcnt vmcnt(0)
	v_cndmask_b32_e64 v11, v11, v9, s[14:15]
	v_div_scale_f32 v12, s[20:21], v11, v11, 1.0
	v_rcp_f32_e32 v13, v12
	v_fma_f32 v14, -v12, v13, 1.0
	v_fmac_f32_e32 v13, v14, v13
	v_div_scale_f32 v14, vcc, 1.0, v11, 1.0
	v_mul_f32_e32 v15, v14, v13
	v_fma_f32 v16, -v12, v15, v14
	v_fmac_f32_e32 v15, v16, v13
	v_fma_f32 v12, -v12, v15, v14
	v_div_fmas_f32 v12, v12, v13, v15
	v_div_fixup_f32 v11, v12, v11, 1.0
	v_cndmask_b32_e64 v9, v9, v11, s[14:15]
	v_cndmask_b32_e64 v8, v8, v11, s[12:13]
	v_cndmask_b32_e64 v7, v7, v11, s[10:11]
	v_cndmask_b32_e64 v6, v6, v11, s[8:9]
	v_cndmask_b32_e64 v5, v5, v11, s[6:7]
	v_cndmask_b32_e64 v4, v4, v11, s[4:5]
	v_cndmask_b32_e64 v3, v3, v11, s[2:3]
	v_cndmask_b32_e64 v2, v2, v11, s[0:1]
	v_xor_b32_e32 v11, 0x80000000, v11
.LBB7_3:
	s_cmpk_eq_i32 s16, 0x79
	v_add_u32_e32 v37, 32, v10
	ds_write_b32 v10, v11
	s_cbranch_scc1 .LBB7_7
; %bb.4:
	s_waitcnt vmcnt(0)
	v_pk_mov_b32 v[16:17], v[8:9], v[8:9] op_sel:[0,1]
	v_cmp_eq_u32_e64 s[0:1], 7, v0
	v_pk_mov_b32 v[14:15], v[6:7], v[6:7] op_sel:[0,1]
	v_pk_mov_b32 v[12:13], v[4:5], v[4:5] op_sel:[0,1]
	;; [unrolled: 1-line block ×3, first 2 shown]
	ds_write_b32 v37, v8
	s_waitcnt lgkmcnt(0)
	; wave barrier
	s_waitcnt lgkmcnt(0)
	s_and_saveexec_b64 s[2:3], s[0:1]
	s_cbranch_execz .LBB7_11
; %bb.5:
	s_and_b64 vcc, exec, s[18:19]
	s_cbranch_vccz .LBB7_8
; %bb.6:
	v_cmp_eq_u32_e32 vcc, 1, v0
	v_cndmask_b32_e32 v10, v2, v3, vcc
	v_cmp_eq_u32_e32 vcc, 2, v0
	v_cndmask_b32_e32 v10, v10, v4, vcc
	;; [unrolled: 2-line block ×3, first 2 shown]
	v_cmp_eq_u32_e32 vcc, 4, v0
	ds_read_b32 v11, v37
	v_cndmask_b32_e32 v10, v10, v6, vcc
	v_cmp_eq_u32_e32 vcc, 5, v0
	v_cndmask_b32_e32 v10, v10, v7, vcc
	v_cmp_eq_u32_e32 vcc, 6, v0
	;; [unrolled: 2-line block ×3, first 2 shown]
	v_cndmask_b32_e32 v10, v10, v9, vcc
	s_waitcnt lgkmcnt(0)
	v_mul_f32_e32 v10, v10, v11
	s_cbranch_execz .LBB7_9
	s_branch .LBB7_10
.LBB7_7:
                                        ; implicit-def: $vgpr10_vgpr11_vgpr12_vgpr13_vgpr14_vgpr15_vgpr16_vgpr17
	s_cbranch_execnz .LBB7_98
	s_branch .LBB7_161
.LBB7_8:
                                        ; implicit-def: $vgpr10
.LBB7_9:
	ds_read_b32 v10, v37
.LBB7_10:
	v_mov_b32_e32 v11, 0
	ds_read_b32 v11, v11 offset:24
	s_waitcnt lgkmcnt(0)
	v_mul_f32_e32 v34, v10, v11
	v_pk_mov_b32 v[16:17], v[8:9], v[8:9] op_sel:[0,1]
	v_pk_mov_b32 v[14:15], v[6:7], v[6:7] op_sel:[0,1]
	;; [unrolled: 1-line block ×4, first 2 shown]
	v_mov_b32_e32 v16, v34
.LBB7_11:
	s_or_b64 exec, exec, s[2:3]
	v_cmp_lt_u32_e64 s[2:3], 5, v0
	ds_write_b32 v37, v15
	s_waitcnt lgkmcnt(0)
	; wave barrier
	s_waitcnt lgkmcnt(0)
	s_and_saveexec_b64 s[4:5], s[2:3]
	s_cbranch_execz .LBB7_17
; %bb.12:
	s_andn2_b64 vcc, exec, s[18:19]
	s_cbranch_vccnz .LBB7_14
; %bb.13:
	v_cmp_eq_u32_e32 vcc, 1, v0
	v_cndmask_b32_e32 v34, v10, v11, vcc
	v_cmp_eq_u32_e32 vcc, 2, v0
	v_cndmask_b32_e32 v34, v34, v12, vcc
	;; [unrolled: 2-line block ×5, first 2 shown]
	ds_read_b32 v34, v37
	v_cmp_eq_u32_e32 vcc, 6, v0
	v_cndmask_b32_e32 v15, v15, v16, vcc
	v_cmp_eq_u32_e32 vcc, 7, v0
	v_cndmask_b32_e32 v15, v15, v17, vcc
	s_waitcnt lgkmcnt(0)
	v_mul_f32_e32 v15, v15, v34
	s_cbranch_execz .LBB7_15
	s_branch .LBB7_16
.LBB7_14:
                                        ; implicit-def: $vgpr15
.LBB7_15:
	ds_read_b32 v15, v37
.LBB7_16:
	v_mov_b32_e32 v34, 0
	ds_read2_b32 v[34:35], v34 offset0:5 offset1:14
	s_waitcnt lgkmcnt(0)
	v_fma_f32 v35, v16, v35, v15
	v_cndmask_b32_e64 v15, v15, v35, s[0:1]
	v_mul_f32_e32 v15, v15, v34
.LBB7_17:
	s_or_b64 exec, exec, s[4:5]
	v_cmp_lt_u32_e64 s[0:1], 4, v0
	ds_write_b32 v37, v14
	s_waitcnt lgkmcnt(0)
	; wave barrier
	s_waitcnt lgkmcnt(0)
	s_and_saveexec_b64 s[4:5], s[0:1]
	s_cbranch_execz .LBB7_33
; %bb.18:
	s_andn2_b64 vcc, exec, s[18:19]
	s_cbranch_vccnz .LBB7_20
; %bb.19:
	v_cmp_eq_u32_e32 vcc, 1, v0
	v_cndmask_b32_e32 v34, v10, v11, vcc
	v_cmp_eq_u32_e32 vcc, 2, v0
	v_cndmask_b32_e32 v34, v34, v12, vcc
	;; [unrolled: 2-line block ×3, first 2 shown]
	v_cmp_eq_u32_e32 vcc, 4, v0
	ds_read_b32 v35, v37
	v_cndmask_b32_e32 v34, v34, v14, vcc
	v_cmp_eq_u32_e32 vcc, 5, v0
	v_cndmask_b32_e32 v34, v34, v15, vcc
	v_cmp_eq_u32_e32 vcc, 6, v0
	;; [unrolled: 2-line block ×3, first 2 shown]
	v_cndmask_b32_e32 v34, v34, v17, vcc
	s_waitcnt lgkmcnt(0)
	v_mul_f32_e32 v38, v34, v35
	s_cbranch_execz .LBB7_21
	s_branch .LBB7_22
.LBB7_20:
                                        ; implicit-def: $vgpr38
.LBB7_21:
	ds_read_b32 v38, v37
.LBB7_22:
	s_and_saveexec_b64 s[6:7], s[2:3]
	s_cbranch_execz .LBB7_32
; %bb.23:
	v_add_u32_e32 v34, -6, v0
	v_add_u32_e32 v35, -5, v0
	v_cmp_lt_u32_e32 vcc, 6, v34
	v_mov_b32_e32 v36, 5
	s_and_saveexec_b64 s[2:3], vcc
	s_cbranch_execz .LBB7_27
; %bb.24:
	v_and_b32_e32 v34, -8, v35
	v_sub_u32_e32 v34, 0, v34
	s_mov_b64 s[8:9], 12
	s_mov_b32 s12, 52
	s_mov_b64 s[10:11], 0
.LBB7_25:                               ; =>This Inner Loop Header: Depth=1
	s_add_i32 s13, s8, -7
	s_cmp_eq_u32 s13, 1
	v_mov_b32_e32 v36, s12
	s_cselect_b64 vcc, -1, 0
	s_cmp_eq_u32 s13, 2
	ds_read2_b32 v[40:41], v36 offset1:1
	ds_read2_b32 v[42:43], v36 offset0:2 offset1:3
	ds_read2_b32 v[44:45], v36 offset0:4 offset1:5
	;; [unrolled: 1-line block ×3, first 2 shown]
	v_cndmask_b32_e32 v36, v10, v11, vcc
	s_cselect_b64 vcc, -1, 0
	s_cmp_eq_u32 s13, 3
	v_cndmask_b32_e32 v36, v36, v12, vcc
	s_cselect_b64 vcc, -1, 0
	s_cmp_eq_u32 s13, 4
	v_cndmask_b32_e32 v36, v36, v13, vcc
	s_cselect_b64 vcc, -1, 0
	s_cmp_eq_u32 s13, 5
	v_cndmask_b32_e32 v36, v36, v14, vcc
	s_cselect_b64 vcc, -1, 0
	s_cmp_eq_u32 s13, 6
	v_cndmask_b32_e32 v36, v36, v15, vcc
	s_cselect_b64 vcc, -1, 0
	s_cmp_eq_u32 s13, 7
	v_cndmask_b32_e32 v36, v36, v16, vcc
	s_cselect_b64 vcc, -1, 0
	s_add_i32 s13, s8, -6
	s_cmp_eq_u32 s13, 1
	v_cndmask_b32_e32 v36, v36, v17, vcc
	s_cselect_b64 vcc, -1, 0
	s_cmp_eq_u32 s13, 2
	s_waitcnt lgkmcnt(3)
	v_fmac_f32_e32 v38, v36, v40
	v_cndmask_b32_e32 v36, v10, v11, vcc
	s_cselect_b64 vcc, -1, 0
	s_cmp_eq_u32 s13, 3
	v_cndmask_b32_e32 v36, v36, v12, vcc
	s_cselect_b64 vcc, -1, 0
	s_cmp_eq_u32 s13, 4
	v_cndmask_b32_e32 v36, v36, v13, vcc
	s_cselect_b64 vcc, -1, 0
	s_cmp_eq_u32 s13, 5
	v_cndmask_b32_e32 v36, v36, v14, vcc
	s_cselect_b64 vcc, -1, 0
	s_cmp_eq_u32 s13, 6
	v_cndmask_b32_e32 v36, v36, v15, vcc
	s_cselect_b64 vcc, -1, 0
	s_cmp_eq_u32 s13, 7
	v_cndmask_b32_e32 v36, v36, v16, vcc
	s_cselect_b64 vcc, -1, 0
	s_add_i32 s13, s8, -5
	s_cmp_eq_u32 s13, 1
	v_cndmask_b32_e32 v36, v36, v17, vcc
	s_cselect_b64 vcc, -1, 0
	s_cmp_eq_u32 s13, 2
	v_fmac_f32_e32 v38, v36, v41
	v_cndmask_b32_e32 v36, v10, v11, vcc
	s_cselect_b64 vcc, -1, 0
	s_cmp_eq_u32 s13, 3
	v_cndmask_b32_e32 v36, v36, v12, vcc
	s_cselect_b64 vcc, -1, 0
	s_cmp_eq_u32 s13, 4
	v_cndmask_b32_e32 v36, v36, v13, vcc
	s_cselect_b64 vcc, -1, 0
	s_cmp_eq_u32 s13, 5
	v_cndmask_b32_e32 v36, v36, v14, vcc
	s_cselect_b64 vcc, -1, 0
	s_cmp_eq_u32 s13, 6
	v_cndmask_b32_e32 v36, v36, v15, vcc
	s_cselect_b64 vcc, -1, 0
	s_cmp_eq_u32 s13, 7
	v_cndmask_b32_e32 v36, v36, v16, vcc
	s_cselect_b64 vcc, -1, 0
	s_add_i32 s13, s8, -4
	s_cmp_eq_u32 s13, 1
	v_cndmask_b32_e32 v36, v36, v17, vcc
	s_cselect_b64 vcc, -1, 0
	s_cmp_eq_u32 s13, 2
	s_waitcnt lgkmcnt(2)
	v_fmac_f32_e32 v38, v36, v42
	v_cndmask_b32_e32 v36, v10, v11, vcc
	s_cselect_b64 vcc, -1, 0
	s_cmp_eq_u32 s13, 3
	v_cndmask_b32_e32 v36, v36, v12, vcc
	s_cselect_b64 vcc, -1, 0
	s_cmp_eq_u32 s13, 4
	v_cndmask_b32_e32 v36, v36, v13, vcc
	s_cselect_b64 vcc, -1, 0
	s_cmp_eq_u32 s13, 5
	v_cndmask_b32_e32 v36, v36, v14, vcc
	s_cselect_b64 vcc, -1, 0
	s_cmp_eq_u32 s13, 6
	v_cndmask_b32_e32 v36, v36, v15, vcc
	s_cselect_b64 vcc, -1, 0
	s_cmp_eq_u32 s13, 7
	v_cndmask_b32_e32 v36, v36, v16, vcc
	s_cselect_b64 vcc, -1, 0
	s_add_i32 s13, s8, -3
	s_cmp_eq_u32 s13, 1
	v_cndmask_b32_e32 v36, v36, v17, vcc
	s_cselect_b64 vcc, -1, 0
	s_cmp_eq_u32 s13, 2
	v_fmac_f32_e32 v38, v36, v43
	;; [unrolled: 47-line block ×3, first 2 shown]
	v_cndmask_b32_e32 v36, v10, v11, vcc
	s_cselect_b64 vcc, -1, 0
	s_cmp_eq_u32 s13, 3
	v_cndmask_b32_e32 v36, v36, v12, vcc
	s_cselect_b64 vcc, -1, 0
	s_cmp_eq_u32 s13, 4
	;; [unrolled: 3-line block ×7, first 2 shown]
	s_waitcnt lgkmcnt(0)
	v_fmac_f32_e32 v38, v36, v46
	v_cndmask_b32_e32 v36, v10, v11, vcc
	s_cselect_b64 vcc, -1, 0
	s_cmp_eq_u32 s8, 3
	v_cndmask_b32_e32 v36, v36, v12, vcc
	s_cselect_b64 vcc, -1, 0
	s_cmp_eq_u32 s8, 4
	;; [unrolled: 3-line block ×5, first 2 shown]
	v_cndmask_b32_e32 v36, v36, v16, vcc
	s_cselect_b64 vcc, -1, 0
	v_cndmask_b32_e32 v36, v36, v17, vcc
	s_add_u32 s8, s8, 8
	v_fmac_f32_e32 v38, v36, v47
	v_add_u32_e32 v36, s8, v34
	s_addc_u32 s9, s9, 0
	s_add_i32 s12, s12, 32
	s_add_i32 s13, s8, -7
	v_cmp_eq_u32_e32 vcc, 12, v36
	s_or_b64 s[10:11], vcc, s[10:11]
	v_mov_b32_e32 v36, s13
	s_andn2_b64 exec, exec, s[10:11]
	s_cbranch_execnz .LBB7_25
; %bb.26:
	s_or_b64 exec, exec, s[10:11]
.LBB7_27:
	s_or_b64 exec, exec, s[2:3]
	v_and_b32_e32 v34, 7, v35
	v_cmp_ne_u32_e32 vcc, 0, v34
	s_and_saveexec_b64 s[8:9], vcc
	s_cbranch_execz .LBB7_31
; %bb.28:
	v_lshl_add_u32 v39, v36, 2, 32
	v_mov_b32_e32 v35, 0
	s_mov_b64 s[10:11], 0
.LBB7_29:                               ; =>This Inner Loop Header: Depth=1
	v_cmp_eq_u32_e32 vcc, 1, v36
	v_cndmask_b32_e32 v40, v10, v11, vcc
	v_add_u32_e32 v34, -1, v34
	v_cmp_eq_u32_e32 vcc, 2, v36
	v_cndmask_b32_e32 v40, v40, v12, vcc
	v_cmp_eq_u32_e32 vcc, 0, v34
	v_cmp_eq_u32_e64 s[2:3], 3, v36
	ds_read_b32 v41, v39
	v_cndmask_b32_e64 v40, v40, v13, s[2:3]
	s_or_b64 s[10:11], vcc, s[10:11]
	v_cmp_eq_u32_e32 vcc, 4, v36
	v_cndmask_b32_e32 v40, v40, v14, vcc
	v_cmp_eq_u32_e32 vcc, 5, v36
	v_cndmask_b32_e32 v40, v40, v15, vcc
	;; [unrolled: 2-line block ×3, first 2 shown]
	v_cmp_eq_u32_e32 vcc, 7, v36
	v_add_co_u32_e64 v36, s[2:3], 1, v36
	v_cndmask_b32_e32 v40, v40, v17, vcc
	v_add_u32_e32 v39, 4, v39
	v_addc_co_u32_e64 v35, s[2:3], 0, v35, s[2:3]
	s_waitcnt lgkmcnt(0)
	v_fmac_f32_e32 v38, v40, v41
	s_andn2_b64 exec, exec, s[10:11]
	s_cbranch_execnz .LBB7_29
; %bb.30:
	s_or_b64 exec, exec, s[10:11]
.LBB7_31:
	s_or_b64 exec, exec, s[8:9]
.LBB7_32:
	s_or_b64 exec, exec, s[6:7]
	v_mov_b32_e32 v14, 0
	ds_read_b32 v14, v14 offset:16
	s_waitcnt lgkmcnt(0)
	v_mul_f32_e32 v14, v38, v14
.LBB7_33:
	s_or_b64 exec, exec, s[4:5]
	v_cmp_lt_u32_e64 s[2:3], 3, v0
	ds_write_b32 v37, v13
	s_waitcnt lgkmcnt(0)
	; wave barrier
	s_waitcnt lgkmcnt(0)
	s_and_saveexec_b64 s[4:5], s[2:3]
	s_cbranch_execz .LBB7_49
; %bb.34:
	s_andn2_b64 vcc, exec, s[18:19]
	s_cbranch_vccnz .LBB7_36
; %bb.35:
	v_cmp_eq_u32_e32 vcc, 1, v0
	v_cndmask_b32_e32 v34, v10, v11, vcc
	v_cmp_eq_u32_e32 vcc, 2, v0
	v_cndmask_b32_e32 v34, v34, v12, vcc
	;; [unrolled: 2-line block ×3, first 2 shown]
	v_cmp_eq_u32_e32 vcc, 4, v0
	ds_read_b32 v35, v37
	v_cndmask_b32_e32 v34, v34, v14, vcc
	v_cmp_eq_u32_e32 vcc, 5, v0
	v_cndmask_b32_e32 v34, v34, v15, vcc
	v_cmp_eq_u32_e32 vcc, 6, v0
	;; [unrolled: 2-line block ×3, first 2 shown]
	v_cndmask_b32_e32 v34, v34, v17, vcc
	s_waitcnt lgkmcnt(0)
	v_mul_f32_e32 v38, v34, v35
	s_cbranch_execz .LBB7_37
	s_branch .LBB7_38
.LBB7_36:
                                        ; implicit-def: $vgpr38
.LBB7_37:
	ds_read_b32 v38, v37
.LBB7_38:
	s_and_saveexec_b64 s[6:7], s[0:1]
	s_cbranch_execz .LBB7_48
; %bb.39:
	v_add_u32_e32 v34, -5, v0
	v_add_u32_e32 v35, -4, v0
	v_cmp_lt_u32_e32 vcc, 6, v34
	v_mov_b32_e32 v36, 4
	s_and_saveexec_b64 s[0:1], vcc
	s_cbranch_execz .LBB7_43
; %bb.40:
	v_and_b32_e32 v34, -8, v35
	v_sub_u32_e32 v34, 0, v34
	s_mov_b64 s[8:9], 5
	s_mov_b32 s12, 48
	s_mov_b64 s[10:11], 0
.LBB7_41:                               ; =>This Inner Loop Header: Depth=1
	s_add_i32 s13, s8, -1
	s_cmp_eq_u32 s13, 1
	v_mov_b32_e32 v36, s12
	s_cselect_b64 vcc, -1, 0
	s_cmp_eq_u32 s13, 2
	ds_read_b128 v[40:43], v36
	ds_read_b128 v[44:47], v36 offset:16
	v_cndmask_b32_e32 v36, v10, v11, vcc
	s_cselect_b64 vcc, -1, 0
	s_cmp_eq_u32 s13, 3
	v_cndmask_b32_e32 v36, v36, v12, vcc
	s_cselect_b64 vcc, -1, 0
	s_cmp_eq_u32 s13, 4
	;; [unrolled: 3-line block ×7, first 2 shown]
	s_waitcnt lgkmcnt(1)
	v_fmac_f32_e32 v38, v36, v40
	v_cndmask_b32_e32 v36, v10, v11, vcc
	s_cselect_b64 vcc, -1, 0
	s_cmp_eq_u32 s8, 3
	v_cndmask_b32_e32 v36, v36, v12, vcc
	s_cselect_b64 vcc, -1, 0
	s_cmp_eq_u32 s8, 4
	v_cndmask_b32_e32 v36, v36, v13, vcc
	s_cselect_b64 vcc, -1, 0
	s_cmp_eq_u32 s8, 5
	v_cndmask_b32_e32 v36, v36, v14, vcc
	s_cselect_b64 vcc, -1, 0
	s_cmp_eq_u32 s8, 6
	v_cndmask_b32_e32 v36, v36, v15, vcc
	s_cselect_b64 vcc, -1, 0
	s_cmp_eq_u32 s8, 7
	v_cndmask_b32_e32 v36, v36, v16, vcc
	s_cselect_b64 vcc, -1, 0
	s_add_i32 s13, s8, 1
	s_cmp_eq_u32 s13, 1
	v_cndmask_b32_e32 v36, v36, v17, vcc
	s_cselect_b64 vcc, -1, 0
	s_cmp_eq_u32 s13, 2
	v_fmac_f32_e32 v38, v36, v41
	v_cndmask_b32_e32 v36, v10, v11, vcc
	s_cselect_b64 vcc, -1, 0
	s_cmp_eq_u32 s13, 3
	v_cndmask_b32_e32 v36, v36, v12, vcc
	s_cselect_b64 vcc, -1, 0
	s_cmp_eq_u32 s13, 4
	v_cndmask_b32_e32 v36, v36, v13, vcc
	s_cselect_b64 vcc, -1, 0
	s_cmp_eq_u32 s13, 5
	v_cndmask_b32_e32 v36, v36, v14, vcc
	s_cselect_b64 vcc, -1, 0
	s_cmp_eq_u32 s13, 6
	v_cndmask_b32_e32 v36, v36, v15, vcc
	s_cselect_b64 vcc, -1, 0
	s_cmp_eq_u32 s13, 7
	v_cndmask_b32_e32 v36, v36, v16, vcc
	s_cselect_b64 vcc, -1, 0
	s_add_i32 s13, s8, 2
	s_cmp_eq_u32 s13, 1
	v_cndmask_b32_e32 v36, v36, v17, vcc
	s_cselect_b64 vcc, -1, 0
	s_cmp_eq_u32 s13, 2
	;; [unrolled: 23-line block ×4, first 2 shown]
	s_waitcnt lgkmcnt(0)
	v_fmac_f32_e32 v38, v36, v44
	v_cndmask_b32_e32 v36, v10, v11, vcc
	s_cselect_b64 vcc, -1, 0
	s_cmp_eq_u32 s13, 3
	v_cndmask_b32_e32 v36, v36, v12, vcc
	s_cselect_b64 vcc, -1, 0
	s_cmp_eq_u32 s13, 4
	;; [unrolled: 3-line block ×5, first 2 shown]
	v_cndmask_b32_e32 v36, v36, v16, vcc
	s_cselect_b64 vcc, -1, 0
	s_add_i32 s13, s8, 5
	s_cmp_eq_u32 s13, 1
	v_cndmask_b32_e32 v36, v36, v17, vcc
	s_cselect_b64 vcc, -1, 0
	s_cmp_eq_u32 s13, 2
	v_fmac_f32_e32 v38, v36, v45
	v_cndmask_b32_e32 v36, v10, v11, vcc
	s_cselect_b64 vcc, -1, 0
	s_cmp_eq_u32 s13, 3
	v_cndmask_b32_e32 v36, v36, v12, vcc
	s_cselect_b64 vcc, -1, 0
	s_cmp_eq_u32 s13, 4
	;; [unrolled: 3-line block ×5, first 2 shown]
	v_cndmask_b32_e32 v36, v36, v16, vcc
	s_cselect_b64 vcc, -1, 0
	s_add_i32 s13, s8, 6
	s_cmp_eq_u32 s13, 1
	v_cndmask_b32_e32 v36, v36, v17, vcc
	s_cselect_b64 vcc, -1, 0
	s_cmp_eq_u32 s13, 2
	v_fmac_f32_e32 v38, v36, v46
	v_cndmask_b32_e32 v36, v10, v11, vcc
	s_cselect_b64 vcc, -1, 0
	s_cmp_eq_u32 s13, 3
	v_cndmask_b32_e32 v36, v36, v12, vcc
	s_cselect_b64 vcc, -1, 0
	s_cmp_eq_u32 s13, 4
	;; [unrolled: 3-line block ×5, first 2 shown]
	v_cndmask_b32_e32 v36, v36, v16, vcc
	s_cselect_b64 vcc, -1, 0
	v_cndmask_b32_e32 v36, v36, v17, vcc
	s_add_u32 s8, s8, 8
	v_fmac_f32_e32 v38, v36, v47
	v_add_u32_e32 v36, s8, v34
	s_addc_u32 s9, s9, 0
	s_add_i32 s12, s12, 32
	s_add_i32 s13, s8, -1
	v_cmp_eq_u32_e32 vcc, 5, v36
	s_or_b64 s[10:11], vcc, s[10:11]
	v_mov_b32_e32 v36, s13
	s_andn2_b64 exec, exec, s[10:11]
	s_cbranch_execnz .LBB7_41
; %bb.42:
	s_or_b64 exec, exec, s[10:11]
.LBB7_43:
	s_or_b64 exec, exec, s[0:1]
	v_and_b32_e32 v34, 7, v35
	v_cmp_ne_u32_e32 vcc, 0, v34
	s_and_saveexec_b64 s[8:9], vcc
	s_cbranch_execz .LBB7_47
; %bb.44:
	v_lshl_add_u32 v39, v36, 2, 32
	v_mov_b32_e32 v35, 0
	s_mov_b64 s[10:11], 0
.LBB7_45:                               ; =>This Inner Loop Header: Depth=1
	v_cmp_eq_u32_e32 vcc, 1, v36
	v_cndmask_b32_e32 v40, v10, v11, vcc
	v_add_u32_e32 v34, -1, v34
	v_cmp_eq_u32_e32 vcc, 2, v36
	v_cndmask_b32_e32 v40, v40, v12, vcc
	v_cmp_eq_u32_e32 vcc, 0, v34
	v_cmp_eq_u32_e64 s[0:1], 3, v36
	ds_read_b32 v41, v39
	v_cndmask_b32_e64 v40, v40, v13, s[0:1]
	s_or_b64 s[10:11], vcc, s[10:11]
	v_cmp_eq_u32_e32 vcc, 4, v36
	v_cndmask_b32_e32 v40, v40, v14, vcc
	v_cmp_eq_u32_e32 vcc, 5, v36
	v_cndmask_b32_e32 v40, v40, v15, vcc
	;; [unrolled: 2-line block ×3, first 2 shown]
	v_cmp_eq_u32_e32 vcc, 7, v36
	v_add_co_u32_e64 v36, s[0:1], 1, v36
	v_cndmask_b32_e32 v40, v40, v17, vcc
	v_add_u32_e32 v39, 4, v39
	v_addc_co_u32_e64 v35, s[0:1], 0, v35, s[0:1]
	s_waitcnt lgkmcnt(0)
	v_fmac_f32_e32 v38, v40, v41
	s_andn2_b64 exec, exec, s[10:11]
	s_cbranch_execnz .LBB7_45
; %bb.46:
	s_or_b64 exec, exec, s[10:11]
.LBB7_47:
	s_or_b64 exec, exec, s[8:9]
.LBB7_48:
	s_or_b64 exec, exec, s[6:7]
	v_mov_b32_e32 v13, 0
	ds_read_b32 v13, v13 offset:12
	s_waitcnt lgkmcnt(0)
	v_mul_f32_e32 v13, v38, v13
.LBB7_49:
	s_or_b64 exec, exec, s[4:5]
	v_cmp_lt_u32_e64 s[0:1], 2, v0
	ds_write_b32 v37, v12
	s_waitcnt lgkmcnt(0)
	; wave barrier
	s_waitcnt lgkmcnt(0)
	s_and_saveexec_b64 s[4:5], s[0:1]
	s_cbranch_execz .LBB7_65
; %bb.50:
	s_andn2_b64 vcc, exec, s[18:19]
	s_cbranch_vccnz .LBB7_52
; %bb.51:
	v_cmp_eq_u32_e32 vcc, 1, v0
	v_cndmask_b32_e32 v34, v10, v11, vcc
	v_cmp_eq_u32_e32 vcc, 2, v0
	v_cndmask_b32_e32 v34, v34, v12, vcc
	;; [unrolled: 2-line block ×3, first 2 shown]
	v_cmp_eq_u32_e32 vcc, 4, v0
	ds_read_b32 v35, v37
	v_cndmask_b32_e32 v34, v34, v14, vcc
	v_cmp_eq_u32_e32 vcc, 5, v0
	v_cndmask_b32_e32 v34, v34, v15, vcc
	v_cmp_eq_u32_e32 vcc, 6, v0
	;; [unrolled: 2-line block ×3, first 2 shown]
	v_cndmask_b32_e32 v34, v34, v17, vcc
	s_waitcnt lgkmcnt(0)
	v_mul_f32_e32 v38, v34, v35
	s_cbranch_execz .LBB7_53
	s_branch .LBB7_54
.LBB7_52:
                                        ; implicit-def: $vgpr38
.LBB7_53:
	ds_read_b32 v38, v37
.LBB7_54:
	s_and_saveexec_b64 s[6:7], s[2:3]
	s_cbranch_execz .LBB7_64
; %bb.55:
	v_add_u32_e32 v34, -4, v0
	v_add_u32_e32 v35, -3, v0
	v_cmp_lt_u32_e32 vcc, 6, v34
	v_mov_b32_e32 v36, 3
	s_and_saveexec_b64 s[2:3], vcc
	s_cbranch_execz .LBB7_59
; %bb.56:
	v_and_b32_e32 v34, -8, v35
	v_sub_u32_e32 v34, 0, v34
	s_mov_b64 s[8:9], 10
	s_mov_b32 s12, 44
	s_mov_b64 s[10:11], 0
.LBB7_57:                               ; =>This Inner Loop Header: Depth=1
	s_add_i32 s13, s8, -7
	s_cmp_eq_u32 s13, 1
	v_mov_b32_e32 v36, s12
	s_cselect_b64 vcc, -1, 0
	s_cmp_eq_u32 s13, 2
	ds_read2_b32 v[40:41], v36 offset1:1
	ds_read2_b32 v[42:43], v36 offset0:2 offset1:3
	ds_read2_b32 v[44:45], v36 offset0:4 offset1:5
	;; [unrolled: 1-line block ×3, first 2 shown]
	v_cndmask_b32_e32 v36, v10, v11, vcc
	s_cselect_b64 vcc, -1, 0
	s_cmp_eq_u32 s13, 3
	v_cndmask_b32_e32 v36, v36, v12, vcc
	s_cselect_b64 vcc, -1, 0
	s_cmp_eq_u32 s13, 4
	v_cndmask_b32_e32 v36, v36, v13, vcc
	s_cselect_b64 vcc, -1, 0
	s_cmp_eq_u32 s13, 5
	v_cndmask_b32_e32 v36, v36, v14, vcc
	s_cselect_b64 vcc, -1, 0
	s_cmp_eq_u32 s13, 6
	v_cndmask_b32_e32 v36, v36, v15, vcc
	s_cselect_b64 vcc, -1, 0
	s_cmp_eq_u32 s13, 7
	v_cndmask_b32_e32 v36, v36, v16, vcc
	s_cselect_b64 vcc, -1, 0
	s_add_i32 s13, s8, -6
	s_cmp_eq_u32 s13, 1
	v_cndmask_b32_e32 v36, v36, v17, vcc
	s_cselect_b64 vcc, -1, 0
	s_cmp_eq_u32 s13, 2
	s_waitcnt lgkmcnt(3)
	v_fmac_f32_e32 v38, v36, v40
	v_cndmask_b32_e32 v36, v10, v11, vcc
	s_cselect_b64 vcc, -1, 0
	s_cmp_eq_u32 s13, 3
	v_cndmask_b32_e32 v36, v36, v12, vcc
	s_cselect_b64 vcc, -1, 0
	s_cmp_eq_u32 s13, 4
	v_cndmask_b32_e32 v36, v36, v13, vcc
	s_cselect_b64 vcc, -1, 0
	s_cmp_eq_u32 s13, 5
	v_cndmask_b32_e32 v36, v36, v14, vcc
	s_cselect_b64 vcc, -1, 0
	s_cmp_eq_u32 s13, 6
	v_cndmask_b32_e32 v36, v36, v15, vcc
	s_cselect_b64 vcc, -1, 0
	s_cmp_eq_u32 s13, 7
	v_cndmask_b32_e32 v36, v36, v16, vcc
	s_cselect_b64 vcc, -1, 0
	s_add_i32 s13, s8, -5
	s_cmp_eq_u32 s13, 1
	v_cndmask_b32_e32 v36, v36, v17, vcc
	s_cselect_b64 vcc, -1, 0
	s_cmp_eq_u32 s13, 2
	v_fmac_f32_e32 v38, v36, v41
	v_cndmask_b32_e32 v36, v10, v11, vcc
	s_cselect_b64 vcc, -1, 0
	s_cmp_eq_u32 s13, 3
	v_cndmask_b32_e32 v36, v36, v12, vcc
	s_cselect_b64 vcc, -1, 0
	s_cmp_eq_u32 s13, 4
	v_cndmask_b32_e32 v36, v36, v13, vcc
	s_cselect_b64 vcc, -1, 0
	s_cmp_eq_u32 s13, 5
	v_cndmask_b32_e32 v36, v36, v14, vcc
	s_cselect_b64 vcc, -1, 0
	s_cmp_eq_u32 s13, 6
	v_cndmask_b32_e32 v36, v36, v15, vcc
	s_cselect_b64 vcc, -1, 0
	s_cmp_eq_u32 s13, 7
	v_cndmask_b32_e32 v36, v36, v16, vcc
	s_cselect_b64 vcc, -1, 0
	s_add_i32 s13, s8, -4
	s_cmp_eq_u32 s13, 1
	v_cndmask_b32_e32 v36, v36, v17, vcc
	s_cselect_b64 vcc, -1, 0
	s_cmp_eq_u32 s13, 2
	s_waitcnt lgkmcnt(2)
	v_fmac_f32_e32 v38, v36, v42
	v_cndmask_b32_e32 v36, v10, v11, vcc
	s_cselect_b64 vcc, -1, 0
	s_cmp_eq_u32 s13, 3
	v_cndmask_b32_e32 v36, v36, v12, vcc
	s_cselect_b64 vcc, -1, 0
	s_cmp_eq_u32 s13, 4
	v_cndmask_b32_e32 v36, v36, v13, vcc
	s_cselect_b64 vcc, -1, 0
	s_cmp_eq_u32 s13, 5
	v_cndmask_b32_e32 v36, v36, v14, vcc
	s_cselect_b64 vcc, -1, 0
	s_cmp_eq_u32 s13, 6
	v_cndmask_b32_e32 v36, v36, v15, vcc
	s_cselect_b64 vcc, -1, 0
	s_cmp_eq_u32 s13, 7
	v_cndmask_b32_e32 v36, v36, v16, vcc
	s_cselect_b64 vcc, -1, 0
	s_add_i32 s13, s8, -3
	s_cmp_eq_u32 s13, 1
	v_cndmask_b32_e32 v36, v36, v17, vcc
	s_cselect_b64 vcc, -1, 0
	s_cmp_eq_u32 s13, 2
	v_fmac_f32_e32 v38, v36, v43
	v_cndmask_b32_e32 v36, v10, v11, vcc
	s_cselect_b64 vcc, -1, 0
	s_cmp_eq_u32 s13, 3
	v_cndmask_b32_e32 v36, v36, v12, vcc
	s_cselect_b64 vcc, -1, 0
	s_cmp_eq_u32 s13, 4
	v_cndmask_b32_e32 v36, v36, v13, vcc
	s_cselect_b64 vcc, -1, 0
	s_cmp_eq_u32 s13, 5
	v_cndmask_b32_e32 v36, v36, v14, vcc
	s_cselect_b64 vcc, -1, 0
	s_cmp_eq_u32 s13, 6
	v_cndmask_b32_e32 v36, v36, v15, vcc
	s_cselect_b64 vcc, -1, 0
	s_cmp_eq_u32 s13, 7
	v_cndmask_b32_e32 v36, v36, v16, vcc
	s_cselect_b64 vcc, -1, 0
	s_add_i32 s13, s8, -2
	s_cmp_eq_u32 s13, 1
	v_cndmask_b32_e32 v36, v36, v17, vcc
	s_cselect_b64 vcc, -1, 0
	s_cmp_eq_u32 s13, 2
	s_waitcnt lgkmcnt(1)
	v_fmac_f32_e32 v38, v36, v44
	v_cndmask_b32_e32 v36, v10, v11, vcc
	s_cselect_b64 vcc, -1, 0
	s_cmp_eq_u32 s13, 3
	v_cndmask_b32_e32 v36, v36, v12, vcc
	s_cselect_b64 vcc, -1, 0
	s_cmp_eq_u32 s13, 4
	v_cndmask_b32_e32 v36, v36, v13, vcc
	s_cselect_b64 vcc, -1, 0
	s_cmp_eq_u32 s13, 5
	v_cndmask_b32_e32 v36, v36, v14, vcc
	s_cselect_b64 vcc, -1, 0
	s_cmp_eq_u32 s13, 6
	v_cndmask_b32_e32 v36, v36, v15, vcc
	s_cselect_b64 vcc, -1, 0
	s_cmp_eq_u32 s13, 7
	v_cndmask_b32_e32 v36, v36, v16, vcc
	s_cselect_b64 vcc, -1, 0
	s_add_i32 s13, s8, -1
	s_cmp_eq_u32 s13, 1
	v_cndmask_b32_e32 v36, v36, v17, vcc
	s_cselect_b64 vcc, -1, 0
	s_cmp_eq_u32 s13, 2
	v_fmac_f32_e32 v38, v36, v45
	v_cndmask_b32_e32 v36, v10, v11, vcc
	s_cselect_b64 vcc, -1, 0
	s_cmp_eq_u32 s13, 3
	v_cndmask_b32_e32 v36, v36, v12, vcc
	s_cselect_b64 vcc, -1, 0
	s_cmp_eq_u32 s13, 4
	v_cndmask_b32_e32 v36, v36, v13, vcc
	s_cselect_b64 vcc, -1, 0
	s_cmp_eq_u32 s13, 5
	v_cndmask_b32_e32 v36, v36, v14, vcc
	s_cselect_b64 vcc, -1, 0
	s_cmp_eq_u32 s13, 6
	v_cndmask_b32_e32 v36, v36, v15, vcc
	s_cselect_b64 vcc, -1, 0
	s_cmp_eq_u32 s13, 7
	v_cndmask_b32_e32 v36, v36, v16, vcc
	s_cselect_b64 vcc, -1, 0
	s_cmp_eq_u32 s8, 1
	v_cndmask_b32_e32 v36, v36, v17, vcc
	s_cselect_b64 vcc, -1, 0
	s_cmp_eq_u32 s8, 2
	s_waitcnt lgkmcnt(0)
	v_fmac_f32_e32 v38, v36, v46
	v_cndmask_b32_e32 v36, v10, v11, vcc
	s_cselect_b64 vcc, -1, 0
	s_cmp_eq_u32 s8, 3
	v_cndmask_b32_e32 v36, v36, v12, vcc
	s_cselect_b64 vcc, -1, 0
	s_cmp_eq_u32 s8, 4
	;; [unrolled: 3-line block ×5, first 2 shown]
	v_cndmask_b32_e32 v36, v36, v16, vcc
	s_cselect_b64 vcc, -1, 0
	v_cndmask_b32_e32 v36, v36, v17, vcc
	s_add_u32 s8, s8, 8
	v_fmac_f32_e32 v38, v36, v47
	v_add_u32_e32 v36, s8, v34
	s_addc_u32 s9, s9, 0
	s_add_i32 s12, s12, 32
	s_add_i32 s13, s8, -7
	v_cmp_eq_u32_e32 vcc, 10, v36
	s_or_b64 s[10:11], vcc, s[10:11]
	v_mov_b32_e32 v36, s13
	s_andn2_b64 exec, exec, s[10:11]
	s_cbranch_execnz .LBB7_57
; %bb.58:
	s_or_b64 exec, exec, s[10:11]
.LBB7_59:
	s_or_b64 exec, exec, s[2:3]
	v_and_b32_e32 v34, 7, v35
	v_cmp_ne_u32_e32 vcc, 0, v34
	s_and_saveexec_b64 s[8:9], vcc
	s_cbranch_execz .LBB7_63
; %bb.60:
	v_lshl_add_u32 v39, v36, 2, 32
	v_mov_b32_e32 v35, 0
	s_mov_b64 s[10:11], 0
.LBB7_61:                               ; =>This Inner Loop Header: Depth=1
	v_cmp_eq_u32_e32 vcc, 1, v36
	v_cndmask_b32_e32 v40, v10, v11, vcc
	v_add_u32_e32 v34, -1, v34
	v_cmp_eq_u32_e32 vcc, 2, v36
	v_cndmask_b32_e32 v40, v40, v12, vcc
	v_cmp_eq_u32_e32 vcc, 0, v34
	v_cmp_eq_u32_e64 s[2:3], 3, v36
	ds_read_b32 v41, v39
	v_cndmask_b32_e64 v40, v40, v13, s[2:3]
	s_or_b64 s[10:11], vcc, s[10:11]
	v_cmp_eq_u32_e32 vcc, 4, v36
	v_cndmask_b32_e32 v40, v40, v14, vcc
	v_cmp_eq_u32_e32 vcc, 5, v36
	v_cndmask_b32_e32 v40, v40, v15, vcc
	;; [unrolled: 2-line block ×3, first 2 shown]
	v_cmp_eq_u32_e32 vcc, 7, v36
	v_add_co_u32_e64 v36, s[2:3], 1, v36
	v_cndmask_b32_e32 v40, v40, v17, vcc
	v_add_u32_e32 v39, 4, v39
	v_addc_co_u32_e64 v35, s[2:3], 0, v35, s[2:3]
	s_waitcnt lgkmcnt(0)
	v_fmac_f32_e32 v38, v40, v41
	s_andn2_b64 exec, exec, s[10:11]
	s_cbranch_execnz .LBB7_61
; %bb.62:
	s_or_b64 exec, exec, s[10:11]
.LBB7_63:
	s_or_b64 exec, exec, s[8:9]
.LBB7_64:
	s_or_b64 exec, exec, s[6:7]
	v_mov_b32_e32 v12, 0
	ds_read_b32 v12, v12 offset:8
	s_waitcnt lgkmcnt(0)
	v_mul_f32_e32 v12, v38, v12
.LBB7_65:
	s_or_b64 exec, exec, s[4:5]
	v_cmp_lt_u32_e64 s[2:3], 1, v0
	ds_write_b32 v37, v11
	s_waitcnt lgkmcnt(0)
	; wave barrier
	s_waitcnt lgkmcnt(0)
	s_and_saveexec_b64 s[4:5], s[2:3]
	s_cbranch_execz .LBB7_81
; %bb.66:
	s_andn2_b64 vcc, exec, s[18:19]
	s_cbranch_vccnz .LBB7_68
; %bb.67:
	v_cmp_eq_u32_e32 vcc, 1, v0
	v_cndmask_b32_e32 v34, v10, v11, vcc
	v_cmp_eq_u32_e32 vcc, 2, v0
	v_cndmask_b32_e32 v34, v34, v12, vcc
	;; [unrolled: 2-line block ×3, first 2 shown]
	v_cmp_eq_u32_e32 vcc, 4, v0
	ds_read_b32 v35, v37
	v_cndmask_b32_e32 v34, v34, v14, vcc
	v_cmp_eq_u32_e32 vcc, 5, v0
	v_cndmask_b32_e32 v34, v34, v15, vcc
	v_cmp_eq_u32_e32 vcc, 6, v0
	;; [unrolled: 2-line block ×3, first 2 shown]
	v_cndmask_b32_e32 v34, v34, v17, vcc
	s_waitcnt lgkmcnt(0)
	v_mul_f32_e32 v38, v34, v35
	s_cbranch_execz .LBB7_69
	s_branch .LBB7_70
.LBB7_68:
                                        ; implicit-def: $vgpr38
.LBB7_69:
	ds_read_b32 v38, v37
.LBB7_70:
	s_and_saveexec_b64 s[6:7], s[0:1]
	s_cbranch_execz .LBB7_80
; %bb.71:
	v_add_u32_e32 v34, -3, v0
	v_add_u32_e32 v35, -2, v0
	v_cmp_lt_u32_e32 vcc, 6, v34
	v_mov_b32_e32 v36, 2
	s_and_saveexec_b64 s[0:1], vcc
	s_cbranch_execz .LBB7_75
; %bb.72:
	v_and_b32_e32 v34, -8, v35
	v_sub_u32_e32 v34, 0, v34
	s_mov_b64 s[8:9], 9
	s_mov_b32 s12, 40
	s_mov_b64 s[10:11], 0
.LBB7_73:                               ; =>This Inner Loop Header: Depth=1
	s_add_i32 s13, s8, -7
	s_cmp_eq_u32 s13, 1
	v_mov_b32_e32 v36, s12
	s_cselect_b64 vcc, -1, 0
	s_cmp_eq_u32 s13, 2
	ds_read2_b64 v[40:43], v36 offset1:1
	ds_read2_b64 v[44:47], v36 offset0:2 offset1:3
	v_cndmask_b32_e32 v36, v10, v11, vcc
	s_cselect_b64 vcc, -1, 0
	s_cmp_eq_u32 s13, 3
	v_cndmask_b32_e32 v36, v36, v12, vcc
	s_cselect_b64 vcc, -1, 0
	s_cmp_eq_u32 s13, 4
	v_cndmask_b32_e32 v36, v36, v13, vcc
	s_cselect_b64 vcc, -1, 0
	s_cmp_eq_u32 s13, 5
	v_cndmask_b32_e32 v36, v36, v14, vcc
	s_cselect_b64 vcc, -1, 0
	s_cmp_eq_u32 s13, 6
	v_cndmask_b32_e32 v36, v36, v15, vcc
	s_cselect_b64 vcc, -1, 0
	s_cmp_eq_u32 s13, 7
	v_cndmask_b32_e32 v36, v36, v16, vcc
	s_cselect_b64 vcc, -1, 0
	s_add_i32 s13, s8, -6
	s_cmp_eq_u32 s13, 1
	v_cndmask_b32_e32 v36, v36, v17, vcc
	s_cselect_b64 vcc, -1, 0
	s_cmp_eq_u32 s13, 2
	s_waitcnt lgkmcnt(1)
	v_fmac_f32_e32 v38, v36, v40
	v_cndmask_b32_e32 v36, v10, v11, vcc
	s_cselect_b64 vcc, -1, 0
	s_cmp_eq_u32 s13, 3
	v_cndmask_b32_e32 v36, v36, v12, vcc
	s_cselect_b64 vcc, -1, 0
	s_cmp_eq_u32 s13, 4
	v_cndmask_b32_e32 v36, v36, v13, vcc
	s_cselect_b64 vcc, -1, 0
	s_cmp_eq_u32 s13, 5
	v_cndmask_b32_e32 v36, v36, v14, vcc
	s_cselect_b64 vcc, -1, 0
	s_cmp_eq_u32 s13, 6
	v_cndmask_b32_e32 v36, v36, v15, vcc
	s_cselect_b64 vcc, -1, 0
	s_cmp_eq_u32 s13, 7
	v_cndmask_b32_e32 v36, v36, v16, vcc
	s_cselect_b64 vcc, -1, 0
	s_add_i32 s13, s8, -5
	s_cmp_eq_u32 s13, 1
	v_cndmask_b32_e32 v36, v36, v17, vcc
	s_cselect_b64 vcc, -1, 0
	s_cmp_eq_u32 s13, 2
	v_fmac_f32_e32 v38, v36, v41
	v_cndmask_b32_e32 v36, v10, v11, vcc
	s_cselect_b64 vcc, -1, 0
	s_cmp_eq_u32 s13, 3
	v_cndmask_b32_e32 v36, v36, v12, vcc
	s_cselect_b64 vcc, -1, 0
	s_cmp_eq_u32 s13, 4
	v_cndmask_b32_e32 v36, v36, v13, vcc
	s_cselect_b64 vcc, -1, 0
	s_cmp_eq_u32 s13, 5
	v_cndmask_b32_e32 v36, v36, v14, vcc
	s_cselect_b64 vcc, -1, 0
	s_cmp_eq_u32 s13, 6
	v_cndmask_b32_e32 v36, v36, v15, vcc
	s_cselect_b64 vcc, -1, 0
	s_cmp_eq_u32 s13, 7
	v_cndmask_b32_e32 v36, v36, v16, vcc
	s_cselect_b64 vcc, -1, 0
	s_add_i32 s13, s8, -4
	s_cmp_eq_u32 s13, 1
	v_cndmask_b32_e32 v36, v36, v17, vcc
	s_cselect_b64 vcc, -1, 0
	s_cmp_eq_u32 s13, 2
	;; [unrolled: 23-line block ×4, first 2 shown]
	s_waitcnt lgkmcnt(0)
	v_fmac_f32_e32 v38, v36, v44
	v_cndmask_b32_e32 v36, v10, v11, vcc
	s_cselect_b64 vcc, -1, 0
	s_cmp_eq_u32 s13, 3
	v_cndmask_b32_e32 v36, v36, v12, vcc
	s_cselect_b64 vcc, -1, 0
	s_cmp_eq_u32 s13, 4
	;; [unrolled: 3-line block ×5, first 2 shown]
	v_cndmask_b32_e32 v36, v36, v16, vcc
	s_cselect_b64 vcc, -1, 0
	s_add_i32 s13, s8, -1
	s_cmp_eq_u32 s13, 1
	v_cndmask_b32_e32 v36, v36, v17, vcc
	s_cselect_b64 vcc, -1, 0
	s_cmp_eq_u32 s13, 2
	v_fmac_f32_e32 v38, v36, v45
	v_cndmask_b32_e32 v36, v10, v11, vcc
	s_cselect_b64 vcc, -1, 0
	s_cmp_eq_u32 s13, 3
	v_cndmask_b32_e32 v36, v36, v12, vcc
	s_cselect_b64 vcc, -1, 0
	s_cmp_eq_u32 s13, 4
	;; [unrolled: 3-line block ×7, first 2 shown]
	v_fmac_f32_e32 v38, v36, v46
	v_cndmask_b32_e32 v36, v10, v11, vcc
	s_cselect_b64 vcc, -1, 0
	s_cmp_eq_u32 s8, 3
	v_cndmask_b32_e32 v36, v36, v12, vcc
	s_cselect_b64 vcc, -1, 0
	s_cmp_eq_u32 s8, 4
	;; [unrolled: 3-line block ×5, first 2 shown]
	v_cndmask_b32_e32 v36, v36, v16, vcc
	s_cselect_b64 vcc, -1, 0
	v_cndmask_b32_e32 v36, v36, v17, vcc
	s_add_u32 s8, s8, 8
	v_fmac_f32_e32 v38, v36, v47
	v_add_u32_e32 v36, s8, v34
	s_addc_u32 s9, s9, 0
	s_add_i32 s12, s12, 32
	s_add_i32 s13, s8, -7
	v_cmp_eq_u32_e32 vcc, 9, v36
	s_or_b64 s[10:11], vcc, s[10:11]
	v_mov_b32_e32 v36, s13
	s_andn2_b64 exec, exec, s[10:11]
	s_cbranch_execnz .LBB7_73
; %bb.74:
	s_or_b64 exec, exec, s[10:11]
.LBB7_75:
	s_or_b64 exec, exec, s[0:1]
	v_and_b32_e32 v34, 7, v35
	v_cmp_ne_u32_e32 vcc, 0, v34
	s_and_saveexec_b64 s[8:9], vcc
	s_cbranch_execz .LBB7_79
; %bb.76:
	v_lshl_add_u32 v39, v36, 2, 32
	v_mov_b32_e32 v35, 0
	s_mov_b64 s[10:11], 0
.LBB7_77:                               ; =>This Inner Loop Header: Depth=1
	v_cmp_eq_u32_e32 vcc, 1, v36
	v_cndmask_b32_e32 v40, v10, v11, vcc
	v_add_u32_e32 v34, -1, v34
	v_cmp_eq_u32_e32 vcc, 2, v36
	v_cndmask_b32_e32 v40, v40, v12, vcc
	v_cmp_eq_u32_e32 vcc, 0, v34
	v_cmp_eq_u32_e64 s[0:1], 3, v36
	ds_read_b32 v41, v39
	v_cndmask_b32_e64 v40, v40, v13, s[0:1]
	s_or_b64 s[10:11], vcc, s[10:11]
	v_cmp_eq_u32_e32 vcc, 4, v36
	v_cndmask_b32_e32 v40, v40, v14, vcc
	v_cmp_eq_u32_e32 vcc, 5, v36
	v_cndmask_b32_e32 v40, v40, v15, vcc
	;; [unrolled: 2-line block ×3, first 2 shown]
	v_cmp_eq_u32_e32 vcc, 7, v36
	v_add_co_u32_e64 v36, s[0:1], 1, v36
	v_cndmask_b32_e32 v40, v40, v17, vcc
	v_add_u32_e32 v39, 4, v39
	v_addc_co_u32_e64 v35, s[0:1], 0, v35, s[0:1]
	s_waitcnt lgkmcnt(0)
	v_fmac_f32_e32 v38, v40, v41
	s_andn2_b64 exec, exec, s[10:11]
	s_cbranch_execnz .LBB7_77
; %bb.78:
	s_or_b64 exec, exec, s[10:11]
.LBB7_79:
	s_or_b64 exec, exec, s[8:9]
.LBB7_80:
	s_or_b64 exec, exec, s[6:7]
	v_mov_b32_e32 v11, 0
	ds_read_b32 v11, v11 offset:4
	s_waitcnt lgkmcnt(0)
	v_mul_f32_e32 v11, v38, v11
.LBB7_81:
	s_or_b64 exec, exec, s[4:5]
	v_cmp_ne_u32_e32 vcc, 0, v0
	ds_write_b32 v37, v10
	s_waitcnt lgkmcnt(0)
	; wave barrier
	s_waitcnt lgkmcnt(0)
	s_and_saveexec_b64 s[4:5], vcc
	s_cbranch_execz .LBB7_97
; %bb.82:
	s_andn2_b64 vcc, exec, s[18:19]
	s_cbranch_vccnz .LBB7_84
; %bb.83:
	v_cmp_eq_u32_e32 vcc, 1, v0
	v_cndmask_b32_e32 v34, v10, v11, vcc
	v_cmp_eq_u32_e32 vcc, 2, v0
	v_cndmask_b32_e32 v34, v34, v12, vcc
	;; [unrolled: 2-line block ×3, first 2 shown]
	v_cmp_eq_u32_e32 vcc, 4, v0
	ds_read_b32 v35, v37
	v_cndmask_b32_e32 v34, v34, v14, vcc
	v_cmp_eq_u32_e32 vcc, 5, v0
	v_cndmask_b32_e32 v34, v34, v15, vcc
	v_cmp_eq_u32_e32 vcc, 6, v0
	;; [unrolled: 2-line block ×3, first 2 shown]
	v_cndmask_b32_e32 v34, v34, v17, vcc
	s_waitcnt lgkmcnt(0)
	v_mul_f32_e32 v38, v34, v35
	s_cbranch_execz .LBB7_85
	s_branch .LBB7_86
.LBB7_84:
                                        ; implicit-def: $vgpr38
.LBB7_85:
	ds_read_b32 v38, v37
.LBB7_86:
	s_and_saveexec_b64 s[6:7], s[2:3]
	s_cbranch_execz .LBB7_96
; %bb.87:
	v_add_u32_e32 v34, -2, v0
	v_add_u32_e32 v35, -1, v0
	v_cmp_lt_u32_e32 vcc, 6, v34
	v_mov_b32_e32 v36, 1
	s_and_saveexec_b64 s[0:1], vcc
	s_cbranch_execz .LBB7_91
; %bb.88:
	v_and_b32_e32 v34, -8, v35
	v_sub_u32_e32 v34, 0, v34
	s_mov_b64 s[2:3], 8
	s_mov_b32 s10, 36
	s_mov_b64 s[8:9], 0
.LBB7_89:                               ; =>This Inner Loop Header: Depth=1
	s_add_i32 s11, s2, -7
	s_cmp_eq_u32 s11, 1
	v_mov_b32_e32 v36, s10
	s_cselect_b64 vcc, -1, 0
	s_cmp_eq_u32 s11, 2
	ds_read2_b32 v[40:41], v36 offset1:1
	ds_read2_b32 v[42:43], v36 offset0:2 offset1:3
	ds_read2_b32 v[44:45], v36 offset0:4 offset1:5
	;; [unrolled: 1-line block ×3, first 2 shown]
	v_cndmask_b32_e32 v36, v10, v11, vcc
	s_cselect_b64 vcc, -1, 0
	s_cmp_eq_u32 s11, 3
	v_cndmask_b32_e32 v36, v36, v12, vcc
	s_cselect_b64 vcc, -1, 0
	s_cmp_eq_u32 s11, 4
	v_cndmask_b32_e32 v36, v36, v13, vcc
	s_cselect_b64 vcc, -1, 0
	s_cmp_eq_u32 s11, 5
	v_cndmask_b32_e32 v36, v36, v14, vcc
	s_cselect_b64 vcc, -1, 0
	s_cmp_eq_u32 s11, 6
	v_cndmask_b32_e32 v36, v36, v15, vcc
	s_cselect_b64 vcc, -1, 0
	s_cmp_eq_u32 s11, 7
	v_cndmask_b32_e32 v36, v36, v16, vcc
	s_cselect_b64 vcc, -1, 0
	s_add_i32 s11, s2, -6
	s_cmp_eq_u32 s11, 1
	v_cndmask_b32_e32 v36, v36, v17, vcc
	s_cselect_b64 vcc, -1, 0
	s_cmp_eq_u32 s11, 2
	s_waitcnt lgkmcnt(3)
	v_fmac_f32_e32 v38, v36, v40
	v_cndmask_b32_e32 v36, v10, v11, vcc
	s_cselect_b64 vcc, -1, 0
	s_cmp_eq_u32 s11, 3
	v_cndmask_b32_e32 v36, v36, v12, vcc
	s_cselect_b64 vcc, -1, 0
	s_cmp_eq_u32 s11, 4
	v_cndmask_b32_e32 v36, v36, v13, vcc
	s_cselect_b64 vcc, -1, 0
	s_cmp_eq_u32 s11, 5
	v_cndmask_b32_e32 v36, v36, v14, vcc
	s_cselect_b64 vcc, -1, 0
	s_cmp_eq_u32 s11, 6
	v_cndmask_b32_e32 v36, v36, v15, vcc
	s_cselect_b64 vcc, -1, 0
	s_cmp_eq_u32 s11, 7
	v_cndmask_b32_e32 v36, v36, v16, vcc
	s_cselect_b64 vcc, -1, 0
	s_add_i32 s11, s2, -5
	s_cmp_eq_u32 s11, 1
	v_cndmask_b32_e32 v36, v36, v17, vcc
	s_cselect_b64 vcc, -1, 0
	s_cmp_eq_u32 s11, 2
	v_fmac_f32_e32 v38, v36, v41
	v_cndmask_b32_e32 v36, v10, v11, vcc
	s_cselect_b64 vcc, -1, 0
	s_cmp_eq_u32 s11, 3
	v_cndmask_b32_e32 v36, v36, v12, vcc
	s_cselect_b64 vcc, -1, 0
	s_cmp_eq_u32 s11, 4
	v_cndmask_b32_e32 v36, v36, v13, vcc
	s_cselect_b64 vcc, -1, 0
	s_cmp_eq_u32 s11, 5
	v_cndmask_b32_e32 v36, v36, v14, vcc
	s_cselect_b64 vcc, -1, 0
	s_cmp_eq_u32 s11, 6
	v_cndmask_b32_e32 v36, v36, v15, vcc
	s_cselect_b64 vcc, -1, 0
	s_cmp_eq_u32 s11, 7
	v_cndmask_b32_e32 v36, v36, v16, vcc
	s_cselect_b64 vcc, -1, 0
	s_add_i32 s11, s2, -4
	s_cmp_eq_u32 s11, 1
	v_cndmask_b32_e32 v36, v36, v17, vcc
	s_cselect_b64 vcc, -1, 0
	s_cmp_eq_u32 s11, 2
	s_waitcnt lgkmcnt(2)
	v_fmac_f32_e32 v38, v36, v42
	v_cndmask_b32_e32 v36, v10, v11, vcc
	s_cselect_b64 vcc, -1, 0
	s_cmp_eq_u32 s11, 3
	v_cndmask_b32_e32 v36, v36, v12, vcc
	s_cselect_b64 vcc, -1, 0
	s_cmp_eq_u32 s11, 4
	v_cndmask_b32_e32 v36, v36, v13, vcc
	s_cselect_b64 vcc, -1, 0
	s_cmp_eq_u32 s11, 5
	v_cndmask_b32_e32 v36, v36, v14, vcc
	s_cselect_b64 vcc, -1, 0
	s_cmp_eq_u32 s11, 6
	v_cndmask_b32_e32 v36, v36, v15, vcc
	s_cselect_b64 vcc, -1, 0
	s_cmp_eq_u32 s11, 7
	v_cndmask_b32_e32 v36, v36, v16, vcc
	s_cselect_b64 vcc, -1, 0
	s_add_i32 s11, s2, -3
	s_cmp_eq_u32 s11, 1
	v_cndmask_b32_e32 v36, v36, v17, vcc
	s_cselect_b64 vcc, -1, 0
	s_cmp_eq_u32 s11, 2
	v_fmac_f32_e32 v38, v36, v43
	v_cndmask_b32_e32 v36, v10, v11, vcc
	s_cselect_b64 vcc, -1, 0
	s_cmp_eq_u32 s11, 3
	v_cndmask_b32_e32 v36, v36, v12, vcc
	s_cselect_b64 vcc, -1, 0
	s_cmp_eq_u32 s11, 4
	v_cndmask_b32_e32 v36, v36, v13, vcc
	s_cselect_b64 vcc, -1, 0
	s_cmp_eq_u32 s11, 5
	v_cndmask_b32_e32 v36, v36, v14, vcc
	s_cselect_b64 vcc, -1, 0
	s_cmp_eq_u32 s11, 6
	v_cndmask_b32_e32 v36, v36, v15, vcc
	s_cselect_b64 vcc, -1, 0
	s_cmp_eq_u32 s11, 7
	v_cndmask_b32_e32 v36, v36, v16, vcc
	s_cselect_b64 vcc, -1, 0
	s_add_i32 s11, s2, -2
	s_cmp_eq_u32 s11, 1
	v_cndmask_b32_e32 v36, v36, v17, vcc
	s_cselect_b64 vcc, -1, 0
	s_cmp_eq_u32 s11, 2
	s_waitcnt lgkmcnt(1)
	v_fmac_f32_e32 v38, v36, v44
	v_cndmask_b32_e32 v36, v10, v11, vcc
	s_cselect_b64 vcc, -1, 0
	s_cmp_eq_u32 s11, 3
	v_cndmask_b32_e32 v36, v36, v12, vcc
	s_cselect_b64 vcc, -1, 0
	s_cmp_eq_u32 s11, 4
	v_cndmask_b32_e32 v36, v36, v13, vcc
	s_cselect_b64 vcc, -1, 0
	s_cmp_eq_u32 s11, 5
	v_cndmask_b32_e32 v36, v36, v14, vcc
	s_cselect_b64 vcc, -1, 0
	s_cmp_eq_u32 s11, 6
	v_cndmask_b32_e32 v36, v36, v15, vcc
	s_cselect_b64 vcc, -1, 0
	s_cmp_eq_u32 s11, 7
	v_cndmask_b32_e32 v36, v36, v16, vcc
	s_cselect_b64 vcc, -1, 0
	s_add_i32 s11, s2, -1
	s_cmp_eq_u32 s11, 1
	v_cndmask_b32_e32 v36, v36, v17, vcc
	s_cselect_b64 vcc, -1, 0
	s_cmp_eq_u32 s11, 2
	v_fmac_f32_e32 v38, v36, v45
	v_cndmask_b32_e32 v36, v10, v11, vcc
	s_cselect_b64 vcc, -1, 0
	s_cmp_eq_u32 s11, 3
	v_cndmask_b32_e32 v36, v36, v12, vcc
	s_cselect_b64 vcc, -1, 0
	s_cmp_eq_u32 s11, 4
	;; [unrolled: 3-line block ×7, first 2 shown]
	s_waitcnt lgkmcnt(0)
	v_fmac_f32_e32 v38, v36, v46
	v_cndmask_b32_e32 v36, v10, v11, vcc
	s_cselect_b64 vcc, -1, 0
	s_cmp_eq_u32 s2, 3
	v_cndmask_b32_e32 v36, v36, v12, vcc
	s_cselect_b64 vcc, -1, 0
	s_cmp_eq_u32 s2, 4
	;; [unrolled: 3-line block ×5, first 2 shown]
	v_cndmask_b32_e32 v36, v36, v16, vcc
	s_cselect_b64 vcc, -1, 0
	v_cndmask_b32_e32 v36, v36, v17, vcc
	s_add_u32 s2, s2, 8
	v_fmac_f32_e32 v38, v36, v47
	v_add_u32_e32 v36, s2, v34
	s_addc_u32 s3, s3, 0
	s_add_i32 s10, s10, 32
	s_add_i32 s11, s2, -7
	v_cmp_eq_u32_e32 vcc, 8, v36
	s_or_b64 s[8:9], vcc, s[8:9]
	v_mov_b32_e32 v36, s11
	s_andn2_b64 exec, exec, s[8:9]
	s_cbranch_execnz .LBB7_89
; %bb.90:
	s_or_b64 exec, exec, s[8:9]
.LBB7_91:
	s_or_b64 exec, exec, s[0:1]
	v_and_b32_e32 v34, 7, v35
	v_cmp_ne_u32_e32 vcc, 0, v34
	s_and_saveexec_b64 s[2:3], vcc
	s_cbranch_execz .LBB7_95
; %bb.92:
	v_lshl_add_u32 v39, v36, 2, 32
	v_mov_b32_e32 v35, 0
	s_mov_b64 s[8:9], 0
.LBB7_93:                               ; =>This Inner Loop Header: Depth=1
	v_cmp_eq_u32_e32 vcc, 1, v36
	v_cndmask_b32_e32 v40, v10, v11, vcc
	v_add_u32_e32 v34, -1, v34
	v_cmp_eq_u32_e32 vcc, 2, v36
	v_cndmask_b32_e32 v40, v40, v12, vcc
	v_cmp_eq_u32_e32 vcc, 0, v34
	v_cmp_eq_u32_e64 s[0:1], 3, v36
	ds_read_b32 v41, v39
	v_cndmask_b32_e64 v40, v40, v13, s[0:1]
	s_or_b64 s[8:9], vcc, s[8:9]
	v_cmp_eq_u32_e32 vcc, 4, v36
	v_cndmask_b32_e32 v40, v40, v14, vcc
	v_cmp_eq_u32_e32 vcc, 5, v36
	v_cndmask_b32_e32 v40, v40, v15, vcc
	v_cmp_eq_u32_e32 vcc, 6, v36
	v_cndmask_b32_e32 v40, v40, v16, vcc
	v_cmp_eq_u32_e32 vcc, 7, v36
	v_add_co_u32_e64 v36, s[0:1], 1, v36
	v_cndmask_b32_e32 v40, v40, v17, vcc
	v_add_u32_e32 v39, 4, v39
	v_addc_co_u32_e64 v35, s[0:1], 0, v35, s[0:1]
	s_waitcnt lgkmcnt(0)
	v_fmac_f32_e32 v38, v40, v41
	s_andn2_b64 exec, exec, s[8:9]
	s_cbranch_execnz .LBB7_93
; %bb.94:
	s_or_b64 exec, exec, s[8:9]
.LBB7_95:
	s_or_b64 exec, exec, s[2:3]
.LBB7_96:
	s_or_b64 exec, exec, s[6:7]
	v_mov_b32_e32 v10, 0
	ds_read_b32 v10, v10
	s_waitcnt lgkmcnt(0)
	v_mul_f32_e32 v10, v38, v10
.LBB7_97:
	s_or_b64 exec, exec, s[4:5]
	s_branch .LBB7_161
.LBB7_98:
	v_cmp_eq_u32_e64 s[2:3], 0, v0
	s_waitcnt vmcnt(7)
	ds_write_b32 v37, v3
	s_waitcnt lgkmcnt(0)
	; wave barrier
	s_waitcnt lgkmcnt(0)
	s_and_saveexec_b64 s[0:1], s[2:3]
	s_cbranch_execz .LBB7_104
; %bb.99:
	s_and_b64 vcc, exec, s[18:19]
	s_cbranch_vccz .LBB7_101
; %bb.100:
	v_cmp_eq_u32_e32 vcc, 1, v0
	s_waitcnt vmcnt(1)
	v_cndmask_b32_e32 v3, v2, v3, vcc
	v_cmp_eq_u32_e32 vcc, 2, v0
	v_cndmask_b32_e32 v3, v3, v4, vcc
	v_cmp_eq_u32_e32 vcc, 3, v0
	;; [unrolled: 2-line block ×3, first 2 shown]
	ds_read_b32 v10, v37
	v_cndmask_b32_e32 v3, v3, v6, vcc
	v_cmp_eq_u32_e32 vcc, 5, v0
	v_cndmask_b32_e32 v3, v3, v7, vcc
	v_cmp_eq_u32_e32 vcc, 6, v0
	;; [unrolled: 2-line block ×3, first 2 shown]
	s_waitcnt vmcnt(0)
	v_cndmask_b32_e32 v3, v3, v9, vcc
	s_waitcnt lgkmcnt(0)
	v_mul_f32_e32 v3, v3, v10
	s_cbranch_execz .LBB7_102
	s_branch .LBB7_103
.LBB7_101:
                                        ; implicit-def: $vgpr3
.LBB7_102:
	ds_read_b32 v3, v37
.LBB7_103:
	v_mov_b32_e32 v10, 0
	ds_read_b32 v10, v10 offset:4
	s_waitcnt lgkmcnt(0)
	v_mul_f32_e32 v3, v3, v10
.LBB7_104:
	s_or_b64 exec, exec, s[0:1]
	v_cndmask_b32_e64 v11, 0, 1, s[18:19]
	v_add_u32_e32 v10, 1, v0
	v_cmp_gt_u32_e32 vcc, 2, v0
	v_cmp_ne_u32_e64 s[0:1], 1, v11
	s_waitcnt vmcnt(6)
	ds_write_b32 v37, v4
	s_waitcnt lgkmcnt(0)
	; wave barrier
	s_waitcnt lgkmcnt(0)
	s_and_saveexec_b64 s[4:5], vcc
	s_cbranch_execz .LBB7_112
; %bb.105:
	s_and_b64 vcc, exec, s[0:1]
	s_cbranch_vccnz .LBB7_107
; %bb.106:
	v_cmp_eq_u32_e32 vcc, 1, v0
	s_waitcnt vmcnt(1)
	v_cndmask_b32_e32 v11, v2, v3, vcc
	v_cmp_eq_u32_e32 vcc, 2, v0
	v_cndmask_b32_e32 v11, v11, v4, vcc
	v_cmp_eq_u32_e32 vcc, 3, v0
	;; [unrolled: 2-line block ×3, first 2 shown]
	ds_read_b32 v12, v37
	v_cndmask_b32_e32 v11, v11, v6, vcc
	v_cmp_eq_u32_e32 vcc, 5, v0
	v_cndmask_b32_e32 v11, v11, v7, vcc
	v_cmp_eq_u32_e32 vcc, 6, v0
	;; [unrolled: 2-line block ×3, first 2 shown]
	s_waitcnt vmcnt(0)
	v_cndmask_b32_e32 v11, v11, v9, vcc
	s_waitcnt lgkmcnt(0)
	v_mul_f32_e32 v11, v11, v12
	s_cbranch_execz .LBB7_108
	s_branch .LBB7_109
.LBB7_107:
                                        ; implicit-def: $vgpr11
.LBB7_108:
	ds_read_b32 v11, v37
.LBB7_109:
	s_and_saveexec_b64 s[6:7], s[2:3]
	s_cbranch_execz .LBB7_111
; %bb.110:
	v_cmp_eq_u32_e32 vcc, 1, v10
	s_waitcnt vmcnt(1)
	v_cndmask_b32_e32 v12, v2, v3, vcc
	v_cmp_eq_u32_e32 vcc, 2, v10
	v_cndmask_b32_e32 v4, v12, v4, vcc
	v_cmp_eq_u32_e32 vcc, 3, v10
	;; [unrolled: 2-line block ×3, first 2 shown]
	ds_read_b32 v12, v37 offset:4
	v_cndmask_b32_e32 v4, v4, v6, vcc
	v_cmp_eq_u32_e32 vcc, 5, v10
	v_cndmask_b32_e32 v4, v4, v7, vcc
	v_cmp_eq_u32_e32 vcc, 6, v10
	;; [unrolled: 2-line block ×3, first 2 shown]
	s_waitcnt vmcnt(0)
	v_cndmask_b32_e32 v4, v4, v9, vcc
	s_waitcnt lgkmcnt(0)
	v_fmac_f32_e32 v11, v4, v12
.LBB7_111:
	s_or_b64 exec, exec, s[6:7]
	v_mov_b32_e32 v4, 0
	ds_read_b32 v4, v4 offset:8
	s_waitcnt lgkmcnt(0)
	v_mul_f32_e32 v4, v11, v4
.LBB7_112:
	s_or_b64 exec, exec, s[4:5]
	v_cmp_gt_u32_e32 vcc, 3, v0
	s_waitcnt vmcnt(5)
	ds_write_b32 v37, v5
	s_waitcnt lgkmcnt(0)
	; wave barrier
	s_waitcnt lgkmcnt(0)
	s_and_saveexec_b64 s[4:5], vcc
	s_cbranch_execz .LBB7_120
; %bb.113:
	s_and_b64 vcc, exec, s[0:1]
	s_cbranch_vccnz .LBB7_115
; %bb.114:
	v_cmp_eq_u32_e32 vcc, 1, v0
	s_waitcnt vmcnt(1)
	v_cndmask_b32_e32 v11, v2, v3, vcc
	v_cmp_eq_u32_e32 vcc, 2, v0
	v_cndmask_b32_e32 v11, v11, v4, vcc
	v_cmp_eq_u32_e32 vcc, 3, v0
	;; [unrolled: 2-line block ×3, first 2 shown]
	ds_read_b32 v12, v37
	v_cndmask_b32_e32 v11, v11, v6, vcc
	v_cmp_eq_u32_e32 vcc, 5, v0
	v_cndmask_b32_e32 v11, v11, v7, vcc
	v_cmp_eq_u32_e32 vcc, 6, v0
	;; [unrolled: 2-line block ×3, first 2 shown]
	s_waitcnt vmcnt(0)
	v_cndmask_b32_e32 v11, v11, v9, vcc
	s_waitcnt lgkmcnt(0)
	v_mul_f32_e32 v11, v11, v12
	s_cbranch_execz .LBB7_116
	s_branch .LBB7_117
.LBB7_115:
                                        ; implicit-def: $vgpr11
.LBB7_116:
	ds_read_b32 v11, v37
.LBB7_117:
	v_cmp_ne_u32_e32 vcc, 2, v0
	s_and_saveexec_b64 s[6:7], vcc
	s_cbranch_execz .LBB7_119
; %bb.118:
	v_cmp_eq_u32_e32 vcc, 1, v10
	s_waitcnt vmcnt(1)
	v_cndmask_b32_e32 v12, v2, v3, vcc
	v_cmp_eq_u32_e32 vcc, 2, v10
	v_cndmask_b32_e32 v12, v12, v4, vcc
	v_cmp_eq_u32_e32 vcc, 3, v10
	;; [unrolled: 2-line block ×3, first 2 shown]
	v_mov_b32_e32 v12, 0
	v_cndmask_b32_e32 v5, v5, v6, vcc
	v_cmp_eq_u32_e32 vcc, 5, v10
	ds_read_b32 v13, v37 offset:4
	ds_read_b32 v12, v12 offset:40
	v_cndmask_b32_e32 v5, v5, v7, vcc
	v_cmp_eq_u32_e32 vcc, 6, v10
	v_cndmask_b32_e32 v5, v5, v8, vcc
	v_cmp_eq_u32_e32 vcc, 7, v10
	s_waitcnt vmcnt(0)
	v_cndmask_b32_e32 v5, v5, v9, vcc
	s_waitcnt lgkmcnt(1)
	v_fmac_f32_e32 v11, v5, v13
	s_waitcnt lgkmcnt(0)
	v_fma_f32 v5, v4, v12, v11
	v_cndmask_b32_e64 v11, v11, v5, s[2:3]
.LBB7_119:
	s_or_b64 exec, exec, s[6:7]
	v_mov_b32_e32 v5, 0
	ds_read_b32 v5, v5 offset:12
	s_waitcnt lgkmcnt(0)
	v_mul_f32_e32 v5, v11, v5
.LBB7_120:
	s_or_b64 exec, exec, s[4:5]
	v_cmp_gt_u32_e32 vcc, 4, v0
	s_waitcnt vmcnt(4)
	ds_write_b32 v37, v6
	s_waitcnt lgkmcnt(0)
	; wave barrier
	s_waitcnt lgkmcnt(0)
	s_and_saveexec_b64 s[4:5], vcc
	s_cbranch_execz .LBB7_130
; %bb.121:
	s_and_b64 vcc, exec, s[0:1]
	s_cbranch_vccnz .LBB7_123
; %bb.122:
	v_cmp_eq_u32_e32 vcc, 1, v0
	s_waitcnt vmcnt(1)
	v_cndmask_b32_e32 v10, v2, v3, vcc
	v_cmp_eq_u32_e32 vcc, 2, v0
	v_cndmask_b32_e32 v10, v10, v4, vcc
	v_cmp_eq_u32_e32 vcc, 3, v0
	;; [unrolled: 2-line block ×3, first 2 shown]
	ds_read_b32 v11, v37
	v_cndmask_b32_e32 v10, v10, v6, vcc
	v_cmp_eq_u32_e32 vcc, 5, v0
	v_cndmask_b32_e32 v10, v10, v7, vcc
	v_cmp_eq_u32_e32 vcc, 6, v0
	;; [unrolled: 2-line block ×3, first 2 shown]
	s_waitcnt vmcnt(0)
	v_cndmask_b32_e32 v10, v10, v9, vcc
	s_waitcnt lgkmcnt(0)
	v_mul_f32_e32 v12, v10, v11
	s_cbranch_execz .LBB7_124
	s_branch .LBB7_125
.LBB7_123:
                                        ; implicit-def: $vgpr12
.LBB7_124:
	ds_read_b32 v12, v37
.LBB7_125:
	v_cmp_ne_u32_e32 vcc, 3, v0
	s_and_saveexec_b64 s[6:7], vcc
	s_cbranch_execz .LBB7_129
; %bb.126:
	v_lshl_add_u32 v13, v0, 2, 36
	s_mov_b64 s[8:9], 0
	v_pk_mov_b32 v[10:11], v[0:1], v[0:1] op_sel:[0,1]
.LBB7_127:                              ; =>This Inner Loop Header: Depth=1
	v_add_co_u32_e32 v10, vcc, 1, v10
	v_addc_co_u32_e32 v11, vcc, 0, v11, vcc
	v_cmp_eq_u32_e32 vcc, 1, v10
	s_waitcnt vmcnt(1)
	v_cndmask_b32_e32 v15, v2, v3, vcc
	v_cmp_lt_u32_e32 vcc, 2, v10
	v_cmp_eq_u32_e64 s[2:3], 2, v10
	v_cndmask_b32_e64 v15, v15, v4, s[2:3]
	s_or_b64 s[8:9], vcc, s[8:9]
	v_cmp_eq_u32_e32 vcc, 3, v10
	ds_read_b32 v14, v13
	v_cndmask_b32_e32 v15, v15, v5, vcc
	v_cmp_eq_u32_e32 vcc, 4, v10
	v_cndmask_b32_e32 v15, v15, v6, vcc
	v_cmp_eq_u32_e32 vcc, 5, v10
	;; [unrolled: 2-line block ×4, first 2 shown]
	s_waitcnt vmcnt(0)
	v_cndmask_b32_e32 v15, v15, v9, vcc
	v_add_u32_e32 v13, 4, v13
	s_waitcnt lgkmcnt(0)
	v_fmac_f32_e32 v12, v15, v14
	s_andn2_b64 exec, exec, s[8:9]
	s_cbranch_execnz .LBB7_127
; %bb.128:
	s_or_b64 exec, exec, s[8:9]
.LBB7_129:
	s_or_b64 exec, exec, s[6:7]
	v_mov_b32_e32 v6, 0
	ds_read_b32 v6, v6 offset:16
	s_waitcnt lgkmcnt(0)
	v_mul_f32_e32 v6, v12, v6
.LBB7_130:
	s_or_b64 exec, exec, s[4:5]
	v_cmp_gt_u32_e32 vcc, 5, v0
	s_waitcnt vmcnt(3)
	ds_write_b32 v37, v7
	s_waitcnt lgkmcnt(0)
	; wave barrier
	s_waitcnt lgkmcnt(0)
	s_and_saveexec_b64 s[4:5], vcc
	s_cbranch_execz .LBB7_140
; %bb.131:
	s_and_b64 vcc, exec, s[0:1]
	s_cbranch_vccnz .LBB7_133
; %bb.132:
	v_cmp_eq_u32_e32 vcc, 1, v0
	s_waitcnt vmcnt(1)
	v_cndmask_b32_e32 v10, v2, v3, vcc
	v_cmp_eq_u32_e32 vcc, 2, v0
	v_cndmask_b32_e32 v10, v10, v4, vcc
	v_cmp_eq_u32_e32 vcc, 3, v0
	;; [unrolled: 2-line block ×3, first 2 shown]
	ds_read_b32 v11, v37
	v_cndmask_b32_e32 v10, v10, v6, vcc
	v_cmp_eq_u32_e32 vcc, 5, v0
	v_cndmask_b32_e32 v10, v10, v7, vcc
	v_cmp_eq_u32_e32 vcc, 6, v0
	;; [unrolled: 2-line block ×3, first 2 shown]
	s_waitcnt vmcnt(0)
	v_cndmask_b32_e32 v10, v10, v9, vcc
	s_waitcnt lgkmcnt(0)
	v_mul_f32_e32 v12, v10, v11
	s_cbranch_execz .LBB7_134
	s_branch .LBB7_135
.LBB7_133:
                                        ; implicit-def: $vgpr12
.LBB7_134:
	ds_read_b32 v12, v37
.LBB7_135:
	v_cmp_ne_u32_e32 vcc, 4, v0
	s_and_saveexec_b64 s[6:7], vcc
	s_cbranch_execz .LBB7_139
; %bb.136:
	v_lshl_add_u32 v13, v0, 2, 36
	s_mov_b64 s[8:9], 0
	v_pk_mov_b32 v[10:11], v[0:1], v[0:1] op_sel:[0,1]
.LBB7_137:                              ; =>This Inner Loop Header: Depth=1
	v_add_co_u32_e32 v10, vcc, 1, v10
	v_addc_co_u32_e32 v11, vcc, 0, v11, vcc
	v_cmp_eq_u32_e32 vcc, 1, v10
	s_waitcnt vmcnt(1)
	v_cndmask_b32_e32 v15, v2, v3, vcc
	v_cmp_lt_u32_e32 vcc, 3, v10
	v_cmp_eq_u32_e64 s[2:3], 2, v10
	v_cndmask_b32_e64 v15, v15, v4, s[2:3]
	s_or_b64 s[8:9], vcc, s[8:9]
	v_cmp_eq_u32_e32 vcc, 3, v10
	ds_read_b32 v14, v13
	v_cndmask_b32_e32 v15, v15, v5, vcc
	v_cmp_eq_u32_e32 vcc, 4, v10
	v_cndmask_b32_e32 v15, v15, v6, vcc
	v_cmp_eq_u32_e32 vcc, 5, v10
	;; [unrolled: 2-line block ×4, first 2 shown]
	s_waitcnt vmcnt(0)
	v_cndmask_b32_e32 v15, v15, v9, vcc
	v_add_u32_e32 v13, 4, v13
	s_waitcnt lgkmcnt(0)
	v_fmac_f32_e32 v12, v15, v14
	s_andn2_b64 exec, exec, s[8:9]
	s_cbranch_execnz .LBB7_137
; %bb.138:
	s_or_b64 exec, exec, s[8:9]
.LBB7_139:
	s_or_b64 exec, exec, s[6:7]
	v_mov_b32_e32 v7, 0
	ds_read_b32 v7, v7 offset:20
	s_waitcnt lgkmcnt(0)
	v_mul_f32_e32 v7, v12, v7
.LBB7_140:
	s_or_b64 exec, exec, s[4:5]
	v_cmp_gt_u32_e64 s[2:3], 6, v0
	s_waitcnt vmcnt(2)
	ds_write_b32 v37, v8
	s_waitcnt lgkmcnt(0)
	; wave barrier
	s_waitcnt lgkmcnt(0)
	s_and_saveexec_b64 s[6:7], s[2:3]
	s_cbranch_execz .LBB7_150
; %bb.141:
	s_and_b64 vcc, exec, s[0:1]
	s_cbranch_vccnz .LBB7_143
; %bb.142:
	v_cmp_eq_u32_e32 vcc, 1, v0
	s_waitcnt vmcnt(1)
	v_cndmask_b32_e32 v10, v2, v3, vcc
	v_cmp_eq_u32_e32 vcc, 2, v0
	v_cndmask_b32_e32 v10, v10, v4, vcc
	v_cmp_eq_u32_e32 vcc, 3, v0
	;; [unrolled: 2-line block ×3, first 2 shown]
	ds_read_b32 v11, v37
	v_cndmask_b32_e32 v10, v10, v6, vcc
	v_cmp_eq_u32_e32 vcc, 5, v0
	v_cndmask_b32_e32 v10, v10, v7, vcc
	v_cmp_eq_u32_e32 vcc, 6, v0
	;; [unrolled: 2-line block ×3, first 2 shown]
	s_waitcnt vmcnt(0)
	v_cndmask_b32_e32 v10, v10, v9, vcc
	s_waitcnt lgkmcnt(0)
	v_mul_f32_e32 v12, v10, v11
	s_cbranch_execz .LBB7_144
	s_branch .LBB7_145
.LBB7_143:
                                        ; implicit-def: $vgpr12
.LBB7_144:
	ds_read_b32 v12, v37
.LBB7_145:
	v_cmp_ne_u32_e32 vcc, 5, v0
	s_and_saveexec_b64 s[8:9], vcc
	s_cbranch_execz .LBB7_149
; %bb.146:
	v_lshl_add_u32 v13, v0, 2, 36
	s_mov_b64 s[10:11], 0
	v_pk_mov_b32 v[10:11], v[0:1], v[0:1] op_sel:[0,1]
.LBB7_147:                              ; =>This Inner Loop Header: Depth=1
	v_add_co_u32_e32 v10, vcc, 1, v10
	v_addc_co_u32_e32 v11, vcc, 0, v11, vcc
	v_cmp_eq_u32_e32 vcc, 1, v10
	s_waitcnt vmcnt(1)
	v_cndmask_b32_e32 v15, v2, v3, vcc
	v_cmp_lt_u32_e32 vcc, 4, v10
	v_cmp_eq_u32_e64 s[4:5], 2, v10
	v_cndmask_b32_e64 v15, v15, v4, s[4:5]
	s_or_b64 s[10:11], vcc, s[10:11]
	v_cmp_eq_u32_e32 vcc, 3, v10
	ds_read_b32 v14, v13
	v_cndmask_b32_e32 v15, v15, v5, vcc
	v_cmp_eq_u32_e32 vcc, 4, v10
	v_cndmask_b32_e32 v15, v15, v6, vcc
	v_cmp_eq_u32_e32 vcc, 5, v10
	;; [unrolled: 2-line block ×4, first 2 shown]
	s_waitcnt vmcnt(0)
	v_cndmask_b32_e32 v15, v15, v9, vcc
	v_add_u32_e32 v13, 4, v13
	s_waitcnt lgkmcnt(0)
	v_fmac_f32_e32 v12, v15, v14
	s_andn2_b64 exec, exec, s[10:11]
	s_cbranch_execnz .LBB7_147
; %bb.148:
	s_or_b64 exec, exec, s[10:11]
.LBB7_149:
	s_or_b64 exec, exec, s[8:9]
	v_mov_b32_e32 v8, 0
	ds_read_b32 v8, v8 offset:24
	s_waitcnt lgkmcnt(0)
	v_mul_f32_e32 v8, v12, v8
.LBB7_150:
	s_or_b64 exec, exec, s[6:7]
	v_cmp_ne_u32_e32 vcc, 7, v0
	s_waitcnt vmcnt(0)
	ds_write_b32 v37, v9
	s_waitcnt lgkmcnt(0)
	; wave barrier
	s_waitcnt lgkmcnt(0)
	s_and_saveexec_b64 s[4:5], vcc
	s_cbranch_execz .LBB7_160
; %bb.151:
	s_and_b64 vcc, exec, s[0:1]
	s_cbranch_vccnz .LBB7_153
; %bb.152:
	v_cmp_eq_u32_e32 vcc, 1, v0
	v_cndmask_b32_e32 v10, v2, v3, vcc
	v_cmp_eq_u32_e32 vcc, 2, v0
	v_cndmask_b32_e32 v10, v10, v4, vcc
	;; [unrolled: 2-line block ×3, first 2 shown]
	v_cmp_eq_u32_e32 vcc, 4, v0
	ds_read_b32 v11, v37
	v_cndmask_b32_e32 v10, v10, v6, vcc
	v_cmp_eq_u32_e32 vcc, 5, v0
	v_cndmask_b32_e32 v10, v10, v7, vcc
	v_cmp_eq_u32_e32 vcc, 6, v0
	;; [unrolled: 2-line block ×3, first 2 shown]
	v_cndmask_b32_e32 v10, v10, v9, vcc
	s_waitcnt lgkmcnt(0)
	v_mul_f32_e32 v10, v10, v11
	s_cbranch_execz .LBB7_154
	s_branch .LBB7_155
.LBB7_153:
                                        ; implicit-def: $vgpr10
.LBB7_154:
	ds_read_b32 v10, v37
.LBB7_155:
	s_and_saveexec_b64 s[6:7], s[2:3]
	s_cbranch_execz .LBB7_159
; %bb.156:
	v_lshl_add_u32 v11, v0, 2, 36
	s_mov_b64 s[2:3], 0
.LBB7_157:                              ; =>This Inner Loop Header: Depth=1
	v_add_co_u32_e32 v0, vcc, 1, v0
	v_addc_co_u32_e32 v1, vcc, 0, v1, vcc
	v_cmp_eq_u32_e32 vcc, 1, v0
	v_cndmask_b32_e32 v13, v2, v3, vcc
	v_cmp_lt_u32_e32 vcc, 5, v0
	v_cmp_eq_u32_e64 s[0:1], 2, v0
	v_cndmask_b32_e64 v13, v13, v4, s[0:1]
	s_or_b64 s[2:3], vcc, s[2:3]
	v_cmp_eq_u32_e32 vcc, 3, v0
	ds_read_b32 v12, v11
	v_cndmask_b32_e32 v13, v13, v5, vcc
	v_cmp_eq_u32_e32 vcc, 4, v0
	v_cndmask_b32_e32 v13, v13, v6, vcc
	v_cmp_eq_u32_e32 vcc, 5, v0
	;; [unrolled: 2-line block ×4, first 2 shown]
	v_cndmask_b32_e32 v13, v13, v9, vcc
	v_add_u32_e32 v11, 4, v11
	s_waitcnt lgkmcnt(0)
	v_fmac_f32_e32 v10, v13, v12
	s_andn2_b64 exec, exec, s[2:3]
	s_cbranch_execnz .LBB7_157
; %bb.158:
	s_or_b64 exec, exec, s[2:3]
.LBB7_159:
	s_or_b64 exec, exec, s[6:7]
	v_mov_b32_e32 v0, 0
	ds_read_b32 v0, v0 offset:28
	s_waitcnt lgkmcnt(0)
	v_mul_f32_e32 v9, v10, v0
.LBB7_160:
	s_or_b64 exec, exec, s[4:5]
	v_pk_mov_b32 v[16:17], v[8:9], v[8:9] op_sel:[0,1]
	v_pk_mov_b32 v[14:15], v[6:7], v[6:7] op_sel:[0,1]
	;; [unrolled: 1-line block ×4, first 2 shown]
.LBB7_161:
	global_store_dword v[18:19], v10, off
	global_store_dword v[20:21], v11, off
	;; [unrolled: 1-line block ×8, first 2 shown]
.LBB7_162:
	s_endpgm
	.section	.rodata,"a",@progbits
	.p2align	6, 0x0
	.amdhsa_kernel _ZN9rocsolver6v33100L18trti2_kernel_smallILi8EfPfEEv13rocblas_fill_17rocblas_diagonal_T1_iil
		.amdhsa_group_segment_fixed_size 64
		.amdhsa_private_segment_fixed_size 0
		.amdhsa_kernarg_size 32
		.amdhsa_user_sgpr_count 6
		.amdhsa_user_sgpr_private_segment_buffer 1
		.amdhsa_user_sgpr_dispatch_ptr 0
		.amdhsa_user_sgpr_queue_ptr 0
		.amdhsa_user_sgpr_kernarg_segment_ptr 1
		.amdhsa_user_sgpr_dispatch_id 0
		.amdhsa_user_sgpr_flat_scratch_init 0
		.amdhsa_user_sgpr_kernarg_preload_length 0
		.amdhsa_user_sgpr_kernarg_preload_offset 0
		.amdhsa_user_sgpr_private_segment_size 0
		.amdhsa_uses_dynamic_stack 0
		.amdhsa_system_sgpr_private_segment_wavefront_offset 0
		.amdhsa_system_sgpr_workgroup_id_x 1
		.amdhsa_system_sgpr_workgroup_id_y 0
		.amdhsa_system_sgpr_workgroup_id_z 0
		.amdhsa_system_sgpr_workgroup_info 0
		.amdhsa_system_vgpr_workitem_id 0
		.amdhsa_next_free_vgpr 48
		.amdhsa_next_free_sgpr 24
		.amdhsa_accum_offset 48
		.amdhsa_reserve_vcc 1
		.amdhsa_reserve_flat_scratch 0
		.amdhsa_float_round_mode_32 0
		.amdhsa_float_round_mode_16_64 0
		.amdhsa_float_denorm_mode_32 3
		.amdhsa_float_denorm_mode_16_64 3
		.amdhsa_dx10_clamp 1
		.amdhsa_ieee_mode 1
		.amdhsa_fp16_overflow 0
		.amdhsa_tg_split 0
		.amdhsa_exception_fp_ieee_invalid_op 0
		.amdhsa_exception_fp_denorm_src 0
		.amdhsa_exception_fp_ieee_div_zero 0
		.amdhsa_exception_fp_ieee_overflow 0
		.amdhsa_exception_fp_ieee_underflow 0
		.amdhsa_exception_fp_ieee_inexact 0
		.amdhsa_exception_int_div_zero 0
	.end_amdhsa_kernel
	.section	.text._ZN9rocsolver6v33100L18trti2_kernel_smallILi8EfPfEEv13rocblas_fill_17rocblas_diagonal_T1_iil,"axG",@progbits,_ZN9rocsolver6v33100L18trti2_kernel_smallILi8EfPfEEv13rocblas_fill_17rocblas_diagonal_T1_iil,comdat
.Lfunc_end7:
	.size	_ZN9rocsolver6v33100L18trti2_kernel_smallILi8EfPfEEv13rocblas_fill_17rocblas_diagonal_T1_iil, .Lfunc_end7-_ZN9rocsolver6v33100L18trti2_kernel_smallILi8EfPfEEv13rocblas_fill_17rocblas_diagonal_T1_iil
                                        ; -- End function
	.section	.AMDGPU.csdata,"",@progbits
; Kernel info:
; codeLenInByte = 9072
; NumSgprs: 28
; NumVgprs: 48
; NumAgprs: 0
; TotalNumVgprs: 48
; ScratchSize: 0
; MemoryBound: 0
; FloatMode: 240
; IeeeMode: 1
; LDSByteSize: 64 bytes/workgroup (compile time only)
; SGPRBlocks: 3
; VGPRBlocks: 5
; NumSGPRsForWavesPerEU: 28
; NumVGPRsForWavesPerEU: 48
; AccumOffset: 48
; Occupancy: 8
; WaveLimiterHint : 0
; COMPUTE_PGM_RSRC2:SCRATCH_EN: 0
; COMPUTE_PGM_RSRC2:USER_SGPR: 6
; COMPUTE_PGM_RSRC2:TRAP_HANDLER: 0
; COMPUTE_PGM_RSRC2:TGID_X_EN: 1
; COMPUTE_PGM_RSRC2:TGID_Y_EN: 0
; COMPUTE_PGM_RSRC2:TGID_Z_EN: 0
; COMPUTE_PGM_RSRC2:TIDIG_COMP_CNT: 0
; COMPUTE_PGM_RSRC3_GFX90A:ACCUM_OFFSET: 11
; COMPUTE_PGM_RSRC3_GFX90A:TG_SPLIT: 0
	.section	.text._ZN9rocsolver6v33100L18trti2_kernel_smallILi9EfPfEEv13rocblas_fill_17rocblas_diagonal_T1_iil,"axG",@progbits,_ZN9rocsolver6v33100L18trti2_kernel_smallILi9EfPfEEv13rocblas_fill_17rocblas_diagonal_T1_iil,comdat
	.globl	_ZN9rocsolver6v33100L18trti2_kernel_smallILi9EfPfEEv13rocblas_fill_17rocblas_diagonal_T1_iil ; -- Begin function _ZN9rocsolver6v33100L18trti2_kernel_smallILi9EfPfEEv13rocblas_fill_17rocblas_diagonal_T1_iil
	.p2align	8
	.type	_ZN9rocsolver6v33100L18trti2_kernel_smallILi9EfPfEEv13rocblas_fill_17rocblas_diagonal_T1_iil,@function
_ZN9rocsolver6v33100L18trti2_kernel_smallILi9EfPfEEv13rocblas_fill_17rocblas_diagonal_T1_iil: ; @_ZN9rocsolver6v33100L18trti2_kernel_smallILi9EfPfEEv13rocblas_fill_17rocblas_diagonal_T1_iil
; %bb.0:
	v_cmp_gt_u32_e32 vcc, 9, v0
	s_and_saveexec_b64 s[0:1], vcc
	s_cbranch_execz .LBB8_188
; %bb.1:
	s_load_dwordx8 s[20:27], s[4:5], 0x0
	s_ashr_i32 s2, s6, 31
	v_lshlrev_b32_e32 v11, 2, v0
	v_mov_b32_e32 v12, -1.0
	s_waitcnt lgkmcnt(0)
	s_mul_i32 s3, s6, s27
	s_mul_hi_u32 s4, s6, s26
	s_add_i32 s3, s4, s3
	s_mul_i32 s2, s2, s26
	s_add_i32 s3, s3, s2
	s_mul_i32 s2, s6, s26
	s_ashr_i32 s1, s24, 31
	s_lshl_b64 s[2:3], s[2:3], 2
	s_mov_b32 s0, s24
	s_add_u32 s2, s22, s2
	s_addc_u32 s3, s23, s3
	s_lshl_b64 s[0:1], s[0:1], 2
	s_add_u32 s0, s2, s0
	s_addc_u32 s1, s3, s1
	v_mov_b32_e32 v1, s1
	v_add_co_u32_e32 v22, vcc, s0, v11
	s_ashr_i32 s3, s25, 31
	s_mov_b32 s2, s25
	v_addc_co_u32_e32 v23, vcc, 0, v1, vcc
	s_lshl_b64 s[2:3], s[2:3], 2
	v_add_co_u32_e32 v24, vcc, s2, v22
	s_add_i32 s2, s25, s25
	v_add_u32_e32 v4, s2, v0
	v_mov_b32_e32 v1, s3
	v_ashrrev_i32_e32 v5, 31, v4
	v_addc_co_u32_e32 v25, vcc, v23, v1, vcc
	v_lshlrev_b64 v[6:7], 2, v[4:5]
	v_add_u32_e32 v4, s25, v4
	v_mov_b32_e32 v1, s1
	v_add_co_u32_e32 v26, vcc, s0, v6
	v_ashrrev_i32_e32 v5, 31, v4
	v_addc_co_u32_e32 v27, vcc, v1, v7, vcc
	v_lshlrev_b64 v[6:7], 2, v[4:5]
	v_add_u32_e32 v4, s25, v4
	v_add_co_u32_e32 v28, vcc, s0, v6
	v_ashrrev_i32_e32 v5, 31, v4
	v_addc_co_u32_e32 v29, vcc, v1, v7, vcc
	v_lshlrev_b64 v[6:7], 2, v[4:5]
	v_add_u32_e32 v4, s25, v4
	v_add_co_u32_e32 v30, vcc, s0, v6
	v_ashrrev_i32_e32 v5, 31, v4
	v_addc_co_u32_e32 v31, vcc, v1, v7, vcc
	v_lshlrev_b64 v[6:7], 2, v[4:5]
	v_add_u32_e32 v4, s25, v4
	v_add_co_u32_e32 v32, vcc, s0, v6
	v_ashrrev_i32_e32 v5, 31, v4
	v_addc_co_u32_e32 v33, vcc, v1, v7, vcc
	v_lshlrev_b64 v[6:7], 2, v[4:5]
	v_add_u32_e32 v4, s25, v4
	v_add_co_u32_e32 v34, vcc, s0, v6
	v_ashrrev_i32_e32 v5, 31, v4
	v_addc_co_u32_e32 v35, vcc, v1, v7, vcc
	v_lshlrev_b64 v[6:7], 2, v[4:5]
	v_add_u32_e32 v4, s25, v4
	v_add_co_u32_e32 v36, vcc, s0, v6
	v_ashrrev_i32_e32 v5, 31, v4
	v_addc_co_u32_e32 v37, vcc, v1, v7, vcc
	v_lshlrev_b64 v[4:5], 2, v[4:5]
	v_add_co_u32_e32 v38, vcc, s0, v4
	global_load_dword v2, v11, s[0:1]
	v_addc_co_u32_e32 v39, vcc, v1, v5, vcc
	global_load_dword v3, v[24:25], off
	global_load_dword v4, v[26:27], off
	;; [unrolled: 1-line block ×8, first 2 shown]
	s_cmpk_lg_i32 s21, 0x84
	v_mov_b32_e32 v1, 0
	s_cselect_b64 s[18:19], -1, 0
	s_cmpk_eq_i32 s21, 0x84
	v_cmp_eq_u32_e64 s[0:1], 0, v0
	s_cbranch_scc1 .LBB8_3
; %bb.2:
	v_cmp_eq_u32_e64 s[2:3], 1, v0
	s_waitcnt vmcnt(7)
	v_cndmask_b32_e64 v12, v2, v3, s[2:3]
	v_cmp_eq_u32_e64 s[4:5], 2, v0
	s_waitcnt vmcnt(6)
	v_cndmask_b32_e64 v12, v12, v4, s[4:5]
	;; [unrolled: 3-line block ×8, first 2 shown]
	v_div_scale_f32 v13, s[22:23], v12, v12, 1.0
	v_rcp_f32_e32 v14, v13
	v_fma_f32 v15, -v13, v14, 1.0
	v_fmac_f32_e32 v14, v15, v14
	v_div_scale_f32 v15, vcc, 1.0, v12, 1.0
	v_mul_f32_e32 v16, v15, v14
	v_fma_f32 v17, -v13, v16, v15
	v_fmac_f32_e32 v16, v17, v14
	v_fma_f32 v13, -v13, v16, v15
	v_div_fmas_f32 v13, v13, v14, v16
	v_div_fixup_f32 v12, v13, v12, 1.0
	v_cndmask_b32_e64 v10, v10, v12, s[16:17]
	v_cndmask_b32_e64 v9, v9, v12, s[14:15]
	;; [unrolled: 1-line block ×9, first 2 shown]
	v_xor_b32_e32 v12, 0x80000000, v12
.LBB8_3:
	s_cmpk_eq_i32 s20, 0x79
	v_add_u32_e32 v21, 48, v11
	ds_write_b32 v11, v12
	s_cbranch_scc1 .LBB8_7
; %bb.4:
	s_waitcnt vmcnt(0)
	v_mov_b32_e32 v20, v10
	v_cmp_eq_u32_e64 s[2:3], 8, v0
	v_mov_b32_e32 v19, v9
	v_mov_b32_e32 v18, v8
	;; [unrolled: 1-line block ×8, first 2 shown]
	ds_write_b32 v21, v9
	s_waitcnt lgkmcnt(0)
	; wave barrier
	s_waitcnt lgkmcnt(0)
	s_and_saveexec_b64 s[0:1], s[2:3]
	s_cbranch_execz .LBB8_11
; %bb.5:
	s_and_b64 vcc, exec, s[18:19]
	s_cbranch_vccz .LBB8_8
; %bb.6:
	v_cmp_eq_u32_e32 vcc, 1, v0
	v_cndmask_b32_e32 v11, v2, v3, vcc
	v_cmp_eq_u32_e32 vcc, 2, v0
	v_cndmask_b32_e32 v11, v11, v4, vcc
	;; [unrolled: 2-line block ×4, first 2 shown]
	v_cmp_eq_u32_e32 vcc, 5, v0
	ds_read_b32 v12, v21
	v_cndmask_b32_e32 v11, v11, v7, vcc
	v_cmp_eq_u32_e32 vcc, 6, v0
	v_cndmask_b32_e32 v11, v11, v8, vcc
	v_cmp_eq_u32_e32 vcc, 7, v0
	v_cndmask_b32_e32 v11, v11, v9, vcc
	v_cmp_eq_u32_e32 vcc, 8, v0
	v_cndmask_b32_e32 v11, v11, v10, vcc
	s_waitcnt lgkmcnt(0)
	v_mul_f32_e32 v11, v11, v12
	s_cbranch_execz .LBB8_9
	s_branch .LBB8_10
.LBB8_7:
                                        ; implicit-def: $vgpr12_vgpr13_vgpr14_vgpr15_vgpr16_vgpr17_vgpr18_vgpr19_vgpr20
	s_cbranch_execnz .LBB8_114
	s_branch .LBB8_187
.LBB8_8:
                                        ; implicit-def: $vgpr11
.LBB8_9:
	ds_read_b32 v11, v21
.LBB8_10:
	v_mov_b32_e32 v12, 0
	ds_read_b32 v12, v12 offset:28
	s_waitcnt lgkmcnt(0)
	v_mul_f32_e32 v11, v11, v12
	v_mov_b32_e32 v20, v10
	v_mov_b32_e32 v19, v9
	;; [unrolled: 1-line block ×10, first 2 shown]
.LBB8_11:
	s_or_b64 exec, exec, s[0:1]
	v_cmp_lt_u32_e64 s[0:1], 6, v0
	ds_write_b32 v21, v18
	s_waitcnt lgkmcnt(0)
	; wave barrier
	s_waitcnt lgkmcnt(0)
	s_and_saveexec_b64 s[4:5], s[0:1]
	s_cbranch_execz .LBB8_17
; %bb.12:
	s_andn2_b64 vcc, exec, s[18:19]
	s_cbranch_vccnz .LBB8_14
; %bb.13:
	v_cmp_eq_u32_e32 vcc, 1, v0
	v_cndmask_b32_e32 v11, v12, v13, vcc
	v_cmp_eq_u32_e32 vcc, 2, v0
	v_cndmask_b32_e32 v11, v11, v14, vcc
	;; [unrolled: 2-line block ×6, first 2 shown]
	ds_read_b32 v18, v21
	v_cmp_eq_u32_e32 vcc, 7, v0
	v_cndmask_b32_e32 v11, v11, v19, vcc
	v_cmp_eq_u32_e32 vcc, 8, v0
	v_cndmask_b32_e32 v11, v11, v20, vcc
	s_waitcnt lgkmcnt(0)
	v_mul_f32_e32 v11, v11, v18
	s_cbranch_execz .LBB8_15
	s_branch .LBB8_16
.LBB8_14:
                                        ; implicit-def: $vgpr11
.LBB8_15:
	ds_read_b32 v11, v21
.LBB8_16:
	v_mov_b32_e32 v18, 0
	ds_read2_b32 v[40:41], v18 offset0:6 offset1:19
	s_waitcnt lgkmcnt(0)
	v_fma_f32 v18, v19, v41, v11
	v_cndmask_b32_e64 v11, v11, v18, s[2:3]
	v_mul_f32_e32 v18, v11, v40
.LBB8_17:
	s_or_b64 exec, exec, s[4:5]
	v_cmp_lt_u32_e64 s[2:3], 5, v0
	ds_write_b32 v21, v17
	s_waitcnt lgkmcnt(0)
	; wave barrier
	s_waitcnt lgkmcnt(0)
	s_and_saveexec_b64 s[4:5], s[2:3]
	s_cbranch_execz .LBB8_33
; %bb.18:
	s_andn2_b64 vcc, exec, s[18:19]
	s_cbranch_vccnz .LBB8_20
; %bb.19:
	v_cmp_eq_u32_e32 vcc, 1, v0
	v_cndmask_b32_e32 v11, v12, v13, vcc
	v_cmp_eq_u32_e32 vcc, 2, v0
	v_cndmask_b32_e32 v11, v11, v14, vcc
	;; [unrolled: 2-line block ×4, first 2 shown]
	v_cmp_eq_u32_e32 vcc, 5, v0
	ds_read_b32 v40, v21
	v_cndmask_b32_e32 v11, v11, v17, vcc
	v_cmp_eq_u32_e32 vcc, 6, v0
	v_cndmask_b32_e32 v11, v11, v18, vcc
	v_cmp_eq_u32_e32 vcc, 7, v0
	;; [unrolled: 2-line block ×3, first 2 shown]
	v_cndmask_b32_e32 v11, v11, v20, vcc
	s_waitcnt lgkmcnt(0)
	v_mul_f32_e32 v41, v11, v40
	s_cbranch_execz .LBB8_21
	s_branch .LBB8_22
.LBB8_20:
                                        ; implicit-def: $vgpr41
.LBB8_21:
	ds_read_b32 v41, v21
.LBB8_22:
	s_and_saveexec_b64 s[6:7], s[0:1]
	s_cbranch_execz .LBB8_32
; %bb.23:
	v_add_u32_e32 v40, -7, v0
	v_add_u32_e32 v11, -6, v0
	v_cmp_lt_u32_e32 vcc, 6, v40
	v_mov_b32_e32 v40, 6
	s_and_saveexec_b64 s[0:1], vcc
	s_cbranch_execz .LBB8_27
; %bb.24:
	v_and_b32_e32 v40, -8, v11
	v_sub_u32_e32 v42, 0, v40
	s_mov_b64 s[8:9], 13
	s_movk_i32 s12, 0x48
	s_mov_b64 s[10:11], 0
.LBB8_25:                               ; =>This Inner Loop Header: Depth=1
	s_add_i32 s13, s8, -7
	v_mov_b32_e32 v40, s12
	s_add_i32 s14, s8, -6
	s_set_gpr_idx_on s13, gpr_idx(SRC0)
	v_mov_b32_e32 v43, v12
	s_set_gpr_idx_off
	ds_read2_b64 v[44:47], v40 offset1:1
	s_add_i32 s15, s8, -5
	s_set_gpr_idx_on s14, gpr_idx(SRC0)
	v_mov_b32_e32 v52, v12
	s_set_gpr_idx_off
	s_add_i32 s16, s8, -4
	s_set_gpr_idx_on s15, gpr_idx(SRC0)
	v_mov_b32_e32 v53, v12
	s_set_gpr_idx_off
	;; [unrolled: 4-line block ×4, first 2 shown]
	ds_read2_b64 v[48:51], v40 offset0:2 offset1:3
	s_add_i32 s21, s8, -1
	s_waitcnt lgkmcnt(1)
	v_fmac_f32_e32 v41, v43, v44
	s_set_gpr_idx_on s20, gpr_idx(SRC0)
	v_mov_b32_e32 v43, v12
	s_set_gpr_idx_off
	v_fmac_f32_e32 v41, v52, v45
	s_set_gpr_idx_on s21, gpr_idx(SRC0)
	v_mov_b32_e32 v44, v12
	s_set_gpr_idx_off
	;; [unrolled: 4-line block ×3, first 2 shown]
	v_fmac_f32_e32 v41, v54, v47
	s_add_u32 s8, s8, 8
	s_waitcnt lgkmcnt(0)
	v_fmac_f32_e32 v41, v55, v48
	v_add_u32_e32 v40, s8, v42
	v_fmac_f32_e32 v41, v43, v49
	s_addc_u32 s9, s9, 0
	s_add_i32 s12, s12, 32
	s_add_i32 s13, s8, -7
	v_cmp_eq_u32_e32 vcc, 13, v40
	v_fmac_f32_e32 v41, v44, v50
	v_mov_b32_e32 v40, s13
	s_or_b64 s[10:11], vcc, s[10:11]
	v_fmac_f32_e32 v41, v45, v51
	s_andn2_b64 exec, exec, s[10:11]
	s_cbranch_execnz .LBB8_25
; %bb.26:
	s_or_b64 exec, exec, s[10:11]
.LBB8_27:
	s_or_b64 exec, exec, s[0:1]
	v_and_b32_e32 v42, 7, v11
	v_cmp_ne_u32_e32 vcc, 0, v42
	s_and_saveexec_b64 s[8:9], vcc
	s_cbranch_execz .LBB8_31
; %bb.28:
	v_lshl_add_u32 v43, v40, 2, 48
	v_mov_b32_e32 v11, 0
	s_mov_b64 s[10:11], 0
.LBB8_29:                               ; =>This Inner Loop Header: Depth=1
	v_cmp_eq_u32_e32 vcc, 1, v40
	v_cndmask_b32_e32 v44, v12, v13, vcc
	v_add_u32_e32 v42, -1, v42
	v_cmp_eq_u32_e32 vcc, 2, v40
	v_cndmask_b32_e32 v44, v44, v14, vcc
	v_cmp_eq_u32_e32 vcc, 0, v42
	v_cmp_eq_u32_e64 s[0:1], 3, v40
	v_cndmask_b32_e64 v44, v44, v15, s[0:1]
	s_or_b64 s[10:11], vcc, s[10:11]
	v_cmp_eq_u32_e32 vcc, 4, v40
	ds_read_b32 v45, v43
	v_cndmask_b32_e32 v44, v44, v16, vcc
	v_cmp_eq_u32_e32 vcc, 5, v40
	v_cndmask_b32_e32 v44, v44, v17, vcc
	v_cmp_eq_u32_e32 vcc, 6, v40
	;; [unrolled: 2-line block ×4, first 2 shown]
	v_add_co_u32_e64 v40, s[0:1], 1, v40
	v_cndmask_b32_e32 v44, v44, v20, vcc
	v_add_u32_e32 v43, 4, v43
	v_addc_co_u32_e64 v11, s[0:1], 0, v11, s[0:1]
	s_waitcnt lgkmcnt(0)
	v_fmac_f32_e32 v41, v44, v45
	s_andn2_b64 exec, exec, s[10:11]
	s_cbranch_execnz .LBB8_29
; %bb.30:
	s_or_b64 exec, exec, s[10:11]
.LBB8_31:
	s_or_b64 exec, exec, s[8:9]
.LBB8_32:
	s_or_b64 exec, exec, s[6:7]
	v_mov_b32_e32 v11, 0
	ds_read_b32 v11, v11 offset:20
	s_waitcnt lgkmcnt(0)
	v_mul_f32_e32 v17, v41, v11
.LBB8_33:
	s_or_b64 exec, exec, s[4:5]
	v_cmp_lt_u32_e64 s[0:1], 4, v0
	ds_write_b32 v21, v16
	s_waitcnt lgkmcnt(0)
	; wave barrier
	s_waitcnt lgkmcnt(0)
	s_and_saveexec_b64 s[4:5], s[0:1]
	s_cbranch_execz .LBB8_49
; %bb.34:
	s_andn2_b64 vcc, exec, s[18:19]
	s_cbranch_vccnz .LBB8_36
; %bb.35:
	v_cmp_eq_u32_e32 vcc, 1, v0
	v_cndmask_b32_e32 v11, v12, v13, vcc
	v_cmp_eq_u32_e32 vcc, 2, v0
	v_cndmask_b32_e32 v11, v11, v14, vcc
	;; [unrolled: 2-line block ×4, first 2 shown]
	v_cmp_eq_u32_e32 vcc, 5, v0
	ds_read_b32 v40, v21
	v_cndmask_b32_e32 v11, v11, v17, vcc
	v_cmp_eq_u32_e32 vcc, 6, v0
	v_cndmask_b32_e32 v11, v11, v18, vcc
	v_cmp_eq_u32_e32 vcc, 7, v0
	;; [unrolled: 2-line block ×3, first 2 shown]
	v_cndmask_b32_e32 v11, v11, v20, vcc
	s_waitcnt lgkmcnt(0)
	v_mul_f32_e32 v41, v11, v40
	s_cbranch_execz .LBB8_37
	s_branch .LBB8_38
.LBB8_36:
                                        ; implicit-def: $vgpr41
.LBB8_37:
	ds_read_b32 v41, v21
.LBB8_38:
	s_and_saveexec_b64 s[6:7], s[2:3]
	s_cbranch_execz .LBB8_48
; %bb.39:
	v_add_u32_e32 v40, -6, v0
	v_add_u32_e32 v11, -5, v0
	v_cmp_lt_u32_e32 vcc, 6, v40
	v_mov_b32_e32 v40, 5
	s_and_saveexec_b64 s[2:3], vcc
	s_cbranch_execz .LBB8_43
; %bb.40:
	v_and_b32_e32 v40, -8, v11
	v_sub_u32_e32 v42, 0, v40
	s_mov_b64 s[8:9], 12
	s_movk_i32 s12, 0x44
	s_mov_b64 s[10:11], 0
.LBB8_41:                               ; =>This Inner Loop Header: Depth=1
	s_add_i32 s13, s8, -7
	v_mov_b32_e32 v40, s12
	s_add_i32 s14, s8, -6
	s_set_gpr_idx_on s13, gpr_idx(SRC0)
	v_mov_b32_e32 v43, v12
	s_set_gpr_idx_off
	ds_read2_b32 v[44:45], v40 offset1:1
	s_add_i32 s15, s8, -5
	s_set_gpr_idx_on s14, gpr_idx(SRC0)
	v_mov_b32_e32 v50, v12
	s_set_gpr_idx_off
	s_add_i32 s16, s8, -4
	s_set_gpr_idx_on s15, gpr_idx(SRC0)
	v_mov_b32_e32 v51, v12
	s_set_gpr_idx_off
	ds_read2_b32 v[46:47], v40 offset0:2 offset1:3
	s_add_i32 s17, s8, -3
	s_set_gpr_idx_on s16, gpr_idx(SRC0)
	v_mov_b32_e32 v52, v12
	s_set_gpr_idx_off
	s_add_i32 s20, s8, -2
	s_set_gpr_idx_on s17, gpr_idx(SRC0)
	v_mov_b32_e32 v53, v12
	s_set_gpr_idx_off
	ds_read2_b32 v[48:49], v40 offset0:4 offset1:5
	s_add_i32 s21, s8, -1
	s_waitcnt lgkmcnt(2)
	v_fmac_f32_e32 v41, v43, v44
	s_set_gpr_idx_on s20, gpr_idx(SRC0)
	v_mov_b32_e32 v43, v12
	s_set_gpr_idx_off
	v_fmac_f32_e32 v41, v50, v45
	s_set_gpr_idx_on s21, gpr_idx(SRC0)
	v_mov_b32_e32 v50, v12
	s_set_gpr_idx_off
	ds_read2_b32 v[44:45], v40 offset0:6 offset1:7
	s_waitcnt lgkmcnt(2)
	v_fmac_f32_e32 v41, v51, v46
	s_set_gpr_idx_on s8, gpr_idx(SRC0)
	v_mov_b32_e32 v46, v12
	s_set_gpr_idx_off
	v_fmac_f32_e32 v41, v52, v47
	s_add_u32 s8, s8, 8
	s_waitcnt lgkmcnt(1)
	v_fmac_f32_e32 v41, v53, v48
	v_add_u32_e32 v40, s8, v42
	v_fmac_f32_e32 v41, v43, v49
	s_addc_u32 s9, s9, 0
	s_add_i32 s12, s12, 32
	s_add_i32 s13, s8, -7
	v_cmp_eq_u32_e32 vcc, 12, v40
	s_waitcnt lgkmcnt(0)
	v_fmac_f32_e32 v41, v50, v44
	v_mov_b32_e32 v40, s13
	s_or_b64 s[10:11], vcc, s[10:11]
	v_fmac_f32_e32 v41, v46, v45
	s_andn2_b64 exec, exec, s[10:11]
	s_cbranch_execnz .LBB8_41
; %bb.42:
	s_or_b64 exec, exec, s[10:11]
.LBB8_43:
	s_or_b64 exec, exec, s[2:3]
	v_and_b32_e32 v42, 7, v11
	v_cmp_ne_u32_e32 vcc, 0, v42
	s_and_saveexec_b64 s[8:9], vcc
	s_cbranch_execz .LBB8_47
; %bb.44:
	v_lshl_add_u32 v43, v40, 2, 48
	v_mov_b32_e32 v11, 0
	s_mov_b64 s[10:11], 0
.LBB8_45:                               ; =>This Inner Loop Header: Depth=1
	v_cmp_eq_u32_e32 vcc, 1, v40
	v_cndmask_b32_e32 v44, v12, v13, vcc
	v_add_u32_e32 v42, -1, v42
	v_cmp_eq_u32_e32 vcc, 2, v40
	v_cndmask_b32_e32 v44, v44, v14, vcc
	v_cmp_eq_u32_e32 vcc, 0, v42
	v_cmp_eq_u32_e64 s[2:3], 3, v40
	v_cndmask_b32_e64 v44, v44, v15, s[2:3]
	s_or_b64 s[10:11], vcc, s[10:11]
	v_cmp_eq_u32_e32 vcc, 4, v40
	ds_read_b32 v45, v43
	v_cndmask_b32_e32 v44, v44, v16, vcc
	v_cmp_eq_u32_e32 vcc, 5, v40
	v_cndmask_b32_e32 v44, v44, v17, vcc
	v_cmp_eq_u32_e32 vcc, 6, v40
	;; [unrolled: 2-line block ×4, first 2 shown]
	v_add_co_u32_e64 v40, s[2:3], 1, v40
	v_cndmask_b32_e32 v44, v44, v20, vcc
	v_add_u32_e32 v43, 4, v43
	v_addc_co_u32_e64 v11, s[2:3], 0, v11, s[2:3]
	s_waitcnt lgkmcnt(0)
	v_fmac_f32_e32 v41, v44, v45
	s_andn2_b64 exec, exec, s[10:11]
	s_cbranch_execnz .LBB8_45
; %bb.46:
	s_or_b64 exec, exec, s[10:11]
.LBB8_47:
	s_or_b64 exec, exec, s[8:9]
.LBB8_48:
	s_or_b64 exec, exec, s[6:7]
	v_mov_b32_e32 v11, 0
	ds_read_b32 v11, v11 offset:16
	s_waitcnt lgkmcnt(0)
	v_mul_f32_e32 v16, v41, v11
.LBB8_49:
	s_or_b64 exec, exec, s[4:5]
	v_cmp_lt_u32_e64 s[2:3], 3, v0
	ds_write_b32 v21, v15
	s_waitcnt lgkmcnt(0)
	; wave barrier
	s_waitcnt lgkmcnt(0)
	s_and_saveexec_b64 s[4:5], s[2:3]
	s_cbranch_execz .LBB8_65
; %bb.50:
	s_andn2_b64 vcc, exec, s[18:19]
	s_cbranch_vccnz .LBB8_52
; %bb.51:
	v_cmp_eq_u32_e32 vcc, 1, v0
	v_cndmask_b32_e32 v11, v12, v13, vcc
	v_cmp_eq_u32_e32 vcc, 2, v0
	v_cndmask_b32_e32 v11, v11, v14, vcc
	;; [unrolled: 2-line block ×4, first 2 shown]
	v_cmp_eq_u32_e32 vcc, 5, v0
	ds_read_b32 v40, v21
	v_cndmask_b32_e32 v11, v11, v17, vcc
	v_cmp_eq_u32_e32 vcc, 6, v0
	v_cndmask_b32_e32 v11, v11, v18, vcc
	v_cmp_eq_u32_e32 vcc, 7, v0
	;; [unrolled: 2-line block ×3, first 2 shown]
	v_cndmask_b32_e32 v11, v11, v20, vcc
	s_waitcnt lgkmcnt(0)
	v_mul_f32_e32 v41, v11, v40
	s_cbranch_execz .LBB8_53
	s_branch .LBB8_54
.LBB8_52:
                                        ; implicit-def: $vgpr41
.LBB8_53:
	ds_read_b32 v41, v21
.LBB8_54:
	s_and_saveexec_b64 s[6:7], s[0:1]
	s_cbranch_execz .LBB8_64
; %bb.55:
	v_add_u32_e32 v40, -5, v0
	v_add_u32_e32 v11, -4, v0
	v_cmp_lt_u32_e32 vcc, 6, v40
	v_mov_b32_e32 v40, 4
	s_and_saveexec_b64 s[0:1], vcc
	s_cbranch_execz .LBB8_59
; %bb.56:
	v_and_b32_e32 v40, -8, v11
	v_sub_u32_e32 v42, 0, v40
	s_mov_b64 s[8:9], 5
	s_mov_b32 s12, 64
	s_mov_b64 s[10:11], 0
.LBB8_57:                               ; =>This Inner Loop Header: Depth=1
	s_add_i32 s13, s8, -1
	v_mov_b32_e32 v40, s12
	s_set_gpr_idx_on s13, gpr_idx(SRC0)
	v_mov_b32_e32 v43, v12
	s_set_gpr_idx_off
	s_add_i32 s14, s8, 1
	ds_read_b128 v[44:47], v40
	ds_read_b128 v[48:51], v40 offset:16
	s_set_gpr_idx_on s8, gpr_idx(SRC0)
	v_mov_b32_e32 v52, v12
	s_set_gpr_idx_off
	s_add_i32 s15, s8, 2
	s_set_gpr_idx_on s14, gpr_idx(SRC0)
	v_mov_b32_e32 v53, v12
	s_set_gpr_idx_off
	s_add_i32 s16, s8, 3
	;; [unrolled: 4-line block ×4, first 2 shown]
	s_waitcnt lgkmcnt(1)
	v_fmac_f32_e32 v41, v43, v44
	s_set_gpr_idx_on s17, gpr_idx(SRC0)
	v_mov_b32_e32 v43, v12
	s_set_gpr_idx_off
	s_add_i32 s21, s8, 6
	v_fmac_f32_e32 v41, v52, v45
	s_set_gpr_idx_on s20, gpr_idx(SRC0)
	v_mov_b32_e32 v44, v12
	s_set_gpr_idx_off
	v_fmac_f32_e32 v41, v53, v46
	s_set_gpr_idx_on s21, gpr_idx(SRC0)
	v_mov_b32_e32 v45, v12
	s_set_gpr_idx_off
	v_fmac_f32_e32 v41, v54, v47
	s_add_u32 s8, s8, 8
	s_waitcnt lgkmcnt(0)
	v_fmac_f32_e32 v41, v55, v48
	v_add_u32_e32 v40, s8, v42
	v_fmac_f32_e32 v41, v43, v49
	s_addc_u32 s9, s9, 0
	s_add_i32 s12, s12, 32
	s_add_i32 s13, s8, -1
	v_cmp_eq_u32_e32 vcc, 5, v40
	v_fmac_f32_e32 v41, v44, v50
	v_mov_b32_e32 v40, s13
	s_or_b64 s[10:11], vcc, s[10:11]
	v_fmac_f32_e32 v41, v45, v51
	s_andn2_b64 exec, exec, s[10:11]
	s_cbranch_execnz .LBB8_57
; %bb.58:
	s_or_b64 exec, exec, s[10:11]
.LBB8_59:
	s_or_b64 exec, exec, s[0:1]
	v_and_b32_e32 v42, 7, v11
	v_cmp_ne_u32_e32 vcc, 0, v42
	s_and_saveexec_b64 s[8:9], vcc
	s_cbranch_execz .LBB8_63
; %bb.60:
	v_lshl_add_u32 v43, v40, 2, 48
	v_mov_b32_e32 v11, 0
	s_mov_b64 s[10:11], 0
.LBB8_61:                               ; =>This Inner Loop Header: Depth=1
	v_cmp_eq_u32_e32 vcc, 1, v40
	v_cndmask_b32_e32 v44, v12, v13, vcc
	v_add_u32_e32 v42, -1, v42
	v_cmp_eq_u32_e32 vcc, 2, v40
	v_cndmask_b32_e32 v44, v44, v14, vcc
	v_cmp_eq_u32_e32 vcc, 0, v42
	v_cmp_eq_u32_e64 s[0:1], 3, v40
	v_cndmask_b32_e64 v44, v44, v15, s[0:1]
	s_or_b64 s[10:11], vcc, s[10:11]
	v_cmp_eq_u32_e32 vcc, 4, v40
	ds_read_b32 v45, v43
	v_cndmask_b32_e32 v44, v44, v16, vcc
	v_cmp_eq_u32_e32 vcc, 5, v40
	v_cndmask_b32_e32 v44, v44, v17, vcc
	v_cmp_eq_u32_e32 vcc, 6, v40
	;; [unrolled: 2-line block ×4, first 2 shown]
	v_add_co_u32_e64 v40, s[0:1], 1, v40
	v_cndmask_b32_e32 v44, v44, v20, vcc
	v_add_u32_e32 v43, 4, v43
	v_addc_co_u32_e64 v11, s[0:1], 0, v11, s[0:1]
	s_waitcnt lgkmcnt(0)
	v_fmac_f32_e32 v41, v44, v45
	s_andn2_b64 exec, exec, s[10:11]
	s_cbranch_execnz .LBB8_61
; %bb.62:
	s_or_b64 exec, exec, s[10:11]
.LBB8_63:
	s_or_b64 exec, exec, s[8:9]
.LBB8_64:
	s_or_b64 exec, exec, s[6:7]
	v_mov_b32_e32 v11, 0
	ds_read_b32 v11, v11 offset:12
	s_waitcnt lgkmcnt(0)
	v_mul_f32_e32 v15, v41, v11
.LBB8_65:
	s_or_b64 exec, exec, s[4:5]
	v_cmp_lt_u32_e64 s[0:1], 2, v0
	ds_write_b32 v21, v14
	s_waitcnt lgkmcnt(0)
	; wave barrier
	s_waitcnt lgkmcnt(0)
	s_and_saveexec_b64 s[4:5], s[0:1]
	s_cbranch_execz .LBB8_81
; %bb.66:
	s_andn2_b64 vcc, exec, s[18:19]
	s_cbranch_vccnz .LBB8_68
; %bb.67:
	v_cmp_eq_u32_e32 vcc, 1, v0
	v_cndmask_b32_e32 v11, v12, v13, vcc
	v_cmp_eq_u32_e32 vcc, 2, v0
	v_cndmask_b32_e32 v11, v11, v14, vcc
	;; [unrolled: 2-line block ×4, first 2 shown]
	v_cmp_eq_u32_e32 vcc, 5, v0
	ds_read_b32 v40, v21
	v_cndmask_b32_e32 v11, v11, v17, vcc
	v_cmp_eq_u32_e32 vcc, 6, v0
	v_cndmask_b32_e32 v11, v11, v18, vcc
	v_cmp_eq_u32_e32 vcc, 7, v0
	;; [unrolled: 2-line block ×3, first 2 shown]
	v_cndmask_b32_e32 v11, v11, v20, vcc
	s_waitcnt lgkmcnt(0)
	v_mul_f32_e32 v41, v11, v40
	s_cbranch_execz .LBB8_69
	s_branch .LBB8_70
.LBB8_68:
                                        ; implicit-def: $vgpr41
.LBB8_69:
	ds_read_b32 v41, v21
.LBB8_70:
	s_and_saveexec_b64 s[6:7], s[2:3]
	s_cbranch_execz .LBB8_80
; %bb.71:
	v_add_u32_e32 v40, -4, v0
	v_add_u32_e32 v11, -3, v0
	v_cmp_lt_u32_e32 vcc, 6, v40
	v_mov_b32_e32 v40, 3
	s_and_saveexec_b64 s[2:3], vcc
	s_cbranch_execz .LBB8_75
; %bb.72:
	v_and_b32_e32 v40, -8, v11
	v_sub_u32_e32 v42, 0, v40
	s_mov_b64 s[8:9], 10
	s_mov_b32 s12, 60
	s_mov_b64 s[10:11], 0
.LBB8_73:                               ; =>This Inner Loop Header: Depth=1
	s_add_i32 s13, s8, -7
	v_mov_b32_e32 v40, s12
	s_add_i32 s14, s8, -6
	s_set_gpr_idx_on s13, gpr_idx(SRC0)
	v_mov_b32_e32 v43, v12
	s_set_gpr_idx_off
	ds_read2_b32 v[44:45], v40 offset1:1
	s_add_i32 s15, s8, -5
	s_set_gpr_idx_on s14, gpr_idx(SRC0)
	v_mov_b32_e32 v50, v12
	s_set_gpr_idx_off
	s_add_i32 s16, s8, -4
	s_set_gpr_idx_on s15, gpr_idx(SRC0)
	v_mov_b32_e32 v51, v12
	s_set_gpr_idx_off
	ds_read2_b32 v[46:47], v40 offset0:2 offset1:3
	s_add_i32 s17, s8, -3
	s_set_gpr_idx_on s16, gpr_idx(SRC0)
	v_mov_b32_e32 v52, v12
	s_set_gpr_idx_off
	s_add_i32 s20, s8, -2
	s_set_gpr_idx_on s17, gpr_idx(SRC0)
	v_mov_b32_e32 v53, v12
	s_set_gpr_idx_off
	ds_read2_b32 v[48:49], v40 offset0:4 offset1:5
	s_add_i32 s21, s8, -1
	s_waitcnt lgkmcnt(2)
	v_fmac_f32_e32 v41, v43, v44
	s_set_gpr_idx_on s20, gpr_idx(SRC0)
	v_mov_b32_e32 v43, v12
	s_set_gpr_idx_off
	v_fmac_f32_e32 v41, v50, v45
	s_set_gpr_idx_on s21, gpr_idx(SRC0)
	v_mov_b32_e32 v50, v12
	s_set_gpr_idx_off
	ds_read2_b32 v[44:45], v40 offset0:6 offset1:7
	s_waitcnt lgkmcnt(2)
	v_fmac_f32_e32 v41, v51, v46
	s_set_gpr_idx_on s8, gpr_idx(SRC0)
	v_mov_b32_e32 v46, v12
	s_set_gpr_idx_off
	v_fmac_f32_e32 v41, v52, v47
	s_add_u32 s8, s8, 8
	s_waitcnt lgkmcnt(1)
	v_fmac_f32_e32 v41, v53, v48
	v_add_u32_e32 v40, s8, v42
	v_fmac_f32_e32 v41, v43, v49
	s_addc_u32 s9, s9, 0
	s_add_i32 s12, s12, 32
	s_add_i32 s13, s8, -7
	v_cmp_eq_u32_e32 vcc, 10, v40
	s_waitcnt lgkmcnt(0)
	v_fmac_f32_e32 v41, v50, v44
	v_mov_b32_e32 v40, s13
	s_or_b64 s[10:11], vcc, s[10:11]
	v_fmac_f32_e32 v41, v46, v45
	s_andn2_b64 exec, exec, s[10:11]
	s_cbranch_execnz .LBB8_73
; %bb.74:
	s_or_b64 exec, exec, s[10:11]
.LBB8_75:
	s_or_b64 exec, exec, s[2:3]
	v_and_b32_e32 v42, 7, v11
	v_cmp_ne_u32_e32 vcc, 0, v42
	s_and_saveexec_b64 s[8:9], vcc
	s_cbranch_execz .LBB8_79
; %bb.76:
	v_lshl_add_u32 v43, v40, 2, 48
	v_mov_b32_e32 v11, 0
	s_mov_b64 s[10:11], 0
.LBB8_77:                               ; =>This Inner Loop Header: Depth=1
	v_cmp_eq_u32_e32 vcc, 1, v40
	v_cndmask_b32_e32 v44, v12, v13, vcc
	v_add_u32_e32 v42, -1, v42
	v_cmp_eq_u32_e32 vcc, 2, v40
	v_cndmask_b32_e32 v44, v44, v14, vcc
	v_cmp_eq_u32_e32 vcc, 0, v42
	v_cmp_eq_u32_e64 s[2:3], 3, v40
	v_cndmask_b32_e64 v44, v44, v15, s[2:3]
	s_or_b64 s[10:11], vcc, s[10:11]
	v_cmp_eq_u32_e32 vcc, 4, v40
	ds_read_b32 v45, v43
	v_cndmask_b32_e32 v44, v44, v16, vcc
	v_cmp_eq_u32_e32 vcc, 5, v40
	v_cndmask_b32_e32 v44, v44, v17, vcc
	v_cmp_eq_u32_e32 vcc, 6, v40
	;; [unrolled: 2-line block ×4, first 2 shown]
	v_add_co_u32_e64 v40, s[2:3], 1, v40
	v_cndmask_b32_e32 v44, v44, v20, vcc
	v_add_u32_e32 v43, 4, v43
	v_addc_co_u32_e64 v11, s[2:3], 0, v11, s[2:3]
	s_waitcnt lgkmcnt(0)
	v_fmac_f32_e32 v41, v44, v45
	s_andn2_b64 exec, exec, s[10:11]
	s_cbranch_execnz .LBB8_77
; %bb.78:
	s_or_b64 exec, exec, s[10:11]
.LBB8_79:
	s_or_b64 exec, exec, s[8:9]
.LBB8_80:
	s_or_b64 exec, exec, s[6:7]
	v_mov_b32_e32 v11, 0
	ds_read_b32 v11, v11 offset:8
	s_waitcnt lgkmcnt(0)
	v_mul_f32_e32 v14, v41, v11
.LBB8_81:
	s_or_b64 exec, exec, s[4:5]
	v_cmp_lt_u32_e64 s[2:3], 1, v0
	ds_write_b32 v21, v13
	s_waitcnt lgkmcnt(0)
	; wave barrier
	s_waitcnt lgkmcnt(0)
	s_and_saveexec_b64 s[4:5], s[2:3]
	s_cbranch_execz .LBB8_97
; %bb.82:
	s_andn2_b64 vcc, exec, s[18:19]
	s_cbranch_vccnz .LBB8_84
; %bb.83:
	v_cmp_eq_u32_e32 vcc, 1, v0
	v_cndmask_b32_e32 v11, v12, v13, vcc
	v_cmp_eq_u32_e32 vcc, 2, v0
	v_cndmask_b32_e32 v11, v11, v14, vcc
	;; [unrolled: 2-line block ×4, first 2 shown]
	v_cmp_eq_u32_e32 vcc, 5, v0
	ds_read_b32 v40, v21
	v_cndmask_b32_e32 v11, v11, v17, vcc
	v_cmp_eq_u32_e32 vcc, 6, v0
	v_cndmask_b32_e32 v11, v11, v18, vcc
	v_cmp_eq_u32_e32 vcc, 7, v0
	;; [unrolled: 2-line block ×3, first 2 shown]
	v_cndmask_b32_e32 v11, v11, v20, vcc
	s_waitcnt lgkmcnt(0)
	v_mul_f32_e32 v41, v11, v40
	s_cbranch_execz .LBB8_85
	s_branch .LBB8_86
.LBB8_84:
                                        ; implicit-def: $vgpr41
.LBB8_85:
	ds_read_b32 v41, v21
.LBB8_86:
	s_and_saveexec_b64 s[6:7], s[0:1]
	s_cbranch_execz .LBB8_96
; %bb.87:
	v_add_u32_e32 v40, -3, v0
	v_add_u32_e32 v11, -2, v0
	v_cmp_lt_u32_e32 vcc, 6, v40
	v_mov_b32_e32 v40, 2
	s_and_saveexec_b64 s[0:1], vcc
	s_cbranch_execz .LBB8_91
; %bb.88:
	v_and_b32_e32 v40, -8, v11
	v_sub_u32_e32 v42, 0, v40
	s_mov_b64 s[8:9], 9
	s_mov_b32 s12, 56
	s_mov_b64 s[10:11], 0
.LBB8_89:                               ; =>This Inner Loop Header: Depth=1
	s_add_i32 s13, s8, -7
	v_mov_b32_e32 v40, s12
	s_add_i32 s14, s8, -6
	s_set_gpr_idx_on s13, gpr_idx(SRC0)
	v_mov_b32_e32 v43, v12
	s_set_gpr_idx_off
	ds_read2_b64 v[44:47], v40 offset1:1
	s_add_i32 s15, s8, -5
	s_set_gpr_idx_on s14, gpr_idx(SRC0)
	v_mov_b32_e32 v52, v12
	s_set_gpr_idx_off
	s_add_i32 s16, s8, -4
	s_set_gpr_idx_on s15, gpr_idx(SRC0)
	v_mov_b32_e32 v53, v12
	s_set_gpr_idx_off
	;; [unrolled: 4-line block ×4, first 2 shown]
	ds_read2_b64 v[48:51], v40 offset0:2 offset1:3
	s_add_i32 s21, s8, -1
	s_waitcnt lgkmcnt(1)
	v_fmac_f32_e32 v41, v43, v44
	s_set_gpr_idx_on s20, gpr_idx(SRC0)
	v_mov_b32_e32 v43, v12
	s_set_gpr_idx_off
	v_fmac_f32_e32 v41, v52, v45
	s_set_gpr_idx_on s21, gpr_idx(SRC0)
	v_mov_b32_e32 v44, v12
	s_set_gpr_idx_off
	;; [unrolled: 4-line block ×3, first 2 shown]
	v_fmac_f32_e32 v41, v54, v47
	s_add_u32 s8, s8, 8
	s_waitcnt lgkmcnt(0)
	v_fmac_f32_e32 v41, v55, v48
	v_add_u32_e32 v40, s8, v42
	v_fmac_f32_e32 v41, v43, v49
	s_addc_u32 s9, s9, 0
	s_add_i32 s12, s12, 32
	s_add_i32 s13, s8, -7
	v_cmp_eq_u32_e32 vcc, 9, v40
	v_fmac_f32_e32 v41, v44, v50
	v_mov_b32_e32 v40, s13
	s_or_b64 s[10:11], vcc, s[10:11]
	v_fmac_f32_e32 v41, v45, v51
	s_andn2_b64 exec, exec, s[10:11]
	s_cbranch_execnz .LBB8_89
; %bb.90:
	s_or_b64 exec, exec, s[10:11]
.LBB8_91:
	s_or_b64 exec, exec, s[0:1]
	v_and_b32_e32 v42, 7, v11
	v_cmp_ne_u32_e32 vcc, 0, v42
	s_and_saveexec_b64 s[8:9], vcc
	s_cbranch_execz .LBB8_95
; %bb.92:
	v_lshl_add_u32 v43, v40, 2, 48
	v_mov_b32_e32 v11, 0
	s_mov_b64 s[10:11], 0
.LBB8_93:                               ; =>This Inner Loop Header: Depth=1
	v_cmp_eq_u32_e32 vcc, 1, v40
	v_cndmask_b32_e32 v44, v12, v13, vcc
	v_add_u32_e32 v42, -1, v42
	v_cmp_eq_u32_e32 vcc, 2, v40
	v_cndmask_b32_e32 v44, v44, v14, vcc
	v_cmp_eq_u32_e32 vcc, 0, v42
	v_cmp_eq_u32_e64 s[0:1], 3, v40
	v_cndmask_b32_e64 v44, v44, v15, s[0:1]
	s_or_b64 s[10:11], vcc, s[10:11]
	v_cmp_eq_u32_e32 vcc, 4, v40
	ds_read_b32 v45, v43
	v_cndmask_b32_e32 v44, v44, v16, vcc
	v_cmp_eq_u32_e32 vcc, 5, v40
	v_cndmask_b32_e32 v44, v44, v17, vcc
	v_cmp_eq_u32_e32 vcc, 6, v40
	;; [unrolled: 2-line block ×4, first 2 shown]
	v_add_co_u32_e64 v40, s[0:1], 1, v40
	v_cndmask_b32_e32 v44, v44, v20, vcc
	v_add_u32_e32 v43, 4, v43
	v_addc_co_u32_e64 v11, s[0:1], 0, v11, s[0:1]
	s_waitcnt lgkmcnt(0)
	v_fmac_f32_e32 v41, v44, v45
	s_andn2_b64 exec, exec, s[10:11]
	s_cbranch_execnz .LBB8_93
; %bb.94:
	s_or_b64 exec, exec, s[10:11]
.LBB8_95:
	s_or_b64 exec, exec, s[8:9]
.LBB8_96:
	s_or_b64 exec, exec, s[6:7]
	v_mov_b32_e32 v11, 0
	ds_read_b32 v11, v11 offset:4
	s_waitcnt lgkmcnt(0)
	v_mul_f32_e32 v13, v41, v11
.LBB8_97:
	s_or_b64 exec, exec, s[4:5]
	v_cmp_ne_u32_e32 vcc, 0, v0
	ds_write_b32 v21, v12
	s_waitcnt lgkmcnt(0)
	; wave barrier
	s_waitcnt lgkmcnt(0)
	s_and_saveexec_b64 s[4:5], vcc
	s_cbranch_execz .LBB8_113
; %bb.98:
	s_andn2_b64 vcc, exec, s[18:19]
	s_cbranch_vccnz .LBB8_100
; %bb.99:
	v_cmp_eq_u32_e32 vcc, 1, v0
	v_cndmask_b32_e32 v11, v12, v13, vcc
	v_cmp_eq_u32_e32 vcc, 2, v0
	v_cndmask_b32_e32 v11, v11, v14, vcc
	;; [unrolled: 2-line block ×4, first 2 shown]
	v_cmp_eq_u32_e32 vcc, 5, v0
	ds_read_b32 v40, v21
	v_cndmask_b32_e32 v11, v11, v17, vcc
	v_cmp_eq_u32_e32 vcc, 6, v0
	v_cndmask_b32_e32 v11, v11, v18, vcc
	v_cmp_eq_u32_e32 vcc, 7, v0
	;; [unrolled: 2-line block ×3, first 2 shown]
	v_cndmask_b32_e32 v11, v11, v20, vcc
	s_waitcnt lgkmcnt(0)
	v_mul_f32_e32 v41, v11, v40
	s_cbranch_execz .LBB8_101
	s_branch .LBB8_102
.LBB8_100:
                                        ; implicit-def: $vgpr41
.LBB8_101:
	ds_read_b32 v41, v21
.LBB8_102:
	s_and_saveexec_b64 s[6:7], s[2:3]
	s_cbranch_execz .LBB8_112
; %bb.103:
	v_add_u32_e32 v40, -2, v0
	v_add_u32_e32 v11, -1, v0
	v_cmp_lt_u32_e32 vcc, 6, v40
	v_mov_b32_e32 v40, 1
	s_and_saveexec_b64 s[0:1], vcc
	s_cbranch_execz .LBB8_107
; %bb.104:
	v_and_b32_e32 v40, -8, v11
	v_sub_u32_e32 v42, 0, v40
	s_mov_b64 s[2:3], 8
	s_mov_b32 s10, 52
	s_mov_b64 s[8:9], 0
.LBB8_105:                              ; =>This Inner Loop Header: Depth=1
	s_add_i32 s11, s2, -7
	v_mov_b32_e32 v40, s10
	s_add_i32 s12, s2, -6
	s_set_gpr_idx_on s11, gpr_idx(SRC0)
	v_mov_b32_e32 v43, v12
	s_set_gpr_idx_off
	ds_read2_b32 v[44:45], v40 offset1:1
	s_add_i32 s13, s2, -5
	s_set_gpr_idx_on s12, gpr_idx(SRC0)
	v_mov_b32_e32 v50, v12
	s_set_gpr_idx_off
	s_add_i32 s14, s2, -4
	s_set_gpr_idx_on s13, gpr_idx(SRC0)
	v_mov_b32_e32 v51, v12
	s_set_gpr_idx_off
	ds_read2_b32 v[46:47], v40 offset0:2 offset1:3
	s_add_i32 s15, s2, -3
	s_set_gpr_idx_on s14, gpr_idx(SRC0)
	v_mov_b32_e32 v52, v12
	s_set_gpr_idx_off
	s_add_i32 s16, s2, -2
	s_set_gpr_idx_on s15, gpr_idx(SRC0)
	v_mov_b32_e32 v53, v12
	s_set_gpr_idx_off
	ds_read2_b32 v[48:49], v40 offset0:4 offset1:5
	s_add_i32 s17, s2, -1
	s_waitcnt lgkmcnt(2)
	v_fmac_f32_e32 v41, v43, v44
	s_set_gpr_idx_on s16, gpr_idx(SRC0)
	v_mov_b32_e32 v43, v12
	s_set_gpr_idx_off
	v_fmac_f32_e32 v41, v50, v45
	s_set_gpr_idx_on s17, gpr_idx(SRC0)
	v_mov_b32_e32 v50, v12
	s_set_gpr_idx_off
	ds_read2_b32 v[44:45], v40 offset0:6 offset1:7
	s_waitcnt lgkmcnt(2)
	v_fmac_f32_e32 v41, v51, v46
	s_set_gpr_idx_on s2, gpr_idx(SRC0)
	v_mov_b32_e32 v46, v12
	s_set_gpr_idx_off
	v_fmac_f32_e32 v41, v52, v47
	s_add_u32 s2, s2, 8
	s_waitcnt lgkmcnt(1)
	v_fmac_f32_e32 v41, v53, v48
	v_add_u32_e32 v40, s2, v42
	v_fmac_f32_e32 v41, v43, v49
	s_addc_u32 s3, s3, 0
	s_add_i32 s10, s10, 32
	s_add_i32 s11, s2, -7
	v_cmp_eq_u32_e32 vcc, 8, v40
	s_waitcnt lgkmcnt(0)
	v_fmac_f32_e32 v41, v50, v44
	v_mov_b32_e32 v40, s11
	s_or_b64 s[8:9], vcc, s[8:9]
	v_fmac_f32_e32 v41, v46, v45
	s_andn2_b64 exec, exec, s[8:9]
	s_cbranch_execnz .LBB8_105
; %bb.106:
	s_or_b64 exec, exec, s[8:9]
.LBB8_107:
	s_or_b64 exec, exec, s[0:1]
	v_and_b32_e32 v42, 7, v11
	v_cmp_ne_u32_e32 vcc, 0, v42
	s_and_saveexec_b64 s[2:3], vcc
	s_cbranch_execz .LBB8_111
; %bb.108:
	v_lshl_add_u32 v43, v40, 2, 48
	v_mov_b32_e32 v11, 0
	s_mov_b64 s[8:9], 0
.LBB8_109:                              ; =>This Inner Loop Header: Depth=1
	v_cmp_eq_u32_e32 vcc, 1, v40
	v_cndmask_b32_e32 v44, v12, v13, vcc
	v_add_u32_e32 v42, -1, v42
	v_cmp_eq_u32_e32 vcc, 2, v40
	v_cndmask_b32_e32 v44, v44, v14, vcc
	v_cmp_eq_u32_e32 vcc, 0, v42
	v_cmp_eq_u32_e64 s[0:1], 3, v40
	v_cndmask_b32_e64 v44, v44, v15, s[0:1]
	s_or_b64 s[8:9], vcc, s[8:9]
	v_cmp_eq_u32_e32 vcc, 4, v40
	ds_read_b32 v45, v43
	v_cndmask_b32_e32 v44, v44, v16, vcc
	v_cmp_eq_u32_e32 vcc, 5, v40
	v_cndmask_b32_e32 v44, v44, v17, vcc
	v_cmp_eq_u32_e32 vcc, 6, v40
	v_cndmask_b32_e32 v44, v44, v18, vcc
	v_cmp_eq_u32_e32 vcc, 7, v40
	v_cndmask_b32_e32 v44, v44, v19, vcc
	v_cmp_eq_u32_e32 vcc, 8, v40
	v_add_co_u32_e64 v40, s[0:1], 1, v40
	v_cndmask_b32_e32 v44, v44, v20, vcc
	v_add_u32_e32 v43, 4, v43
	v_addc_co_u32_e64 v11, s[0:1], 0, v11, s[0:1]
	s_waitcnt lgkmcnt(0)
	v_fmac_f32_e32 v41, v44, v45
	s_andn2_b64 exec, exec, s[8:9]
	s_cbranch_execnz .LBB8_109
; %bb.110:
	s_or_b64 exec, exec, s[8:9]
.LBB8_111:
	s_or_b64 exec, exec, s[2:3]
.LBB8_112:
	s_or_b64 exec, exec, s[6:7]
	v_mov_b32_e32 v11, 0
	ds_read_b32 v11, v11
	s_waitcnt lgkmcnt(0)
	v_mul_f32_e32 v12, v41, v11
.LBB8_113:
	s_or_b64 exec, exec, s[4:5]
	s_branch .LBB8_187
.LBB8_114:
	v_cmp_eq_u32_e64 s[2:3], 0, v0
	s_waitcnt vmcnt(7)
	ds_write_b32 v21, v3
	s_waitcnt lgkmcnt(0)
	; wave barrier
	s_waitcnt lgkmcnt(0)
	s_and_saveexec_b64 s[0:1], s[2:3]
	s_cbranch_execz .LBB8_120
; %bb.115:
	s_and_b64 vcc, exec, s[18:19]
	s_cbranch_vccz .LBB8_117
; %bb.116:
	v_cmp_eq_u32_e32 vcc, 1, v0
	v_cndmask_b32_e32 v3, v2, v3, vcc
	v_cmp_eq_u32_e32 vcc, 2, v0
	s_waitcnt vmcnt(6)
	v_cndmask_b32_e32 v3, v3, v4, vcc
	v_cmp_eq_u32_e32 vcc, 3, v0
	s_waitcnt vmcnt(5)
	;; [unrolled: 3-line block ×3, first 2 shown]
	v_cndmask_b32_e32 v3, v3, v6, vcc
	v_cmp_eq_u32_e32 vcc, 5, v0
	ds_read_b32 v11, v21
	s_waitcnt vmcnt(3)
	v_cndmask_b32_e32 v3, v3, v7, vcc
	v_cmp_eq_u32_e32 vcc, 6, v0
	s_waitcnt vmcnt(2)
	v_cndmask_b32_e32 v3, v3, v8, vcc
	v_cmp_eq_u32_e32 vcc, 7, v0
	;; [unrolled: 3-line block ×3, first 2 shown]
	s_waitcnt vmcnt(0)
	v_cndmask_b32_e32 v3, v3, v10, vcc
	s_waitcnt lgkmcnt(0)
	v_mul_f32_e32 v3, v3, v11
	s_cbranch_execz .LBB8_118
	s_branch .LBB8_119
.LBB8_117:
                                        ; implicit-def: $vgpr3
.LBB8_118:
	ds_read_b32 v3, v21
.LBB8_119:
	v_mov_b32_e32 v11, 0
	ds_read_b32 v11, v11 offset:4
	s_waitcnt lgkmcnt(0)
	v_mul_f32_e32 v3, v3, v11
.LBB8_120:
	s_or_b64 exec, exec, s[0:1]
	v_cndmask_b32_e64 v12, 0, 1, s[18:19]
	v_add_u32_e32 v11, 1, v0
	v_cmp_gt_u32_e32 vcc, 2, v0
	v_cmp_ne_u32_e64 s[0:1], 1, v12
	s_waitcnt vmcnt(6)
	ds_write_b32 v21, v4
	s_waitcnt lgkmcnt(0)
	; wave barrier
	s_waitcnt lgkmcnt(0)
	s_and_saveexec_b64 s[4:5], vcc
	s_cbranch_execz .LBB8_128
; %bb.121:
	s_and_b64 vcc, exec, s[0:1]
	s_cbranch_vccnz .LBB8_123
; %bb.122:
	v_cmp_eq_u32_e32 vcc, 1, v0
	v_cndmask_b32_e32 v12, v2, v3, vcc
	v_cmp_eq_u32_e32 vcc, 2, v0
	v_cndmask_b32_e32 v12, v12, v4, vcc
	v_cmp_eq_u32_e32 vcc, 3, v0
	s_waitcnt vmcnt(5)
	v_cndmask_b32_e32 v12, v12, v5, vcc
	v_cmp_eq_u32_e32 vcc, 4, v0
	s_waitcnt vmcnt(4)
	v_cndmask_b32_e32 v12, v12, v6, vcc
	v_cmp_eq_u32_e32 vcc, 5, v0
	ds_read_b32 v13, v21
	s_waitcnt vmcnt(3)
	v_cndmask_b32_e32 v12, v12, v7, vcc
	v_cmp_eq_u32_e32 vcc, 6, v0
	s_waitcnt vmcnt(2)
	v_cndmask_b32_e32 v12, v12, v8, vcc
	v_cmp_eq_u32_e32 vcc, 7, v0
	;; [unrolled: 3-line block ×3, first 2 shown]
	s_waitcnt vmcnt(0)
	v_cndmask_b32_e32 v12, v12, v10, vcc
	s_waitcnt lgkmcnt(0)
	v_mul_f32_e32 v12, v12, v13
	s_cbranch_execz .LBB8_124
	s_branch .LBB8_125
.LBB8_123:
                                        ; implicit-def: $vgpr12
.LBB8_124:
	ds_read_b32 v12, v21
.LBB8_125:
	s_and_saveexec_b64 s[6:7], s[2:3]
	s_cbranch_execz .LBB8_127
; %bb.126:
	v_cmp_eq_u32_e32 vcc, 1, v11
	v_cndmask_b32_e32 v13, v2, v3, vcc
	v_cmp_eq_u32_e32 vcc, 2, v11
	v_cndmask_b32_e32 v4, v13, v4, vcc
	v_cmp_eq_u32_e32 vcc, 3, v11
	s_waitcnt vmcnt(5)
	v_cndmask_b32_e32 v4, v4, v5, vcc
	v_cmp_eq_u32_e32 vcc, 4, v11
	s_waitcnt vmcnt(4)
	v_cndmask_b32_e32 v4, v4, v6, vcc
	v_cmp_eq_u32_e32 vcc, 5, v11
	ds_read_b32 v13, v21 offset:4
	s_waitcnt vmcnt(3)
	v_cndmask_b32_e32 v4, v4, v7, vcc
	v_cmp_eq_u32_e32 vcc, 6, v11
	s_waitcnt vmcnt(2)
	v_cndmask_b32_e32 v4, v4, v8, vcc
	v_cmp_eq_u32_e32 vcc, 7, v11
	;; [unrolled: 3-line block ×3, first 2 shown]
	s_waitcnt vmcnt(0)
	v_cndmask_b32_e32 v4, v4, v10, vcc
	s_waitcnt lgkmcnt(0)
	v_fmac_f32_e32 v12, v4, v13
.LBB8_127:
	s_or_b64 exec, exec, s[6:7]
	v_mov_b32_e32 v4, 0
	ds_read_b32 v4, v4 offset:8
	s_waitcnt lgkmcnt(0)
	v_mul_f32_e32 v4, v12, v4
.LBB8_128:
	s_or_b64 exec, exec, s[4:5]
	v_cmp_gt_u32_e32 vcc, 3, v0
	s_waitcnt vmcnt(5)
	ds_write_b32 v21, v5
	s_waitcnt lgkmcnt(0)
	; wave barrier
	s_waitcnt lgkmcnt(0)
	s_and_saveexec_b64 s[4:5], vcc
	s_cbranch_execz .LBB8_136
; %bb.129:
	s_and_b64 vcc, exec, s[0:1]
	s_cbranch_vccnz .LBB8_131
; %bb.130:
	v_cmp_eq_u32_e32 vcc, 1, v0
	v_cndmask_b32_e32 v12, v2, v3, vcc
	v_cmp_eq_u32_e32 vcc, 2, v0
	v_cndmask_b32_e32 v12, v12, v4, vcc
	;; [unrolled: 2-line block ×3, first 2 shown]
	v_cmp_eq_u32_e32 vcc, 4, v0
	s_waitcnt vmcnt(4)
	v_cndmask_b32_e32 v12, v12, v6, vcc
	v_cmp_eq_u32_e32 vcc, 5, v0
	ds_read_b32 v13, v21
	s_waitcnt vmcnt(3)
	v_cndmask_b32_e32 v12, v12, v7, vcc
	v_cmp_eq_u32_e32 vcc, 6, v0
	s_waitcnt vmcnt(2)
	v_cndmask_b32_e32 v12, v12, v8, vcc
	v_cmp_eq_u32_e32 vcc, 7, v0
	;; [unrolled: 3-line block ×3, first 2 shown]
	s_waitcnt vmcnt(0)
	v_cndmask_b32_e32 v12, v12, v10, vcc
	s_waitcnt lgkmcnt(0)
	v_mul_f32_e32 v12, v12, v13
	s_cbranch_execz .LBB8_132
	s_branch .LBB8_133
.LBB8_131:
                                        ; implicit-def: $vgpr12
.LBB8_132:
	ds_read_b32 v12, v21
.LBB8_133:
	v_cmp_ne_u32_e32 vcc, 2, v0
	s_and_saveexec_b64 s[6:7], vcc
	s_cbranch_execz .LBB8_135
; %bb.134:
	v_cmp_eq_u32_e32 vcc, 1, v11
	v_cndmask_b32_e32 v13, v2, v3, vcc
	v_cmp_eq_u32_e32 vcc, 2, v11
	v_cndmask_b32_e32 v13, v13, v4, vcc
	;; [unrolled: 2-line block ×3, first 2 shown]
	v_cmp_eq_u32_e32 vcc, 4, v11
	s_waitcnt vmcnt(4)
	v_cndmask_b32_e32 v5, v5, v6, vcc
	v_cmp_eq_u32_e32 vcc, 5, v11
	v_mov_b32_e32 v13, 0
	s_waitcnt vmcnt(3)
	v_cndmask_b32_e32 v5, v5, v7, vcc
	v_cmp_eq_u32_e32 vcc, 6, v11
	ds_read_b32 v14, v21 offset:4
	ds_read_b32 v13, v13 offset:56
	s_waitcnt vmcnt(2)
	v_cndmask_b32_e32 v5, v5, v8, vcc
	v_cmp_eq_u32_e32 vcc, 7, v11
	s_waitcnt vmcnt(1)
	v_cndmask_b32_e32 v5, v5, v9, vcc
	v_cmp_eq_u32_e32 vcc, 8, v11
	s_waitcnt vmcnt(0)
	v_cndmask_b32_e32 v5, v5, v10, vcc
	s_waitcnt lgkmcnt(1)
	v_fmac_f32_e32 v12, v5, v14
	s_waitcnt lgkmcnt(0)
	v_fma_f32 v5, v4, v13, v12
	v_cndmask_b32_e64 v12, v12, v5, s[2:3]
.LBB8_135:
	s_or_b64 exec, exec, s[6:7]
	v_mov_b32_e32 v5, 0
	ds_read_b32 v5, v5 offset:12
	s_waitcnt lgkmcnt(0)
	v_mul_f32_e32 v5, v12, v5
.LBB8_136:
	s_or_b64 exec, exec, s[4:5]
	v_cmp_gt_u32_e32 vcc, 4, v0
	s_waitcnt vmcnt(4)
	ds_write_b32 v21, v6
	s_waitcnt lgkmcnt(0)
	; wave barrier
	s_waitcnt lgkmcnt(0)
	s_and_saveexec_b64 s[4:5], vcc
	s_cbranch_execz .LBB8_146
; %bb.137:
	s_and_b64 vcc, exec, s[0:1]
	s_cbranch_vccnz .LBB8_139
; %bb.138:
	v_cmp_eq_u32_e32 vcc, 1, v0
	v_cndmask_b32_e32 v11, v2, v3, vcc
	v_cmp_eq_u32_e32 vcc, 2, v0
	v_cndmask_b32_e32 v11, v11, v4, vcc
	;; [unrolled: 2-line block ×4, first 2 shown]
	v_cmp_eq_u32_e32 vcc, 5, v0
	ds_read_b32 v12, v21
	s_waitcnt vmcnt(3)
	v_cndmask_b32_e32 v11, v11, v7, vcc
	v_cmp_eq_u32_e32 vcc, 6, v0
	s_waitcnt vmcnt(2)
	v_cndmask_b32_e32 v11, v11, v8, vcc
	v_cmp_eq_u32_e32 vcc, 7, v0
	;; [unrolled: 3-line block ×3, first 2 shown]
	s_waitcnt vmcnt(0)
	v_cndmask_b32_e32 v11, v11, v10, vcc
	s_waitcnt lgkmcnt(0)
	v_mul_f32_e32 v11, v11, v12
	s_cbranch_execz .LBB8_140
	s_branch .LBB8_141
.LBB8_139:
                                        ; implicit-def: $vgpr11
.LBB8_140:
	ds_read_b32 v11, v21
.LBB8_141:
	v_cmp_ne_u32_e32 vcc, 3, v0
	s_and_saveexec_b64 s[6:7], vcc
	s_cbranch_execz .LBB8_145
; %bb.142:
	v_lshl_add_u32 v14, v0, 2, 52
	s_mov_b64 s[8:9], 0
	v_pk_mov_b32 v[12:13], v[0:1], v[0:1] op_sel:[0,1]
.LBB8_143:                              ; =>This Inner Loop Header: Depth=1
	v_add_co_u32_e32 v12, vcc, 1, v12
	v_addc_co_u32_e32 v13, vcc, 0, v13, vcc
	v_cmp_eq_u32_e32 vcc, 1, v12
	v_cndmask_b32_e32 v16, v2, v3, vcc
	v_cmp_lt_u32_e32 vcc, 2, v12
	v_cmp_eq_u32_e64 s[2:3], 2, v12
	v_cndmask_b32_e64 v16, v16, v4, s[2:3]
	s_or_b64 s[8:9], vcc, s[8:9]
	v_cmp_eq_u32_e32 vcc, 3, v12
	v_cndmask_b32_e32 v16, v16, v5, vcc
	v_cmp_eq_u32_e32 vcc, 4, v12
	ds_read_b32 v15, v14
	v_cndmask_b32_e32 v16, v16, v6, vcc
	v_cmp_eq_u32_e32 vcc, 5, v12
	s_waitcnt vmcnt(3)
	v_cndmask_b32_e32 v16, v16, v7, vcc
	v_cmp_eq_u32_e32 vcc, 6, v12
	s_waitcnt vmcnt(2)
	;; [unrolled: 3-line block ×4, first 2 shown]
	v_cndmask_b32_e32 v16, v16, v10, vcc
	v_add_u32_e32 v14, 4, v14
	s_waitcnt lgkmcnt(0)
	v_fmac_f32_e32 v11, v16, v15
	s_andn2_b64 exec, exec, s[8:9]
	s_cbranch_execnz .LBB8_143
; %bb.144:
	s_or_b64 exec, exec, s[8:9]
.LBB8_145:
	s_or_b64 exec, exec, s[6:7]
	v_mov_b32_e32 v6, 0
	ds_read_b32 v6, v6 offset:16
	s_waitcnt lgkmcnt(0)
	v_mul_f32_e32 v6, v11, v6
.LBB8_146:
	s_or_b64 exec, exec, s[4:5]
	v_cmp_gt_u32_e32 vcc, 5, v0
	s_waitcnt vmcnt(3)
	ds_write_b32 v21, v7
	s_waitcnt lgkmcnt(0)
	; wave barrier
	s_waitcnt lgkmcnt(0)
	s_and_saveexec_b64 s[4:5], vcc
	s_cbranch_execz .LBB8_156
; %bb.147:
	s_and_b64 vcc, exec, s[0:1]
	s_cbranch_vccnz .LBB8_149
; %bb.148:
	v_cmp_eq_u32_e32 vcc, 1, v0
	v_cndmask_b32_e32 v11, v2, v3, vcc
	v_cmp_eq_u32_e32 vcc, 2, v0
	v_cndmask_b32_e32 v11, v11, v4, vcc
	;; [unrolled: 2-line block ×4, first 2 shown]
	v_cmp_eq_u32_e32 vcc, 5, v0
	ds_read_b32 v12, v21
	v_cndmask_b32_e32 v11, v11, v7, vcc
	v_cmp_eq_u32_e32 vcc, 6, v0
	s_waitcnt vmcnt(2)
	v_cndmask_b32_e32 v11, v11, v8, vcc
	v_cmp_eq_u32_e32 vcc, 7, v0
	s_waitcnt vmcnt(1)
	;; [unrolled: 3-line block ×3, first 2 shown]
	v_cndmask_b32_e32 v11, v11, v10, vcc
	s_waitcnt lgkmcnt(0)
	v_mul_f32_e32 v11, v11, v12
	s_cbranch_execz .LBB8_150
	s_branch .LBB8_151
.LBB8_149:
                                        ; implicit-def: $vgpr11
.LBB8_150:
	ds_read_b32 v11, v21
.LBB8_151:
	v_cmp_ne_u32_e32 vcc, 4, v0
	s_and_saveexec_b64 s[6:7], vcc
	s_cbranch_execz .LBB8_155
; %bb.152:
	v_lshl_add_u32 v14, v0, 2, 52
	s_mov_b64 s[8:9], 0
	v_pk_mov_b32 v[12:13], v[0:1], v[0:1] op_sel:[0,1]
.LBB8_153:                              ; =>This Inner Loop Header: Depth=1
	v_add_co_u32_e32 v12, vcc, 1, v12
	v_addc_co_u32_e32 v13, vcc, 0, v13, vcc
	v_cmp_eq_u32_e32 vcc, 1, v12
	v_cndmask_b32_e32 v16, v2, v3, vcc
	v_cmp_lt_u32_e32 vcc, 3, v12
	v_cmp_eq_u32_e64 s[2:3], 2, v12
	v_cndmask_b32_e64 v16, v16, v4, s[2:3]
	s_or_b64 s[8:9], vcc, s[8:9]
	v_cmp_eq_u32_e32 vcc, 3, v12
	v_cndmask_b32_e32 v16, v16, v5, vcc
	v_cmp_eq_u32_e32 vcc, 4, v12
	ds_read_b32 v15, v14
	v_cndmask_b32_e32 v16, v16, v6, vcc
	v_cmp_eq_u32_e32 vcc, 5, v12
	v_cndmask_b32_e32 v16, v16, v7, vcc
	v_cmp_eq_u32_e32 vcc, 6, v12
	s_waitcnt vmcnt(2)
	v_cndmask_b32_e32 v16, v16, v8, vcc
	v_cmp_eq_u32_e32 vcc, 7, v12
	s_waitcnt vmcnt(1)
	;; [unrolled: 3-line block ×3, first 2 shown]
	v_cndmask_b32_e32 v16, v16, v10, vcc
	v_add_u32_e32 v14, 4, v14
	s_waitcnt lgkmcnt(0)
	v_fmac_f32_e32 v11, v16, v15
	s_andn2_b64 exec, exec, s[8:9]
	s_cbranch_execnz .LBB8_153
; %bb.154:
	s_or_b64 exec, exec, s[8:9]
.LBB8_155:
	s_or_b64 exec, exec, s[6:7]
	v_mov_b32_e32 v7, 0
	ds_read_b32 v7, v7 offset:20
	s_waitcnt lgkmcnt(0)
	v_mul_f32_e32 v7, v11, v7
.LBB8_156:
	s_or_b64 exec, exec, s[4:5]
	v_cmp_gt_u32_e32 vcc, 6, v0
	s_waitcnt vmcnt(2)
	ds_write_b32 v21, v8
	s_waitcnt lgkmcnt(0)
	; wave barrier
	s_waitcnt lgkmcnt(0)
	s_and_saveexec_b64 s[4:5], vcc
	s_cbranch_execz .LBB8_166
; %bb.157:
	s_and_b64 vcc, exec, s[0:1]
	s_cbranch_vccnz .LBB8_159
; %bb.158:
	v_cmp_eq_u32_e32 vcc, 1, v0
	v_cndmask_b32_e32 v11, v2, v3, vcc
	v_cmp_eq_u32_e32 vcc, 2, v0
	v_cndmask_b32_e32 v11, v11, v4, vcc
	;; [unrolled: 2-line block ×4, first 2 shown]
	v_cmp_eq_u32_e32 vcc, 5, v0
	ds_read_b32 v12, v21
	v_cndmask_b32_e32 v11, v11, v7, vcc
	v_cmp_eq_u32_e32 vcc, 6, v0
	v_cndmask_b32_e32 v11, v11, v8, vcc
	v_cmp_eq_u32_e32 vcc, 7, v0
	s_waitcnt vmcnt(1)
	v_cndmask_b32_e32 v11, v11, v9, vcc
	v_cmp_eq_u32_e32 vcc, 8, v0
	s_waitcnt vmcnt(0)
	v_cndmask_b32_e32 v11, v11, v10, vcc
	s_waitcnt lgkmcnt(0)
	v_mul_f32_e32 v11, v11, v12
	s_cbranch_execz .LBB8_160
	s_branch .LBB8_161
.LBB8_159:
                                        ; implicit-def: $vgpr11
.LBB8_160:
	ds_read_b32 v11, v21
.LBB8_161:
	v_cmp_ne_u32_e32 vcc, 5, v0
	s_and_saveexec_b64 s[6:7], vcc
	s_cbranch_execz .LBB8_165
; %bb.162:
	v_lshl_add_u32 v14, v0, 2, 52
	s_mov_b64 s[8:9], 0
	v_pk_mov_b32 v[12:13], v[0:1], v[0:1] op_sel:[0,1]
.LBB8_163:                              ; =>This Inner Loop Header: Depth=1
	v_add_co_u32_e32 v12, vcc, 1, v12
	v_addc_co_u32_e32 v13, vcc, 0, v13, vcc
	v_cmp_eq_u32_e32 vcc, 1, v12
	v_cndmask_b32_e32 v16, v2, v3, vcc
	v_cmp_lt_u32_e32 vcc, 4, v12
	v_cmp_eq_u32_e64 s[2:3], 2, v12
	v_cndmask_b32_e64 v16, v16, v4, s[2:3]
	s_or_b64 s[8:9], vcc, s[8:9]
	v_cmp_eq_u32_e32 vcc, 3, v12
	v_cndmask_b32_e32 v16, v16, v5, vcc
	v_cmp_eq_u32_e32 vcc, 4, v12
	ds_read_b32 v15, v14
	v_cndmask_b32_e32 v16, v16, v6, vcc
	v_cmp_eq_u32_e32 vcc, 5, v12
	v_cndmask_b32_e32 v16, v16, v7, vcc
	v_cmp_eq_u32_e32 vcc, 6, v12
	;; [unrolled: 2-line block ×3, first 2 shown]
	s_waitcnt vmcnt(1)
	v_cndmask_b32_e32 v16, v16, v9, vcc
	v_cmp_eq_u32_e32 vcc, 8, v12
	s_waitcnt vmcnt(0)
	v_cndmask_b32_e32 v16, v16, v10, vcc
	v_add_u32_e32 v14, 4, v14
	s_waitcnt lgkmcnt(0)
	v_fmac_f32_e32 v11, v16, v15
	s_andn2_b64 exec, exec, s[8:9]
	s_cbranch_execnz .LBB8_163
; %bb.164:
	s_or_b64 exec, exec, s[8:9]
.LBB8_165:
	s_or_b64 exec, exec, s[6:7]
	v_mov_b32_e32 v8, 0
	ds_read_b32 v8, v8 offset:24
	s_waitcnt lgkmcnt(0)
	v_mul_f32_e32 v8, v11, v8
.LBB8_166:
	s_or_b64 exec, exec, s[4:5]
	v_cmp_gt_u32_e64 s[2:3], 7, v0
	s_waitcnt vmcnt(1)
	ds_write_b32 v21, v9
	s_waitcnt lgkmcnt(0)
	; wave barrier
	s_waitcnt lgkmcnt(0)
	s_and_saveexec_b64 s[6:7], s[2:3]
	s_cbranch_execz .LBB8_176
; %bb.167:
	s_and_b64 vcc, exec, s[0:1]
	s_cbranch_vccnz .LBB8_169
; %bb.168:
	v_cmp_eq_u32_e32 vcc, 1, v0
	v_cndmask_b32_e32 v11, v2, v3, vcc
	v_cmp_eq_u32_e32 vcc, 2, v0
	v_cndmask_b32_e32 v11, v11, v4, vcc
	;; [unrolled: 2-line block ×4, first 2 shown]
	v_cmp_eq_u32_e32 vcc, 5, v0
	ds_read_b32 v12, v21
	v_cndmask_b32_e32 v11, v11, v7, vcc
	v_cmp_eq_u32_e32 vcc, 6, v0
	v_cndmask_b32_e32 v11, v11, v8, vcc
	v_cmp_eq_u32_e32 vcc, 7, v0
	;; [unrolled: 2-line block ×3, first 2 shown]
	s_waitcnt vmcnt(0)
	v_cndmask_b32_e32 v11, v11, v10, vcc
	s_waitcnt lgkmcnt(0)
	v_mul_f32_e32 v11, v11, v12
	s_cbranch_execz .LBB8_170
	s_branch .LBB8_171
.LBB8_169:
                                        ; implicit-def: $vgpr11
.LBB8_170:
	ds_read_b32 v11, v21
.LBB8_171:
	v_cmp_ne_u32_e32 vcc, 6, v0
	s_and_saveexec_b64 s[8:9], vcc
	s_cbranch_execz .LBB8_175
; %bb.172:
	v_lshl_add_u32 v14, v0, 2, 52
	s_mov_b64 s[10:11], 0
	v_pk_mov_b32 v[12:13], v[0:1], v[0:1] op_sel:[0,1]
.LBB8_173:                              ; =>This Inner Loop Header: Depth=1
	v_add_co_u32_e32 v12, vcc, 1, v12
	v_addc_co_u32_e32 v13, vcc, 0, v13, vcc
	v_cmp_eq_u32_e32 vcc, 1, v12
	v_cndmask_b32_e32 v16, v2, v3, vcc
	v_cmp_lt_u32_e32 vcc, 5, v12
	v_cmp_eq_u32_e64 s[4:5], 2, v12
	v_cndmask_b32_e64 v16, v16, v4, s[4:5]
	s_or_b64 s[10:11], vcc, s[10:11]
	v_cmp_eq_u32_e32 vcc, 3, v12
	v_cndmask_b32_e32 v16, v16, v5, vcc
	v_cmp_eq_u32_e32 vcc, 4, v12
	ds_read_b32 v15, v14
	v_cndmask_b32_e32 v16, v16, v6, vcc
	v_cmp_eq_u32_e32 vcc, 5, v12
	v_cndmask_b32_e32 v16, v16, v7, vcc
	v_cmp_eq_u32_e32 vcc, 6, v12
	;; [unrolled: 2-line block ×4, first 2 shown]
	s_waitcnt vmcnt(0)
	v_cndmask_b32_e32 v16, v16, v10, vcc
	v_add_u32_e32 v14, 4, v14
	s_waitcnt lgkmcnt(0)
	v_fmac_f32_e32 v11, v16, v15
	s_andn2_b64 exec, exec, s[10:11]
	s_cbranch_execnz .LBB8_173
; %bb.174:
	s_or_b64 exec, exec, s[10:11]
.LBB8_175:
	s_or_b64 exec, exec, s[8:9]
	v_mov_b32_e32 v9, 0
	ds_read_b32 v9, v9 offset:28
	s_waitcnt lgkmcnt(0)
	v_mul_f32_e32 v9, v11, v9
.LBB8_176:
	s_or_b64 exec, exec, s[6:7]
	v_cmp_ne_u32_e32 vcc, 8, v0
	s_waitcnt vmcnt(0)
	ds_write_b32 v21, v10
	s_waitcnt lgkmcnt(0)
	; wave barrier
	s_waitcnt lgkmcnt(0)
	s_and_saveexec_b64 s[4:5], vcc
	s_cbranch_execz .LBB8_186
; %bb.177:
	s_and_b64 vcc, exec, s[0:1]
	s_cbranch_vccnz .LBB8_179
; %bb.178:
	v_cmp_eq_u32_e32 vcc, 1, v0
	v_cndmask_b32_e32 v11, v2, v3, vcc
	v_cmp_eq_u32_e32 vcc, 2, v0
	v_cndmask_b32_e32 v11, v11, v4, vcc
	;; [unrolled: 2-line block ×4, first 2 shown]
	v_cmp_eq_u32_e32 vcc, 5, v0
	ds_read_b32 v12, v21
	v_cndmask_b32_e32 v11, v11, v7, vcc
	v_cmp_eq_u32_e32 vcc, 6, v0
	v_cndmask_b32_e32 v11, v11, v8, vcc
	v_cmp_eq_u32_e32 vcc, 7, v0
	;; [unrolled: 2-line block ×3, first 2 shown]
	v_cndmask_b32_e32 v11, v11, v10, vcc
	s_waitcnt lgkmcnt(0)
	v_mul_f32_e32 v11, v11, v12
	s_cbranch_execz .LBB8_180
	s_branch .LBB8_181
.LBB8_179:
                                        ; implicit-def: $vgpr11
.LBB8_180:
	ds_read_b32 v11, v21
.LBB8_181:
	s_and_saveexec_b64 s[6:7], s[2:3]
	s_cbranch_execz .LBB8_185
; %bb.182:
	v_lshl_add_u32 v12, v0, 2, 52
	s_mov_b64 s[2:3], 0
.LBB8_183:                              ; =>This Inner Loop Header: Depth=1
	v_add_co_u32_e32 v0, vcc, 1, v0
	v_addc_co_u32_e32 v1, vcc, 0, v1, vcc
	v_cmp_eq_u32_e32 vcc, 1, v0
	v_cndmask_b32_e32 v14, v2, v3, vcc
	v_cmp_lt_u32_e32 vcc, 6, v0
	v_cmp_eq_u32_e64 s[0:1], 2, v0
	v_cndmask_b32_e64 v14, v14, v4, s[0:1]
	s_or_b64 s[2:3], vcc, s[2:3]
	v_cmp_eq_u32_e32 vcc, 3, v0
	v_cndmask_b32_e32 v14, v14, v5, vcc
	v_cmp_eq_u32_e32 vcc, 4, v0
	ds_read_b32 v13, v12
	v_cndmask_b32_e32 v14, v14, v6, vcc
	v_cmp_eq_u32_e32 vcc, 5, v0
	v_cndmask_b32_e32 v14, v14, v7, vcc
	v_cmp_eq_u32_e32 vcc, 6, v0
	;; [unrolled: 2-line block ×4, first 2 shown]
	v_cndmask_b32_e32 v14, v14, v10, vcc
	v_add_u32_e32 v12, 4, v12
	s_waitcnt lgkmcnt(0)
	v_fmac_f32_e32 v11, v14, v13
	s_andn2_b64 exec, exec, s[2:3]
	s_cbranch_execnz .LBB8_183
; %bb.184:
	s_or_b64 exec, exec, s[2:3]
.LBB8_185:
	s_or_b64 exec, exec, s[6:7]
	v_mov_b32_e32 v0, 0
	ds_read_b32 v0, v0 offset:32
	s_waitcnt lgkmcnt(0)
	v_mul_f32_e32 v10, v11, v0
.LBB8_186:
	s_or_b64 exec, exec, s[4:5]
	v_mov_b32_e32 v20, v10
	v_mov_b32_e32 v19, v9
	;; [unrolled: 1-line block ×9, first 2 shown]
.LBB8_187:
	global_store_dword v[22:23], v12, off
	global_store_dword v[24:25], v13, off
	;; [unrolled: 1-line block ×9, first 2 shown]
.LBB8_188:
	s_endpgm
	.section	.rodata,"a",@progbits
	.p2align	6, 0x0
	.amdhsa_kernel _ZN9rocsolver6v33100L18trti2_kernel_smallILi9EfPfEEv13rocblas_fill_17rocblas_diagonal_T1_iil
		.amdhsa_group_segment_fixed_size 84
		.amdhsa_private_segment_fixed_size 0
		.amdhsa_kernarg_size 32
		.amdhsa_user_sgpr_count 6
		.amdhsa_user_sgpr_private_segment_buffer 1
		.amdhsa_user_sgpr_dispatch_ptr 0
		.amdhsa_user_sgpr_queue_ptr 0
		.amdhsa_user_sgpr_kernarg_segment_ptr 1
		.amdhsa_user_sgpr_dispatch_id 0
		.amdhsa_user_sgpr_flat_scratch_init 0
		.amdhsa_user_sgpr_kernarg_preload_length 0
		.amdhsa_user_sgpr_kernarg_preload_offset 0
		.amdhsa_user_sgpr_private_segment_size 0
		.amdhsa_uses_dynamic_stack 0
		.amdhsa_system_sgpr_private_segment_wavefront_offset 0
		.amdhsa_system_sgpr_workgroup_id_x 1
		.amdhsa_system_sgpr_workgroup_id_y 0
		.amdhsa_system_sgpr_workgroup_id_z 0
		.amdhsa_system_sgpr_workgroup_info 0
		.amdhsa_system_vgpr_workitem_id 0
		.amdhsa_next_free_vgpr 56
		.amdhsa_next_free_sgpr 28
		.amdhsa_accum_offset 56
		.amdhsa_reserve_vcc 1
		.amdhsa_reserve_flat_scratch 0
		.amdhsa_float_round_mode_32 0
		.amdhsa_float_round_mode_16_64 0
		.amdhsa_float_denorm_mode_32 3
		.amdhsa_float_denorm_mode_16_64 3
		.amdhsa_dx10_clamp 1
		.amdhsa_ieee_mode 1
		.amdhsa_fp16_overflow 0
		.amdhsa_tg_split 0
		.amdhsa_exception_fp_ieee_invalid_op 0
		.amdhsa_exception_fp_denorm_src 0
		.amdhsa_exception_fp_ieee_div_zero 0
		.amdhsa_exception_fp_ieee_overflow 0
		.amdhsa_exception_fp_ieee_underflow 0
		.amdhsa_exception_fp_ieee_inexact 0
		.amdhsa_exception_int_div_zero 0
	.end_amdhsa_kernel
	.section	.text._ZN9rocsolver6v33100L18trti2_kernel_smallILi9EfPfEEv13rocblas_fill_17rocblas_diagonal_T1_iil,"axG",@progbits,_ZN9rocsolver6v33100L18trti2_kernel_smallILi9EfPfEEv13rocblas_fill_17rocblas_diagonal_T1_iil,comdat
.Lfunc_end8:
	.size	_ZN9rocsolver6v33100L18trti2_kernel_smallILi9EfPfEEv13rocblas_fill_17rocblas_diagonal_T1_iil, .Lfunc_end8-_ZN9rocsolver6v33100L18trti2_kernel_smallILi9EfPfEEv13rocblas_fill_17rocblas_diagonal_T1_iil
                                        ; -- End function
	.section	.AMDGPU.csdata,"",@progbits
; Kernel info:
; codeLenInByte = 7532
; NumSgprs: 32
; NumVgprs: 56
; NumAgprs: 0
; TotalNumVgprs: 56
; ScratchSize: 0
; MemoryBound: 0
; FloatMode: 240
; IeeeMode: 1
; LDSByteSize: 84 bytes/workgroup (compile time only)
; SGPRBlocks: 3
; VGPRBlocks: 6
; NumSGPRsForWavesPerEU: 32
; NumVGPRsForWavesPerEU: 56
; AccumOffset: 56
; Occupancy: 8
; WaveLimiterHint : 0
; COMPUTE_PGM_RSRC2:SCRATCH_EN: 0
; COMPUTE_PGM_RSRC2:USER_SGPR: 6
; COMPUTE_PGM_RSRC2:TRAP_HANDLER: 0
; COMPUTE_PGM_RSRC2:TGID_X_EN: 1
; COMPUTE_PGM_RSRC2:TGID_Y_EN: 0
; COMPUTE_PGM_RSRC2:TGID_Z_EN: 0
; COMPUTE_PGM_RSRC2:TIDIG_COMP_CNT: 0
; COMPUTE_PGM_RSRC3_GFX90A:ACCUM_OFFSET: 13
; COMPUTE_PGM_RSRC3_GFX90A:TG_SPLIT: 0
	.section	.text._ZN9rocsolver6v33100L18trti2_kernel_smallILi10EfPfEEv13rocblas_fill_17rocblas_diagonal_T1_iil,"axG",@progbits,_ZN9rocsolver6v33100L18trti2_kernel_smallILi10EfPfEEv13rocblas_fill_17rocblas_diagonal_T1_iil,comdat
	.globl	_ZN9rocsolver6v33100L18trti2_kernel_smallILi10EfPfEEv13rocblas_fill_17rocblas_diagonal_T1_iil ; -- Begin function _ZN9rocsolver6v33100L18trti2_kernel_smallILi10EfPfEEv13rocblas_fill_17rocblas_diagonal_T1_iil
	.p2align	8
	.type	_ZN9rocsolver6v33100L18trti2_kernel_smallILi10EfPfEEv13rocblas_fill_17rocblas_diagonal_T1_iil,@function
_ZN9rocsolver6v33100L18trti2_kernel_smallILi10EfPfEEv13rocblas_fill_17rocblas_diagonal_T1_iil: ; @_ZN9rocsolver6v33100L18trti2_kernel_smallILi10EfPfEEv13rocblas_fill_17rocblas_diagonal_T1_iil
; %bb.0:
	v_cmp_gt_u32_e32 vcc, 10, v0
	s_and_saveexec_b64 s[0:1], vcc
	s_cbranch_execz .LBB9_226
; %bb.1:
	s_load_dwordx8 s[20:27], s[4:5], 0x0
	s_ashr_i32 s2, s6, 31
	v_lshlrev_b32_e32 v12, 2, v0
	v_mov_b32_e32 v13, -1.0
	s_waitcnt lgkmcnt(0)
	s_mul_i32 s3, s6, s27
	s_mul_hi_u32 s4, s6, s26
	s_add_i32 s3, s4, s3
	s_mul_i32 s2, s2, s26
	s_add_i32 s3, s3, s2
	s_mul_i32 s2, s6, s26
	s_ashr_i32 s1, s24, 31
	s_lshl_b64 s[2:3], s[2:3], 2
	s_mov_b32 s0, s24
	s_add_u32 s2, s22, s2
	s_addc_u32 s3, s23, s3
	s_lshl_b64 s[0:1], s[0:1], 2
	s_add_u32 s0, s2, s0
	s_addc_u32 s1, s3, s1
	v_mov_b32_e32 v1, s1
	v_add_co_u32_e32 v22, vcc, s0, v12
	s_ashr_i32 s3, s25, 31
	s_mov_b32 s2, s25
	v_addc_co_u32_e32 v23, vcc, 0, v1, vcc
	s_lshl_b64 s[2:3], s[2:3], 2
	v_add_co_u32_e32 v24, vcc, s2, v22
	s_add_i32 s2, s25, s25
	v_add_u32_e32 v2, s2, v0
	v_mov_b32_e32 v1, s3
	v_ashrrev_i32_e32 v3, 31, v2
	v_addc_co_u32_e32 v25, vcc, v23, v1, vcc
	v_lshlrev_b64 v[4:5], 2, v[2:3]
	v_add_u32_e32 v2, s25, v2
	v_mov_b32_e32 v1, s1
	v_add_co_u32_e32 v26, vcc, s0, v4
	v_ashrrev_i32_e32 v3, 31, v2
	v_addc_co_u32_e32 v27, vcc, v1, v5, vcc
	v_lshlrev_b64 v[4:5], 2, v[2:3]
	v_add_u32_e32 v2, s25, v2
	v_add_co_u32_e32 v28, vcc, s0, v4
	v_ashrrev_i32_e32 v3, 31, v2
	v_addc_co_u32_e32 v29, vcc, v1, v5, vcc
	v_lshlrev_b64 v[4:5], 2, v[2:3]
	v_add_u32_e32 v2, s25, v2
	;; [unrolled: 5-line block ×5, first 2 shown]
	v_add_co_u32_e32 v36, vcc, s0, v4
	v_ashrrev_i32_e32 v3, 31, v2
	v_addc_co_u32_e32 v37, vcc, v1, v5, vcc
	v_lshlrev_b64 v[4:5], 2, v[2:3]
	v_add_co_u32_e32 v38, vcc, s0, v4
	v_addc_co_u32_e32 v39, vcc, v1, v5, vcc
	global_load_dword v3, v[24:25], off
	global_load_dword v4, v[26:27], off
	;; [unrolled: 1-line block ×8, first 2 shown]
	v_add_u32_e32 v14, s25, v2
	v_ashrrev_i32_e32 v15, 31, v14
	v_lshlrev_b64 v[14:15], 2, v[14:15]
	v_add_co_u32_e32 v40, vcc, s0, v14
	v_addc_co_u32_e32 v41, vcc, v1, v15, vcc
	global_load_dword v2, v12, s[0:1]
	global_load_dword v11, v[40:41], off
	s_cmpk_lg_i32 s21, 0x84
	v_mov_b32_e32 v1, 0
	s_cselect_b64 s[22:23], -1, 0
	s_cmpk_eq_i32 s21, 0x84
	v_cmp_eq_u32_e64 s[0:1], 0, v0
	s_cbranch_scc1 .LBB9_3
; %bb.2:
	v_cmp_eq_u32_e64 s[2:3], 1, v0
	s_waitcnt vmcnt(1)
	v_cndmask_b32_e64 v13, v2, v3, s[2:3]
	v_cmp_eq_u32_e64 s[4:5], 2, v0
	v_cndmask_b32_e64 v13, v13, v4, s[4:5]
	v_cmp_eq_u32_e64 s[6:7], 3, v0
	;; [unrolled: 2-line block ×8, first 2 shown]
	s_waitcnt vmcnt(0)
	v_cndmask_b32_e64 v13, v13, v11, s[18:19]
	v_div_scale_f32 v14, s[24:25], v13, v13, 1.0
	v_rcp_f32_e32 v15, v14
	v_fma_f32 v16, -v14, v15, 1.0
	v_fmac_f32_e32 v15, v16, v15
	v_div_scale_f32 v16, vcc, 1.0, v13, 1.0
	v_mul_f32_e32 v17, v16, v15
	v_fma_f32 v18, -v14, v17, v16
	v_fmac_f32_e32 v17, v18, v15
	v_fma_f32 v14, -v14, v17, v16
	v_div_fmas_f32 v14, v14, v15, v17
	v_div_fixup_f32 v13, v14, v13, 1.0
	v_cndmask_b32_e64 v11, v11, v13, s[18:19]
	v_cndmask_b32_e64 v10, v10, v13, s[16:17]
	;; [unrolled: 1-line block ×10, first 2 shown]
	v_xor_b32_e32 v13, 0x80000000, v13
.LBB9_3:
	s_cmpk_eq_i32 s20, 0x79
	v_add_u32_e32 v45, 48, v12
	ds_write_b32 v12, v13
	s_cbranch_scc1 .LBB9_7
; %bb.4:
	s_waitcnt vmcnt(0)
	v_pk_mov_b32 v[20:21], v[10:11], v[10:11] op_sel:[0,1]
	v_cmp_eq_u32_e64 s[0:1], 9, v0
	v_pk_mov_b32 v[18:19], v[8:9], v[8:9] op_sel:[0,1]
	v_pk_mov_b32 v[16:17], v[6:7], v[6:7] op_sel:[0,1]
	;; [unrolled: 1-line block ×4, first 2 shown]
	ds_write_b32 v45, v10
	s_waitcnt lgkmcnt(0)
	; wave barrier
	s_waitcnt lgkmcnt(0)
	s_and_saveexec_b64 s[2:3], s[0:1]
	s_cbranch_execz .LBB9_11
; %bb.5:
	s_and_b64 vcc, exec, s[22:23]
	s_cbranch_vccz .LBB9_8
; %bb.6:
	v_cmp_eq_u32_e32 vcc, 1, v0
	v_cndmask_b32_e32 v12, v2, v3, vcc
	v_cmp_eq_u32_e32 vcc, 2, v0
	v_cndmask_b32_e32 v12, v12, v4, vcc
	;; [unrolled: 2-line block ×5, first 2 shown]
	v_cmp_eq_u32_e32 vcc, 6, v0
	ds_read_b32 v13, v45
	v_cndmask_b32_e32 v12, v12, v8, vcc
	v_cmp_eq_u32_e32 vcc, 7, v0
	v_cndmask_b32_e32 v12, v12, v9, vcc
	v_cmp_eq_u32_e32 vcc, 8, v0
	v_cndmask_b32_e32 v12, v12, v10, vcc
	v_cmp_eq_u32_e32 vcc, 9, v0
	v_cndmask_b32_e32 v12, v12, v11, vcc
	s_waitcnt lgkmcnt(0)
	v_mul_f32_e32 v12, v12, v13
	s_cbranch_execz .LBB9_9
	s_branch .LBB9_10
.LBB9_7:
                                        ; implicit-def: $vgpr12_vgpr13_vgpr14_vgpr15_vgpr16_vgpr17_vgpr18_vgpr19_vgpr20_vgpr21
	s_cbranch_execnz .LBB9_130
	s_branch .LBB9_225
.LBB9_8:
                                        ; implicit-def: $vgpr12
.LBB9_9:
	ds_read_b32 v12, v45
.LBB9_10:
	v_mov_b32_e32 v13, 0
	ds_read_b32 v13, v13 offset:32
	s_waitcnt lgkmcnt(0)
	v_mul_f32_e32 v42, v12, v13
	v_pk_mov_b32 v[20:21], v[10:11], v[10:11] op_sel:[0,1]
	v_pk_mov_b32 v[18:19], v[8:9], v[8:9] op_sel:[0,1]
	;; [unrolled: 1-line block ×5, first 2 shown]
	v_mov_b32_e32 v20, v42
.LBB9_11:
	s_or_b64 exec, exec, s[2:3]
	v_cmp_lt_u32_e64 s[2:3], 7, v0
	ds_write_b32 v45, v19
	s_waitcnt lgkmcnt(0)
	; wave barrier
	s_waitcnt lgkmcnt(0)
	s_and_saveexec_b64 s[4:5], s[2:3]
	s_cbranch_execz .LBB9_17
; %bb.12:
	s_andn2_b64 vcc, exec, s[22:23]
	s_cbranch_vccnz .LBB9_14
; %bb.13:
	v_cmp_eq_u32_e32 vcc, 1, v0
	v_cndmask_b32_e32 v42, v12, v13, vcc
	v_cmp_eq_u32_e32 vcc, 2, v0
	v_cndmask_b32_e32 v42, v42, v14, vcc
	;; [unrolled: 2-line block ×7, first 2 shown]
	ds_read_b32 v42, v45
	v_cmp_eq_u32_e32 vcc, 8, v0
	v_cndmask_b32_e32 v19, v19, v20, vcc
	v_cmp_eq_u32_e32 vcc, 9, v0
	v_cndmask_b32_e32 v19, v19, v21, vcc
	s_waitcnt lgkmcnt(0)
	v_mul_f32_e32 v19, v19, v42
	s_cbranch_execz .LBB9_15
	s_branch .LBB9_16
.LBB9_14:
                                        ; implicit-def: $vgpr19
.LBB9_15:
	ds_read_b32 v19, v45
.LBB9_16:
	v_mov_b32_e32 v42, 0
	ds_read2_b32 v[42:43], v42 offset0:7 offset1:20
	s_waitcnt lgkmcnt(0)
	v_fma_f32 v43, v20, v43, v19
	v_cndmask_b32_e64 v19, v19, v43, s[0:1]
	v_mul_f32_e32 v19, v19, v42
.LBB9_17:
	s_or_b64 exec, exec, s[4:5]
	v_cmp_lt_u32_e64 s[0:1], 6, v0
	ds_write_b32 v45, v18
	s_waitcnt lgkmcnt(0)
	; wave barrier
	s_waitcnt lgkmcnt(0)
	s_and_saveexec_b64 s[4:5], s[0:1]
	s_cbranch_execz .LBB9_33
; %bb.18:
	s_andn2_b64 vcc, exec, s[22:23]
	s_cbranch_vccnz .LBB9_20
; %bb.19:
	v_cmp_eq_u32_e32 vcc, 1, v0
	v_cndmask_b32_e32 v42, v12, v13, vcc
	v_cmp_eq_u32_e32 vcc, 2, v0
	v_cndmask_b32_e32 v42, v42, v14, vcc
	;; [unrolled: 2-line block ×5, first 2 shown]
	v_cmp_eq_u32_e32 vcc, 6, v0
	ds_read_b32 v43, v45
	v_cndmask_b32_e32 v42, v42, v18, vcc
	v_cmp_eq_u32_e32 vcc, 7, v0
	v_cndmask_b32_e32 v42, v42, v19, vcc
	v_cmp_eq_u32_e32 vcc, 8, v0
	;; [unrolled: 2-line block ×3, first 2 shown]
	v_cndmask_b32_e32 v42, v42, v21, vcc
	s_waitcnt lgkmcnt(0)
	v_mul_f32_e32 v46, v42, v43
	s_cbranch_execz .LBB9_21
	s_branch .LBB9_22
.LBB9_20:
                                        ; implicit-def: $vgpr46
.LBB9_21:
	ds_read_b32 v46, v45
.LBB9_22:
	s_and_saveexec_b64 s[6:7], s[2:3]
	s_cbranch_execz .LBB9_32
; %bb.23:
	v_add_u32_e32 v42, -8, v0
	v_add_u32_e32 v43, -7, v0
	v_cmp_lt_u32_e32 vcc, 6, v42
	v_mov_b32_e32 v42, 7
	s_and_saveexec_b64 s[2:3], vcc
	s_cbranch_execz .LBB9_27
; %bb.24:
	v_and_b32_e32 v42, -8, v43
	v_sub_u32_e32 v44, 0, v42
	s_mov_b64 s[8:9], 14
	s_movk_i32 s12, 0x4c
	s_mov_b64 s[10:11], 0
.LBB9_25:                               ; =>This Inner Loop Header: Depth=1
	s_add_i32 s13, s8, -7
	v_mov_b32_e32 v42, s12
	s_add_i32 s14, s8, -6
	s_set_gpr_idx_on s13, gpr_idx(SRC0)
	v_mov_b32_e32 v47, v12
	s_set_gpr_idx_off
	ds_read2_b32 v[48:49], v42 offset1:1
	s_add_i32 s15, s8, -5
	s_set_gpr_idx_on s14, gpr_idx(SRC0)
	v_mov_b32_e32 v54, v12
	s_set_gpr_idx_off
	s_add_i32 s16, s8, -4
	s_set_gpr_idx_on s15, gpr_idx(SRC0)
	v_mov_b32_e32 v55, v12
	s_set_gpr_idx_off
	ds_read2_b32 v[50:51], v42 offset0:2 offset1:3
	s_add_i32 s17, s8, -3
	s_set_gpr_idx_on s16, gpr_idx(SRC0)
	v_mov_b32_e32 v56, v12
	s_set_gpr_idx_off
	s_add_i32 s18, s8, -2
	s_set_gpr_idx_on s17, gpr_idx(SRC0)
	v_mov_b32_e32 v57, v12
	s_set_gpr_idx_off
	ds_read2_b32 v[52:53], v42 offset0:4 offset1:5
	s_add_i32 s19, s8, -1
	s_waitcnt lgkmcnt(2)
	v_fmac_f32_e32 v46, v47, v48
	s_set_gpr_idx_on s18, gpr_idx(SRC0)
	v_mov_b32_e32 v47, v12
	s_set_gpr_idx_off
	v_fmac_f32_e32 v46, v54, v49
	s_set_gpr_idx_on s19, gpr_idx(SRC0)
	v_mov_b32_e32 v54, v12
	s_set_gpr_idx_off
	ds_read2_b32 v[48:49], v42 offset0:6 offset1:7
	s_waitcnt lgkmcnt(2)
	v_fmac_f32_e32 v46, v55, v50
	s_set_gpr_idx_on s8, gpr_idx(SRC0)
	v_mov_b32_e32 v50, v12
	s_set_gpr_idx_off
	v_fmac_f32_e32 v46, v56, v51
	s_add_u32 s8, s8, 8
	s_waitcnt lgkmcnt(1)
	v_fmac_f32_e32 v46, v57, v52
	v_add_u32_e32 v42, s8, v44
	v_fmac_f32_e32 v46, v47, v53
	s_addc_u32 s9, s9, 0
	s_add_i32 s12, s12, 32
	s_add_i32 s13, s8, -7
	v_cmp_eq_u32_e32 vcc, 14, v42
	s_waitcnt lgkmcnt(0)
	v_fmac_f32_e32 v46, v54, v48
	v_mov_b32_e32 v42, s13
	s_or_b64 s[10:11], vcc, s[10:11]
	v_fmac_f32_e32 v46, v50, v49
	s_andn2_b64 exec, exec, s[10:11]
	s_cbranch_execnz .LBB9_25
; %bb.26:
	s_or_b64 exec, exec, s[10:11]
.LBB9_27:
	s_or_b64 exec, exec, s[2:3]
	v_and_b32_e32 v44, 7, v43
	v_cmp_ne_u32_e32 vcc, 0, v44
	s_and_saveexec_b64 s[8:9], vcc
	s_cbranch_execz .LBB9_31
; %bb.28:
	v_lshl_add_u32 v47, v42, 2, 48
	v_mov_b32_e32 v43, 0
	s_mov_b64 s[10:11], 0
.LBB9_29:                               ; =>This Inner Loop Header: Depth=1
	v_cmp_eq_u32_e32 vcc, 1, v42
	v_cndmask_b32_e32 v48, v12, v13, vcc
	v_add_u32_e32 v44, -1, v44
	v_cmp_eq_u32_e32 vcc, 2, v42
	v_cndmask_b32_e32 v48, v48, v14, vcc
	v_cmp_eq_u32_e32 vcc, 0, v44
	v_cmp_eq_u32_e64 s[2:3], 3, v42
	v_cndmask_b32_e64 v48, v48, v15, s[2:3]
	s_or_b64 s[10:11], vcc, s[10:11]
	v_cmp_eq_u32_e32 vcc, 4, v42
	v_cndmask_b32_e32 v48, v48, v16, vcc
	v_cmp_eq_u32_e32 vcc, 5, v42
	ds_read_b32 v49, v47
	v_cndmask_b32_e32 v48, v48, v17, vcc
	v_cmp_eq_u32_e32 vcc, 6, v42
	v_cndmask_b32_e32 v48, v48, v18, vcc
	v_cmp_eq_u32_e32 vcc, 7, v42
	;; [unrolled: 2-line block ×4, first 2 shown]
	v_add_co_u32_e64 v42, s[2:3], 1, v42
	v_cndmask_b32_e32 v48, v48, v21, vcc
	v_add_u32_e32 v47, 4, v47
	v_addc_co_u32_e64 v43, s[2:3], 0, v43, s[2:3]
	s_waitcnt lgkmcnt(0)
	v_fmac_f32_e32 v46, v48, v49
	s_andn2_b64 exec, exec, s[10:11]
	s_cbranch_execnz .LBB9_29
; %bb.30:
	s_or_b64 exec, exec, s[10:11]
.LBB9_31:
	s_or_b64 exec, exec, s[8:9]
.LBB9_32:
	s_or_b64 exec, exec, s[6:7]
	v_mov_b32_e32 v18, 0
	ds_read_b32 v18, v18 offset:24
	s_waitcnt lgkmcnt(0)
	v_mul_f32_e32 v18, v46, v18
.LBB9_33:
	s_or_b64 exec, exec, s[4:5]
	v_cmp_lt_u32_e64 s[2:3], 5, v0
	ds_write_b32 v45, v17
	s_waitcnt lgkmcnt(0)
	; wave barrier
	s_waitcnt lgkmcnt(0)
	s_and_saveexec_b64 s[4:5], s[2:3]
	s_cbranch_execz .LBB9_49
; %bb.34:
	s_andn2_b64 vcc, exec, s[22:23]
	s_cbranch_vccnz .LBB9_36
; %bb.35:
	v_cmp_eq_u32_e32 vcc, 1, v0
	v_cndmask_b32_e32 v42, v12, v13, vcc
	v_cmp_eq_u32_e32 vcc, 2, v0
	v_cndmask_b32_e32 v42, v42, v14, vcc
	;; [unrolled: 2-line block ×5, first 2 shown]
	v_cmp_eq_u32_e32 vcc, 6, v0
	ds_read_b32 v43, v45
	v_cndmask_b32_e32 v42, v42, v18, vcc
	v_cmp_eq_u32_e32 vcc, 7, v0
	v_cndmask_b32_e32 v42, v42, v19, vcc
	v_cmp_eq_u32_e32 vcc, 8, v0
	;; [unrolled: 2-line block ×3, first 2 shown]
	v_cndmask_b32_e32 v42, v42, v21, vcc
	s_waitcnt lgkmcnt(0)
	v_mul_f32_e32 v46, v42, v43
	s_cbranch_execz .LBB9_37
	s_branch .LBB9_38
.LBB9_36:
                                        ; implicit-def: $vgpr46
.LBB9_37:
	ds_read_b32 v46, v45
.LBB9_38:
	s_and_saveexec_b64 s[6:7], s[0:1]
	s_cbranch_execz .LBB9_48
; %bb.39:
	v_add_u32_e32 v42, -7, v0
	v_add_u32_e32 v43, -6, v0
	v_cmp_lt_u32_e32 vcc, 6, v42
	v_mov_b32_e32 v42, 6
	s_and_saveexec_b64 s[0:1], vcc
	s_cbranch_execz .LBB9_43
; %bb.40:
	v_and_b32_e32 v42, -8, v43
	v_sub_u32_e32 v44, 0, v42
	s_mov_b64 s[8:9], 13
	s_movk_i32 s12, 0x48
	s_mov_b64 s[10:11], 0
.LBB9_41:                               ; =>This Inner Loop Header: Depth=1
	s_add_i32 s13, s8, -7
	v_mov_b32_e32 v42, s12
	s_add_i32 s14, s8, -6
	s_set_gpr_idx_on s13, gpr_idx(SRC0)
	v_mov_b32_e32 v47, v12
	s_set_gpr_idx_off
	ds_read2_b64 v[48:51], v42 offset1:1
	s_add_i32 s15, s8, -5
	s_set_gpr_idx_on s14, gpr_idx(SRC0)
	v_mov_b32_e32 v56, v12
	s_set_gpr_idx_off
	s_add_i32 s16, s8, -4
	s_set_gpr_idx_on s15, gpr_idx(SRC0)
	v_mov_b32_e32 v57, v12
	s_set_gpr_idx_off
	;; [unrolled: 4-line block ×4, first 2 shown]
	ds_read2_b64 v[52:55], v42 offset0:2 offset1:3
	s_add_i32 s19, s8, -1
	s_waitcnt lgkmcnt(1)
	v_fmac_f32_e32 v46, v47, v48
	s_set_gpr_idx_on s18, gpr_idx(SRC0)
	v_mov_b32_e32 v47, v12
	s_set_gpr_idx_off
	v_fmac_f32_e32 v46, v56, v49
	s_set_gpr_idx_on s19, gpr_idx(SRC0)
	v_mov_b32_e32 v48, v12
	s_set_gpr_idx_off
	;; [unrolled: 4-line block ×3, first 2 shown]
	v_fmac_f32_e32 v46, v58, v51
	s_add_u32 s8, s8, 8
	s_waitcnt lgkmcnt(0)
	v_fmac_f32_e32 v46, v59, v52
	v_add_u32_e32 v42, s8, v44
	v_fmac_f32_e32 v46, v47, v53
	s_addc_u32 s9, s9, 0
	s_add_i32 s12, s12, 32
	s_add_i32 s13, s8, -7
	v_cmp_eq_u32_e32 vcc, 13, v42
	v_fmac_f32_e32 v46, v48, v54
	v_mov_b32_e32 v42, s13
	s_or_b64 s[10:11], vcc, s[10:11]
	v_fmac_f32_e32 v46, v49, v55
	s_andn2_b64 exec, exec, s[10:11]
	s_cbranch_execnz .LBB9_41
; %bb.42:
	s_or_b64 exec, exec, s[10:11]
.LBB9_43:
	s_or_b64 exec, exec, s[0:1]
	v_and_b32_e32 v44, 7, v43
	v_cmp_ne_u32_e32 vcc, 0, v44
	s_and_saveexec_b64 s[8:9], vcc
	s_cbranch_execz .LBB9_47
; %bb.44:
	v_lshl_add_u32 v47, v42, 2, 48
	v_mov_b32_e32 v43, 0
	s_mov_b64 s[10:11], 0
.LBB9_45:                               ; =>This Inner Loop Header: Depth=1
	v_cmp_eq_u32_e32 vcc, 1, v42
	v_cndmask_b32_e32 v48, v12, v13, vcc
	v_add_u32_e32 v44, -1, v44
	v_cmp_eq_u32_e32 vcc, 2, v42
	v_cndmask_b32_e32 v48, v48, v14, vcc
	v_cmp_eq_u32_e32 vcc, 0, v44
	v_cmp_eq_u32_e64 s[0:1], 3, v42
	v_cndmask_b32_e64 v48, v48, v15, s[0:1]
	s_or_b64 s[10:11], vcc, s[10:11]
	v_cmp_eq_u32_e32 vcc, 4, v42
	v_cndmask_b32_e32 v48, v48, v16, vcc
	v_cmp_eq_u32_e32 vcc, 5, v42
	ds_read_b32 v49, v47
	v_cndmask_b32_e32 v48, v48, v17, vcc
	v_cmp_eq_u32_e32 vcc, 6, v42
	v_cndmask_b32_e32 v48, v48, v18, vcc
	v_cmp_eq_u32_e32 vcc, 7, v42
	;; [unrolled: 2-line block ×4, first 2 shown]
	v_add_co_u32_e64 v42, s[0:1], 1, v42
	v_cndmask_b32_e32 v48, v48, v21, vcc
	v_add_u32_e32 v47, 4, v47
	v_addc_co_u32_e64 v43, s[0:1], 0, v43, s[0:1]
	s_waitcnt lgkmcnt(0)
	v_fmac_f32_e32 v46, v48, v49
	s_andn2_b64 exec, exec, s[10:11]
	s_cbranch_execnz .LBB9_45
; %bb.46:
	s_or_b64 exec, exec, s[10:11]
.LBB9_47:
	s_or_b64 exec, exec, s[8:9]
.LBB9_48:
	s_or_b64 exec, exec, s[6:7]
	v_mov_b32_e32 v17, 0
	ds_read_b32 v17, v17 offset:20
	s_waitcnt lgkmcnt(0)
	v_mul_f32_e32 v17, v46, v17
.LBB9_49:
	s_or_b64 exec, exec, s[4:5]
	v_cmp_lt_u32_e64 s[0:1], 4, v0
	ds_write_b32 v45, v16
	s_waitcnt lgkmcnt(0)
	; wave barrier
	s_waitcnt lgkmcnt(0)
	s_and_saveexec_b64 s[4:5], s[0:1]
	s_cbranch_execz .LBB9_65
; %bb.50:
	s_andn2_b64 vcc, exec, s[22:23]
	s_cbranch_vccnz .LBB9_52
; %bb.51:
	v_cmp_eq_u32_e32 vcc, 1, v0
	v_cndmask_b32_e32 v42, v12, v13, vcc
	v_cmp_eq_u32_e32 vcc, 2, v0
	v_cndmask_b32_e32 v42, v42, v14, vcc
	;; [unrolled: 2-line block ×5, first 2 shown]
	v_cmp_eq_u32_e32 vcc, 6, v0
	ds_read_b32 v43, v45
	v_cndmask_b32_e32 v42, v42, v18, vcc
	v_cmp_eq_u32_e32 vcc, 7, v0
	v_cndmask_b32_e32 v42, v42, v19, vcc
	v_cmp_eq_u32_e32 vcc, 8, v0
	;; [unrolled: 2-line block ×3, first 2 shown]
	v_cndmask_b32_e32 v42, v42, v21, vcc
	s_waitcnt lgkmcnt(0)
	v_mul_f32_e32 v46, v42, v43
	s_cbranch_execz .LBB9_53
	s_branch .LBB9_54
.LBB9_52:
                                        ; implicit-def: $vgpr46
.LBB9_53:
	ds_read_b32 v46, v45
.LBB9_54:
	s_and_saveexec_b64 s[6:7], s[2:3]
	s_cbranch_execz .LBB9_64
; %bb.55:
	v_add_u32_e32 v42, -6, v0
	v_add_u32_e32 v43, -5, v0
	v_cmp_lt_u32_e32 vcc, 6, v42
	v_mov_b32_e32 v42, 5
	s_and_saveexec_b64 s[2:3], vcc
	s_cbranch_execz .LBB9_59
; %bb.56:
	v_and_b32_e32 v42, -8, v43
	v_sub_u32_e32 v44, 0, v42
	s_mov_b64 s[8:9], 12
	s_movk_i32 s12, 0x44
	s_mov_b64 s[10:11], 0
.LBB9_57:                               ; =>This Inner Loop Header: Depth=1
	s_add_i32 s13, s8, -7
	v_mov_b32_e32 v42, s12
	s_add_i32 s14, s8, -6
	s_set_gpr_idx_on s13, gpr_idx(SRC0)
	v_mov_b32_e32 v47, v12
	s_set_gpr_idx_off
	ds_read2_b32 v[48:49], v42 offset1:1
	s_add_i32 s15, s8, -5
	s_set_gpr_idx_on s14, gpr_idx(SRC0)
	v_mov_b32_e32 v54, v12
	s_set_gpr_idx_off
	s_add_i32 s16, s8, -4
	s_set_gpr_idx_on s15, gpr_idx(SRC0)
	v_mov_b32_e32 v55, v12
	s_set_gpr_idx_off
	ds_read2_b32 v[50:51], v42 offset0:2 offset1:3
	s_add_i32 s17, s8, -3
	s_set_gpr_idx_on s16, gpr_idx(SRC0)
	v_mov_b32_e32 v56, v12
	s_set_gpr_idx_off
	s_add_i32 s18, s8, -2
	s_set_gpr_idx_on s17, gpr_idx(SRC0)
	v_mov_b32_e32 v57, v12
	s_set_gpr_idx_off
	ds_read2_b32 v[52:53], v42 offset0:4 offset1:5
	s_add_i32 s19, s8, -1
	s_waitcnt lgkmcnt(2)
	v_fmac_f32_e32 v46, v47, v48
	s_set_gpr_idx_on s18, gpr_idx(SRC0)
	v_mov_b32_e32 v47, v12
	s_set_gpr_idx_off
	v_fmac_f32_e32 v46, v54, v49
	s_set_gpr_idx_on s19, gpr_idx(SRC0)
	v_mov_b32_e32 v54, v12
	s_set_gpr_idx_off
	ds_read2_b32 v[48:49], v42 offset0:6 offset1:7
	s_waitcnt lgkmcnt(2)
	v_fmac_f32_e32 v46, v55, v50
	s_set_gpr_idx_on s8, gpr_idx(SRC0)
	v_mov_b32_e32 v50, v12
	s_set_gpr_idx_off
	v_fmac_f32_e32 v46, v56, v51
	s_add_u32 s8, s8, 8
	s_waitcnt lgkmcnt(1)
	v_fmac_f32_e32 v46, v57, v52
	v_add_u32_e32 v42, s8, v44
	v_fmac_f32_e32 v46, v47, v53
	s_addc_u32 s9, s9, 0
	s_add_i32 s12, s12, 32
	s_add_i32 s13, s8, -7
	v_cmp_eq_u32_e32 vcc, 12, v42
	s_waitcnt lgkmcnt(0)
	v_fmac_f32_e32 v46, v54, v48
	v_mov_b32_e32 v42, s13
	s_or_b64 s[10:11], vcc, s[10:11]
	v_fmac_f32_e32 v46, v50, v49
	s_andn2_b64 exec, exec, s[10:11]
	s_cbranch_execnz .LBB9_57
; %bb.58:
	s_or_b64 exec, exec, s[10:11]
.LBB9_59:
	s_or_b64 exec, exec, s[2:3]
	v_and_b32_e32 v44, 7, v43
	v_cmp_ne_u32_e32 vcc, 0, v44
	s_and_saveexec_b64 s[8:9], vcc
	s_cbranch_execz .LBB9_63
; %bb.60:
	v_lshl_add_u32 v47, v42, 2, 48
	v_mov_b32_e32 v43, 0
	s_mov_b64 s[10:11], 0
.LBB9_61:                               ; =>This Inner Loop Header: Depth=1
	v_cmp_eq_u32_e32 vcc, 1, v42
	v_cndmask_b32_e32 v48, v12, v13, vcc
	v_add_u32_e32 v44, -1, v44
	v_cmp_eq_u32_e32 vcc, 2, v42
	v_cndmask_b32_e32 v48, v48, v14, vcc
	v_cmp_eq_u32_e32 vcc, 0, v44
	v_cmp_eq_u32_e64 s[2:3], 3, v42
	v_cndmask_b32_e64 v48, v48, v15, s[2:3]
	s_or_b64 s[10:11], vcc, s[10:11]
	v_cmp_eq_u32_e32 vcc, 4, v42
	v_cndmask_b32_e32 v48, v48, v16, vcc
	v_cmp_eq_u32_e32 vcc, 5, v42
	ds_read_b32 v49, v47
	v_cndmask_b32_e32 v48, v48, v17, vcc
	v_cmp_eq_u32_e32 vcc, 6, v42
	v_cndmask_b32_e32 v48, v48, v18, vcc
	v_cmp_eq_u32_e32 vcc, 7, v42
	;; [unrolled: 2-line block ×4, first 2 shown]
	v_add_co_u32_e64 v42, s[2:3], 1, v42
	v_cndmask_b32_e32 v48, v48, v21, vcc
	v_add_u32_e32 v47, 4, v47
	v_addc_co_u32_e64 v43, s[2:3], 0, v43, s[2:3]
	s_waitcnt lgkmcnt(0)
	v_fmac_f32_e32 v46, v48, v49
	s_andn2_b64 exec, exec, s[10:11]
	s_cbranch_execnz .LBB9_61
; %bb.62:
	s_or_b64 exec, exec, s[10:11]
.LBB9_63:
	s_or_b64 exec, exec, s[8:9]
.LBB9_64:
	s_or_b64 exec, exec, s[6:7]
	v_mov_b32_e32 v16, 0
	ds_read_b32 v16, v16 offset:16
	s_waitcnt lgkmcnt(0)
	v_mul_f32_e32 v16, v46, v16
.LBB9_65:
	s_or_b64 exec, exec, s[4:5]
	v_cmp_lt_u32_e64 s[2:3], 3, v0
	ds_write_b32 v45, v15
	s_waitcnt lgkmcnt(0)
	; wave barrier
	s_waitcnt lgkmcnt(0)
	s_and_saveexec_b64 s[4:5], s[2:3]
	s_cbranch_execz .LBB9_81
; %bb.66:
	s_andn2_b64 vcc, exec, s[22:23]
	s_cbranch_vccnz .LBB9_68
; %bb.67:
	v_cmp_eq_u32_e32 vcc, 1, v0
	v_cndmask_b32_e32 v42, v12, v13, vcc
	v_cmp_eq_u32_e32 vcc, 2, v0
	v_cndmask_b32_e32 v42, v42, v14, vcc
	;; [unrolled: 2-line block ×5, first 2 shown]
	v_cmp_eq_u32_e32 vcc, 6, v0
	ds_read_b32 v43, v45
	v_cndmask_b32_e32 v42, v42, v18, vcc
	v_cmp_eq_u32_e32 vcc, 7, v0
	v_cndmask_b32_e32 v42, v42, v19, vcc
	v_cmp_eq_u32_e32 vcc, 8, v0
	;; [unrolled: 2-line block ×3, first 2 shown]
	v_cndmask_b32_e32 v42, v42, v21, vcc
	s_waitcnt lgkmcnt(0)
	v_mul_f32_e32 v46, v42, v43
	s_cbranch_execz .LBB9_69
	s_branch .LBB9_70
.LBB9_68:
                                        ; implicit-def: $vgpr46
.LBB9_69:
	ds_read_b32 v46, v45
.LBB9_70:
	s_and_saveexec_b64 s[6:7], s[0:1]
	s_cbranch_execz .LBB9_80
; %bb.71:
	v_add_u32_e32 v42, -5, v0
	v_add_u32_e32 v43, -4, v0
	v_cmp_lt_u32_e32 vcc, 6, v42
	v_mov_b32_e32 v42, 4
	s_and_saveexec_b64 s[0:1], vcc
	s_cbranch_execz .LBB9_75
; %bb.72:
	v_and_b32_e32 v42, -8, v43
	v_sub_u32_e32 v44, 0, v42
	s_mov_b64 s[8:9], 5
	s_mov_b32 s12, 64
	s_mov_b64 s[10:11], 0
.LBB9_73:                               ; =>This Inner Loop Header: Depth=1
	s_add_i32 s13, s8, -1
	v_mov_b32_e32 v42, s12
	s_set_gpr_idx_on s13, gpr_idx(SRC0)
	v_mov_b32_e32 v47, v12
	s_set_gpr_idx_off
	s_add_i32 s14, s8, 1
	ds_read_b128 v[48:51], v42
	ds_read_b128 v[52:55], v42 offset:16
	s_set_gpr_idx_on s8, gpr_idx(SRC0)
	v_mov_b32_e32 v56, v12
	s_set_gpr_idx_off
	s_add_i32 s15, s8, 2
	s_set_gpr_idx_on s14, gpr_idx(SRC0)
	v_mov_b32_e32 v57, v12
	s_set_gpr_idx_off
	s_add_i32 s16, s8, 3
	;; [unrolled: 4-line block ×4, first 2 shown]
	s_waitcnt lgkmcnt(1)
	v_fmac_f32_e32 v46, v47, v48
	s_set_gpr_idx_on s17, gpr_idx(SRC0)
	v_mov_b32_e32 v47, v12
	s_set_gpr_idx_off
	s_add_i32 s19, s8, 6
	v_fmac_f32_e32 v46, v56, v49
	s_set_gpr_idx_on s18, gpr_idx(SRC0)
	v_mov_b32_e32 v48, v12
	s_set_gpr_idx_off
	v_fmac_f32_e32 v46, v57, v50
	s_set_gpr_idx_on s19, gpr_idx(SRC0)
	v_mov_b32_e32 v49, v12
	s_set_gpr_idx_off
	v_fmac_f32_e32 v46, v58, v51
	s_add_u32 s8, s8, 8
	s_waitcnt lgkmcnt(0)
	v_fmac_f32_e32 v46, v59, v52
	v_add_u32_e32 v42, s8, v44
	v_fmac_f32_e32 v46, v47, v53
	s_addc_u32 s9, s9, 0
	s_add_i32 s12, s12, 32
	s_add_i32 s13, s8, -1
	v_cmp_eq_u32_e32 vcc, 5, v42
	v_fmac_f32_e32 v46, v48, v54
	v_mov_b32_e32 v42, s13
	s_or_b64 s[10:11], vcc, s[10:11]
	v_fmac_f32_e32 v46, v49, v55
	s_andn2_b64 exec, exec, s[10:11]
	s_cbranch_execnz .LBB9_73
; %bb.74:
	s_or_b64 exec, exec, s[10:11]
.LBB9_75:
	s_or_b64 exec, exec, s[0:1]
	v_and_b32_e32 v44, 7, v43
	v_cmp_ne_u32_e32 vcc, 0, v44
	s_and_saveexec_b64 s[8:9], vcc
	s_cbranch_execz .LBB9_79
; %bb.76:
	v_lshl_add_u32 v47, v42, 2, 48
	v_mov_b32_e32 v43, 0
	s_mov_b64 s[10:11], 0
.LBB9_77:                               ; =>This Inner Loop Header: Depth=1
	v_cmp_eq_u32_e32 vcc, 1, v42
	v_cndmask_b32_e32 v48, v12, v13, vcc
	v_add_u32_e32 v44, -1, v44
	v_cmp_eq_u32_e32 vcc, 2, v42
	v_cndmask_b32_e32 v48, v48, v14, vcc
	v_cmp_eq_u32_e32 vcc, 0, v44
	v_cmp_eq_u32_e64 s[0:1], 3, v42
	v_cndmask_b32_e64 v48, v48, v15, s[0:1]
	s_or_b64 s[10:11], vcc, s[10:11]
	v_cmp_eq_u32_e32 vcc, 4, v42
	v_cndmask_b32_e32 v48, v48, v16, vcc
	v_cmp_eq_u32_e32 vcc, 5, v42
	ds_read_b32 v49, v47
	v_cndmask_b32_e32 v48, v48, v17, vcc
	v_cmp_eq_u32_e32 vcc, 6, v42
	v_cndmask_b32_e32 v48, v48, v18, vcc
	v_cmp_eq_u32_e32 vcc, 7, v42
	v_cndmask_b32_e32 v48, v48, v19, vcc
	v_cmp_eq_u32_e32 vcc, 8, v42
	v_cndmask_b32_e32 v48, v48, v20, vcc
	v_cmp_eq_u32_e32 vcc, 9, v42
	v_add_co_u32_e64 v42, s[0:1], 1, v42
	v_cndmask_b32_e32 v48, v48, v21, vcc
	v_add_u32_e32 v47, 4, v47
	v_addc_co_u32_e64 v43, s[0:1], 0, v43, s[0:1]
	s_waitcnt lgkmcnt(0)
	v_fmac_f32_e32 v46, v48, v49
	s_andn2_b64 exec, exec, s[10:11]
	s_cbranch_execnz .LBB9_77
; %bb.78:
	s_or_b64 exec, exec, s[10:11]
.LBB9_79:
	s_or_b64 exec, exec, s[8:9]
.LBB9_80:
	s_or_b64 exec, exec, s[6:7]
	v_mov_b32_e32 v15, 0
	ds_read_b32 v15, v15 offset:12
	s_waitcnt lgkmcnt(0)
	v_mul_f32_e32 v15, v46, v15
.LBB9_81:
	s_or_b64 exec, exec, s[4:5]
	v_cmp_lt_u32_e64 s[0:1], 2, v0
	ds_write_b32 v45, v14
	s_waitcnt lgkmcnt(0)
	; wave barrier
	s_waitcnt lgkmcnt(0)
	s_and_saveexec_b64 s[4:5], s[0:1]
	s_cbranch_execz .LBB9_97
; %bb.82:
	s_andn2_b64 vcc, exec, s[22:23]
	s_cbranch_vccnz .LBB9_84
; %bb.83:
	v_cmp_eq_u32_e32 vcc, 1, v0
	v_cndmask_b32_e32 v42, v12, v13, vcc
	v_cmp_eq_u32_e32 vcc, 2, v0
	v_cndmask_b32_e32 v42, v42, v14, vcc
	;; [unrolled: 2-line block ×5, first 2 shown]
	v_cmp_eq_u32_e32 vcc, 6, v0
	ds_read_b32 v43, v45
	v_cndmask_b32_e32 v42, v42, v18, vcc
	v_cmp_eq_u32_e32 vcc, 7, v0
	v_cndmask_b32_e32 v42, v42, v19, vcc
	v_cmp_eq_u32_e32 vcc, 8, v0
	;; [unrolled: 2-line block ×3, first 2 shown]
	v_cndmask_b32_e32 v42, v42, v21, vcc
	s_waitcnt lgkmcnt(0)
	v_mul_f32_e32 v46, v42, v43
	s_cbranch_execz .LBB9_85
	s_branch .LBB9_86
.LBB9_84:
                                        ; implicit-def: $vgpr46
.LBB9_85:
	ds_read_b32 v46, v45
.LBB9_86:
	s_and_saveexec_b64 s[6:7], s[2:3]
	s_cbranch_execz .LBB9_96
; %bb.87:
	v_add_u32_e32 v42, -4, v0
	v_add_u32_e32 v43, -3, v0
	v_cmp_lt_u32_e32 vcc, 6, v42
	v_mov_b32_e32 v42, 3
	s_and_saveexec_b64 s[2:3], vcc
	s_cbranch_execz .LBB9_91
; %bb.88:
	v_and_b32_e32 v42, -8, v43
	v_sub_u32_e32 v44, 0, v42
	s_mov_b64 s[8:9], 10
	s_mov_b32 s12, 60
	s_mov_b64 s[10:11], 0
.LBB9_89:                               ; =>This Inner Loop Header: Depth=1
	s_add_i32 s13, s8, -7
	v_mov_b32_e32 v42, s12
	s_add_i32 s14, s8, -6
	s_set_gpr_idx_on s13, gpr_idx(SRC0)
	v_mov_b32_e32 v47, v12
	s_set_gpr_idx_off
	ds_read2_b32 v[48:49], v42 offset1:1
	s_add_i32 s15, s8, -5
	s_set_gpr_idx_on s14, gpr_idx(SRC0)
	v_mov_b32_e32 v54, v12
	s_set_gpr_idx_off
	s_add_i32 s16, s8, -4
	s_set_gpr_idx_on s15, gpr_idx(SRC0)
	v_mov_b32_e32 v55, v12
	s_set_gpr_idx_off
	ds_read2_b32 v[50:51], v42 offset0:2 offset1:3
	s_add_i32 s17, s8, -3
	s_set_gpr_idx_on s16, gpr_idx(SRC0)
	v_mov_b32_e32 v56, v12
	s_set_gpr_idx_off
	s_add_i32 s18, s8, -2
	s_set_gpr_idx_on s17, gpr_idx(SRC0)
	v_mov_b32_e32 v57, v12
	s_set_gpr_idx_off
	ds_read2_b32 v[52:53], v42 offset0:4 offset1:5
	s_add_i32 s19, s8, -1
	s_waitcnt lgkmcnt(2)
	v_fmac_f32_e32 v46, v47, v48
	s_set_gpr_idx_on s18, gpr_idx(SRC0)
	v_mov_b32_e32 v47, v12
	s_set_gpr_idx_off
	v_fmac_f32_e32 v46, v54, v49
	s_set_gpr_idx_on s19, gpr_idx(SRC0)
	v_mov_b32_e32 v54, v12
	s_set_gpr_idx_off
	ds_read2_b32 v[48:49], v42 offset0:6 offset1:7
	s_waitcnt lgkmcnt(2)
	v_fmac_f32_e32 v46, v55, v50
	s_set_gpr_idx_on s8, gpr_idx(SRC0)
	v_mov_b32_e32 v50, v12
	s_set_gpr_idx_off
	v_fmac_f32_e32 v46, v56, v51
	s_add_u32 s8, s8, 8
	s_waitcnt lgkmcnt(1)
	v_fmac_f32_e32 v46, v57, v52
	v_add_u32_e32 v42, s8, v44
	v_fmac_f32_e32 v46, v47, v53
	s_addc_u32 s9, s9, 0
	s_add_i32 s12, s12, 32
	s_add_i32 s13, s8, -7
	v_cmp_eq_u32_e32 vcc, 10, v42
	s_waitcnt lgkmcnt(0)
	v_fmac_f32_e32 v46, v54, v48
	v_mov_b32_e32 v42, s13
	s_or_b64 s[10:11], vcc, s[10:11]
	v_fmac_f32_e32 v46, v50, v49
	s_andn2_b64 exec, exec, s[10:11]
	s_cbranch_execnz .LBB9_89
; %bb.90:
	s_or_b64 exec, exec, s[10:11]
.LBB9_91:
	s_or_b64 exec, exec, s[2:3]
	v_and_b32_e32 v44, 7, v43
	v_cmp_ne_u32_e32 vcc, 0, v44
	s_and_saveexec_b64 s[8:9], vcc
	s_cbranch_execz .LBB9_95
; %bb.92:
	v_lshl_add_u32 v47, v42, 2, 48
	v_mov_b32_e32 v43, 0
	s_mov_b64 s[10:11], 0
.LBB9_93:                               ; =>This Inner Loop Header: Depth=1
	v_cmp_eq_u32_e32 vcc, 1, v42
	v_cndmask_b32_e32 v48, v12, v13, vcc
	v_add_u32_e32 v44, -1, v44
	v_cmp_eq_u32_e32 vcc, 2, v42
	v_cndmask_b32_e32 v48, v48, v14, vcc
	v_cmp_eq_u32_e32 vcc, 0, v44
	v_cmp_eq_u32_e64 s[2:3], 3, v42
	v_cndmask_b32_e64 v48, v48, v15, s[2:3]
	s_or_b64 s[10:11], vcc, s[10:11]
	v_cmp_eq_u32_e32 vcc, 4, v42
	v_cndmask_b32_e32 v48, v48, v16, vcc
	v_cmp_eq_u32_e32 vcc, 5, v42
	ds_read_b32 v49, v47
	v_cndmask_b32_e32 v48, v48, v17, vcc
	v_cmp_eq_u32_e32 vcc, 6, v42
	v_cndmask_b32_e32 v48, v48, v18, vcc
	v_cmp_eq_u32_e32 vcc, 7, v42
	;; [unrolled: 2-line block ×4, first 2 shown]
	v_add_co_u32_e64 v42, s[2:3], 1, v42
	v_cndmask_b32_e32 v48, v48, v21, vcc
	v_add_u32_e32 v47, 4, v47
	v_addc_co_u32_e64 v43, s[2:3], 0, v43, s[2:3]
	s_waitcnt lgkmcnt(0)
	v_fmac_f32_e32 v46, v48, v49
	s_andn2_b64 exec, exec, s[10:11]
	s_cbranch_execnz .LBB9_93
; %bb.94:
	s_or_b64 exec, exec, s[10:11]
.LBB9_95:
	s_or_b64 exec, exec, s[8:9]
.LBB9_96:
	s_or_b64 exec, exec, s[6:7]
	v_mov_b32_e32 v14, 0
	ds_read_b32 v14, v14 offset:8
	s_waitcnt lgkmcnt(0)
	v_mul_f32_e32 v14, v46, v14
.LBB9_97:
	s_or_b64 exec, exec, s[4:5]
	v_cmp_lt_u32_e64 s[2:3], 1, v0
	ds_write_b32 v45, v13
	s_waitcnt lgkmcnt(0)
	; wave barrier
	s_waitcnt lgkmcnt(0)
	s_and_saveexec_b64 s[4:5], s[2:3]
	s_cbranch_execz .LBB9_113
; %bb.98:
	s_andn2_b64 vcc, exec, s[22:23]
	s_cbranch_vccnz .LBB9_100
; %bb.99:
	v_cmp_eq_u32_e32 vcc, 1, v0
	v_cndmask_b32_e32 v42, v12, v13, vcc
	v_cmp_eq_u32_e32 vcc, 2, v0
	v_cndmask_b32_e32 v42, v42, v14, vcc
	;; [unrolled: 2-line block ×5, first 2 shown]
	v_cmp_eq_u32_e32 vcc, 6, v0
	ds_read_b32 v43, v45
	v_cndmask_b32_e32 v42, v42, v18, vcc
	v_cmp_eq_u32_e32 vcc, 7, v0
	v_cndmask_b32_e32 v42, v42, v19, vcc
	v_cmp_eq_u32_e32 vcc, 8, v0
	;; [unrolled: 2-line block ×3, first 2 shown]
	v_cndmask_b32_e32 v42, v42, v21, vcc
	s_waitcnt lgkmcnt(0)
	v_mul_f32_e32 v46, v42, v43
	s_cbranch_execz .LBB9_101
	s_branch .LBB9_102
.LBB9_100:
                                        ; implicit-def: $vgpr46
.LBB9_101:
	ds_read_b32 v46, v45
.LBB9_102:
	s_and_saveexec_b64 s[6:7], s[0:1]
	s_cbranch_execz .LBB9_112
; %bb.103:
	v_add_u32_e32 v42, -3, v0
	v_add_u32_e32 v43, -2, v0
	v_cmp_lt_u32_e32 vcc, 6, v42
	v_mov_b32_e32 v42, 2
	s_and_saveexec_b64 s[0:1], vcc
	s_cbranch_execz .LBB9_107
; %bb.104:
	v_and_b32_e32 v42, -8, v43
	v_sub_u32_e32 v44, 0, v42
	s_mov_b64 s[8:9], 9
	s_mov_b32 s12, 56
	s_mov_b64 s[10:11], 0
.LBB9_105:                              ; =>This Inner Loop Header: Depth=1
	s_add_i32 s13, s8, -7
	v_mov_b32_e32 v42, s12
	s_add_i32 s14, s8, -6
	s_set_gpr_idx_on s13, gpr_idx(SRC0)
	v_mov_b32_e32 v47, v12
	s_set_gpr_idx_off
	ds_read2_b64 v[48:51], v42 offset1:1
	s_add_i32 s15, s8, -5
	s_set_gpr_idx_on s14, gpr_idx(SRC0)
	v_mov_b32_e32 v56, v12
	s_set_gpr_idx_off
	s_add_i32 s16, s8, -4
	s_set_gpr_idx_on s15, gpr_idx(SRC0)
	v_mov_b32_e32 v57, v12
	s_set_gpr_idx_off
	;; [unrolled: 4-line block ×4, first 2 shown]
	ds_read2_b64 v[52:55], v42 offset0:2 offset1:3
	s_add_i32 s19, s8, -1
	s_waitcnt lgkmcnt(1)
	v_fmac_f32_e32 v46, v47, v48
	s_set_gpr_idx_on s18, gpr_idx(SRC0)
	v_mov_b32_e32 v47, v12
	s_set_gpr_idx_off
	v_fmac_f32_e32 v46, v56, v49
	s_set_gpr_idx_on s19, gpr_idx(SRC0)
	v_mov_b32_e32 v48, v12
	s_set_gpr_idx_off
	;; [unrolled: 4-line block ×3, first 2 shown]
	v_fmac_f32_e32 v46, v58, v51
	s_add_u32 s8, s8, 8
	s_waitcnt lgkmcnt(0)
	v_fmac_f32_e32 v46, v59, v52
	v_add_u32_e32 v42, s8, v44
	v_fmac_f32_e32 v46, v47, v53
	s_addc_u32 s9, s9, 0
	s_add_i32 s12, s12, 32
	s_add_i32 s13, s8, -7
	v_cmp_eq_u32_e32 vcc, 9, v42
	v_fmac_f32_e32 v46, v48, v54
	v_mov_b32_e32 v42, s13
	s_or_b64 s[10:11], vcc, s[10:11]
	v_fmac_f32_e32 v46, v49, v55
	s_andn2_b64 exec, exec, s[10:11]
	s_cbranch_execnz .LBB9_105
; %bb.106:
	s_or_b64 exec, exec, s[10:11]
.LBB9_107:
	s_or_b64 exec, exec, s[0:1]
	v_and_b32_e32 v44, 7, v43
	v_cmp_ne_u32_e32 vcc, 0, v44
	s_and_saveexec_b64 s[8:9], vcc
	s_cbranch_execz .LBB9_111
; %bb.108:
	v_lshl_add_u32 v47, v42, 2, 48
	v_mov_b32_e32 v43, 0
	s_mov_b64 s[10:11], 0
.LBB9_109:                              ; =>This Inner Loop Header: Depth=1
	v_cmp_eq_u32_e32 vcc, 1, v42
	v_cndmask_b32_e32 v48, v12, v13, vcc
	v_add_u32_e32 v44, -1, v44
	v_cmp_eq_u32_e32 vcc, 2, v42
	v_cndmask_b32_e32 v48, v48, v14, vcc
	v_cmp_eq_u32_e32 vcc, 0, v44
	v_cmp_eq_u32_e64 s[0:1], 3, v42
	v_cndmask_b32_e64 v48, v48, v15, s[0:1]
	s_or_b64 s[10:11], vcc, s[10:11]
	v_cmp_eq_u32_e32 vcc, 4, v42
	v_cndmask_b32_e32 v48, v48, v16, vcc
	v_cmp_eq_u32_e32 vcc, 5, v42
	ds_read_b32 v49, v47
	v_cndmask_b32_e32 v48, v48, v17, vcc
	v_cmp_eq_u32_e32 vcc, 6, v42
	v_cndmask_b32_e32 v48, v48, v18, vcc
	v_cmp_eq_u32_e32 vcc, 7, v42
	;; [unrolled: 2-line block ×4, first 2 shown]
	v_add_co_u32_e64 v42, s[0:1], 1, v42
	v_cndmask_b32_e32 v48, v48, v21, vcc
	v_add_u32_e32 v47, 4, v47
	v_addc_co_u32_e64 v43, s[0:1], 0, v43, s[0:1]
	s_waitcnt lgkmcnt(0)
	v_fmac_f32_e32 v46, v48, v49
	s_andn2_b64 exec, exec, s[10:11]
	s_cbranch_execnz .LBB9_109
; %bb.110:
	s_or_b64 exec, exec, s[10:11]
.LBB9_111:
	s_or_b64 exec, exec, s[8:9]
.LBB9_112:
	s_or_b64 exec, exec, s[6:7]
	v_mov_b32_e32 v13, 0
	ds_read_b32 v13, v13 offset:4
	s_waitcnt lgkmcnt(0)
	v_mul_f32_e32 v13, v46, v13
.LBB9_113:
	s_or_b64 exec, exec, s[4:5]
	v_cmp_ne_u32_e32 vcc, 0, v0
	ds_write_b32 v45, v12
	s_waitcnt lgkmcnt(0)
	; wave barrier
	s_waitcnt lgkmcnt(0)
	s_and_saveexec_b64 s[4:5], vcc
	s_cbranch_execz .LBB9_129
; %bb.114:
	s_andn2_b64 vcc, exec, s[22:23]
	s_cbranch_vccnz .LBB9_116
; %bb.115:
	v_cmp_eq_u32_e32 vcc, 1, v0
	v_cndmask_b32_e32 v42, v12, v13, vcc
	v_cmp_eq_u32_e32 vcc, 2, v0
	v_cndmask_b32_e32 v42, v42, v14, vcc
	;; [unrolled: 2-line block ×5, first 2 shown]
	v_cmp_eq_u32_e32 vcc, 6, v0
	ds_read_b32 v43, v45
	v_cndmask_b32_e32 v42, v42, v18, vcc
	v_cmp_eq_u32_e32 vcc, 7, v0
	v_cndmask_b32_e32 v42, v42, v19, vcc
	v_cmp_eq_u32_e32 vcc, 8, v0
	;; [unrolled: 2-line block ×3, first 2 shown]
	v_cndmask_b32_e32 v42, v42, v21, vcc
	s_waitcnt lgkmcnt(0)
	v_mul_f32_e32 v46, v42, v43
	s_cbranch_execz .LBB9_117
	s_branch .LBB9_118
.LBB9_116:
                                        ; implicit-def: $vgpr46
.LBB9_117:
	ds_read_b32 v46, v45
.LBB9_118:
	s_and_saveexec_b64 s[6:7], s[2:3]
	s_cbranch_execz .LBB9_128
; %bb.119:
	v_add_u32_e32 v42, -2, v0
	v_add_u32_e32 v43, -1, v0
	v_cmp_lt_u32_e32 vcc, 6, v42
	v_mov_b32_e32 v42, 1
	s_and_saveexec_b64 s[0:1], vcc
	s_cbranch_execz .LBB9_123
; %bb.120:
	v_and_b32_e32 v42, -8, v43
	v_sub_u32_e32 v44, 0, v42
	s_mov_b64 s[2:3], 8
	s_mov_b32 s10, 52
	s_mov_b64 s[8:9], 0
.LBB9_121:                              ; =>This Inner Loop Header: Depth=1
	s_add_i32 s11, s2, -7
	v_mov_b32_e32 v42, s10
	s_add_i32 s12, s2, -6
	s_set_gpr_idx_on s11, gpr_idx(SRC0)
	v_mov_b32_e32 v47, v12
	s_set_gpr_idx_off
	ds_read2_b32 v[48:49], v42 offset1:1
	s_add_i32 s13, s2, -5
	s_set_gpr_idx_on s12, gpr_idx(SRC0)
	v_mov_b32_e32 v54, v12
	s_set_gpr_idx_off
	s_add_i32 s14, s2, -4
	s_set_gpr_idx_on s13, gpr_idx(SRC0)
	v_mov_b32_e32 v55, v12
	s_set_gpr_idx_off
	ds_read2_b32 v[50:51], v42 offset0:2 offset1:3
	s_add_i32 s15, s2, -3
	s_set_gpr_idx_on s14, gpr_idx(SRC0)
	v_mov_b32_e32 v56, v12
	s_set_gpr_idx_off
	s_add_i32 s16, s2, -2
	s_set_gpr_idx_on s15, gpr_idx(SRC0)
	v_mov_b32_e32 v57, v12
	s_set_gpr_idx_off
	ds_read2_b32 v[52:53], v42 offset0:4 offset1:5
	s_add_i32 s17, s2, -1
	s_waitcnt lgkmcnt(2)
	v_fmac_f32_e32 v46, v47, v48
	s_set_gpr_idx_on s16, gpr_idx(SRC0)
	v_mov_b32_e32 v47, v12
	s_set_gpr_idx_off
	v_fmac_f32_e32 v46, v54, v49
	s_set_gpr_idx_on s17, gpr_idx(SRC0)
	v_mov_b32_e32 v54, v12
	s_set_gpr_idx_off
	ds_read2_b32 v[48:49], v42 offset0:6 offset1:7
	s_waitcnt lgkmcnt(2)
	v_fmac_f32_e32 v46, v55, v50
	s_set_gpr_idx_on s2, gpr_idx(SRC0)
	v_mov_b32_e32 v50, v12
	s_set_gpr_idx_off
	v_fmac_f32_e32 v46, v56, v51
	s_add_u32 s2, s2, 8
	s_waitcnt lgkmcnt(1)
	v_fmac_f32_e32 v46, v57, v52
	v_add_u32_e32 v42, s2, v44
	v_fmac_f32_e32 v46, v47, v53
	s_addc_u32 s3, s3, 0
	s_add_i32 s10, s10, 32
	s_add_i32 s11, s2, -7
	v_cmp_eq_u32_e32 vcc, 8, v42
	s_waitcnt lgkmcnt(0)
	v_fmac_f32_e32 v46, v54, v48
	v_mov_b32_e32 v42, s11
	s_or_b64 s[8:9], vcc, s[8:9]
	v_fmac_f32_e32 v46, v50, v49
	s_andn2_b64 exec, exec, s[8:9]
	s_cbranch_execnz .LBB9_121
; %bb.122:
	s_or_b64 exec, exec, s[8:9]
.LBB9_123:
	s_or_b64 exec, exec, s[0:1]
	v_and_b32_e32 v44, 7, v43
	v_cmp_ne_u32_e32 vcc, 0, v44
	s_and_saveexec_b64 s[2:3], vcc
	s_cbranch_execz .LBB9_127
; %bb.124:
	v_lshl_add_u32 v47, v42, 2, 48
	v_mov_b32_e32 v43, 0
	s_mov_b64 s[8:9], 0
.LBB9_125:                              ; =>This Inner Loop Header: Depth=1
	v_cmp_eq_u32_e32 vcc, 1, v42
	v_cndmask_b32_e32 v48, v12, v13, vcc
	v_add_u32_e32 v44, -1, v44
	v_cmp_eq_u32_e32 vcc, 2, v42
	v_cndmask_b32_e32 v48, v48, v14, vcc
	v_cmp_eq_u32_e32 vcc, 0, v44
	v_cmp_eq_u32_e64 s[0:1], 3, v42
	v_cndmask_b32_e64 v48, v48, v15, s[0:1]
	s_or_b64 s[8:9], vcc, s[8:9]
	v_cmp_eq_u32_e32 vcc, 4, v42
	v_cndmask_b32_e32 v48, v48, v16, vcc
	v_cmp_eq_u32_e32 vcc, 5, v42
	ds_read_b32 v49, v47
	v_cndmask_b32_e32 v48, v48, v17, vcc
	v_cmp_eq_u32_e32 vcc, 6, v42
	v_cndmask_b32_e32 v48, v48, v18, vcc
	v_cmp_eq_u32_e32 vcc, 7, v42
	;; [unrolled: 2-line block ×4, first 2 shown]
	v_add_co_u32_e64 v42, s[0:1], 1, v42
	v_cndmask_b32_e32 v48, v48, v21, vcc
	v_add_u32_e32 v47, 4, v47
	v_addc_co_u32_e64 v43, s[0:1], 0, v43, s[0:1]
	s_waitcnt lgkmcnt(0)
	v_fmac_f32_e32 v46, v48, v49
	s_andn2_b64 exec, exec, s[8:9]
	s_cbranch_execnz .LBB9_125
; %bb.126:
	s_or_b64 exec, exec, s[8:9]
.LBB9_127:
	s_or_b64 exec, exec, s[2:3]
.LBB9_128:
	s_or_b64 exec, exec, s[6:7]
	v_mov_b32_e32 v12, 0
	ds_read_b32 v12, v12
	s_waitcnt lgkmcnt(0)
	v_mul_f32_e32 v12, v46, v12
.LBB9_129:
	s_or_b64 exec, exec, s[4:5]
	s_branch .LBB9_225
.LBB9_130:
	v_cmp_eq_u32_e64 s[0:1], 0, v0
	s_waitcnt vmcnt(9)
	ds_write_b32 v45, v3
	s_waitcnt lgkmcnt(0)
	; wave barrier
	s_waitcnt lgkmcnt(0)
	s_and_saveexec_b64 s[2:3], s[0:1]
	s_cbranch_execz .LBB9_136
; %bb.131:
	s_and_b64 vcc, exec, s[22:23]
	s_cbranch_vccz .LBB9_133
; %bb.132:
	v_cmp_eq_u32_e32 vcc, 1, v0
	s_waitcnt vmcnt(1)
	v_cndmask_b32_e32 v3, v2, v3, vcc
	v_cmp_eq_u32_e32 vcc, 2, v0
	v_cndmask_b32_e32 v3, v3, v4, vcc
	v_cmp_eq_u32_e32 vcc, 3, v0
	;; [unrolled: 2-line block ×5, first 2 shown]
	ds_read_b32 v12, v45
	v_cndmask_b32_e32 v3, v3, v8, vcc
	v_cmp_eq_u32_e32 vcc, 7, v0
	v_cndmask_b32_e32 v3, v3, v9, vcc
	v_cmp_eq_u32_e32 vcc, 8, v0
	;; [unrolled: 2-line block ×3, first 2 shown]
	s_waitcnt vmcnt(0)
	v_cndmask_b32_e32 v3, v3, v11, vcc
	s_waitcnt lgkmcnt(0)
	v_mul_f32_e32 v3, v3, v12
	s_cbranch_execz .LBB9_134
	s_branch .LBB9_135
.LBB9_133:
                                        ; implicit-def: $vgpr3
.LBB9_134:
	ds_read_b32 v3, v45
.LBB9_135:
	v_mov_b32_e32 v12, 0
	ds_read_b32 v12, v12 offset:4
	s_waitcnt lgkmcnt(0)
	v_mul_f32_e32 v3, v3, v12
.LBB9_136:
	s_or_b64 exec, exec, s[2:3]
	v_cndmask_b32_e64 v12, 0, 1, s[22:23]
	v_add_u32_e32 v14, 1, v0
	v_cmp_gt_u32_e64 s[2:3], 2, v0
	v_cmp_ne_u32_e64 s[4:5], 1, v12
	s_waitcnt vmcnt(8)
	ds_write_b32 v45, v4
	s_waitcnt lgkmcnt(0)
	; wave barrier
	s_waitcnt lgkmcnt(0)
	s_and_saveexec_b64 s[6:7], s[2:3]
	s_cbranch_execz .LBB9_144
; %bb.137:
	s_and_b64 vcc, exec, s[4:5]
	s_cbranch_vccnz .LBB9_139
; %bb.138:
	v_cmp_eq_u32_e32 vcc, 1, v0
	s_waitcnt vmcnt(1)
	v_cndmask_b32_e32 v12, v2, v3, vcc
	v_cmp_eq_u32_e32 vcc, 2, v0
	v_cndmask_b32_e32 v12, v12, v4, vcc
	v_cmp_eq_u32_e32 vcc, 3, v0
	;; [unrolled: 2-line block ×5, first 2 shown]
	ds_read_b32 v13, v45
	v_cndmask_b32_e32 v12, v12, v8, vcc
	v_cmp_eq_u32_e32 vcc, 7, v0
	v_cndmask_b32_e32 v12, v12, v9, vcc
	v_cmp_eq_u32_e32 vcc, 8, v0
	;; [unrolled: 2-line block ×3, first 2 shown]
	s_waitcnt vmcnt(0)
	v_cndmask_b32_e32 v12, v12, v11, vcc
	s_waitcnt lgkmcnt(0)
	v_mul_f32_e32 v12, v12, v13
	s_cbranch_execz .LBB9_140
	s_branch .LBB9_141
.LBB9_139:
                                        ; implicit-def: $vgpr12
.LBB9_140:
	ds_read_b32 v12, v45
.LBB9_141:
	s_and_saveexec_b64 s[8:9], s[0:1]
	s_cbranch_execz .LBB9_143
; %bb.142:
	v_cmp_eq_u32_e32 vcc, 1, v14
	s_waitcnt vmcnt(1)
	v_cndmask_b32_e32 v13, v2, v3, vcc
	v_cmp_eq_u32_e32 vcc, 2, v14
	v_cndmask_b32_e32 v4, v13, v4, vcc
	v_cmp_eq_u32_e32 vcc, 3, v14
	v_cndmask_b32_e32 v4, v4, v5, vcc
	v_cmp_eq_u32_e32 vcc, 4, v14
	v_cndmask_b32_e32 v4, v4, v6, vcc
	v_cmp_eq_u32_e32 vcc, 5, v14
	v_cndmask_b32_e32 v4, v4, v7, vcc
	v_cmp_eq_u32_e32 vcc, 6, v14
	ds_read_b32 v13, v45 offset:4
	v_cndmask_b32_e32 v4, v4, v8, vcc
	v_cmp_eq_u32_e32 vcc, 7, v14
	v_cndmask_b32_e32 v4, v4, v9, vcc
	v_cmp_eq_u32_e32 vcc, 8, v14
	;; [unrolled: 2-line block ×3, first 2 shown]
	s_waitcnt vmcnt(0)
	v_cndmask_b32_e32 v4, v4, v11, vcc
	s_waitcnt lgkmcnt(0)
	v_fmac_f32_e32 v12, v4, v13
.LBB9_143:
	s_or_b64 exec, exec, s[8:9]
	v_mov_b32_e32 v4, 0
	ds_read_b32 v4, v4 offset:8
	s_waitcnt lgkmcnt(0)
	v_mul_f32_e32 v4, v12, v4
.LBB9_144:
	s_or_b64 exec, exec, s[6:7]
	v_cmp_gt_u32_e32 vcc, 3, v0
	s_waitcnt vmcnt(7)
	ds_write_b32 v45, v5
	s_waitcnt lgkmcnt(0)
	; wave barrier
	s_waitcnt lgkmcnt(0)
	s_and_saveexec_b64 s[6:7], vcc
	s_cbranch_execz .LBB9_152
; %bb.145:
	s_and_b64 vcc, exec, s[4:5]
	s_cbranch_vccnz .LBB9_147
; %bb.146:
	v_cmp_eq_u32_e32 vcc, 1, v0
	s_waitcnt vmcnt(1)
	v_cndmask_b32_e32 v12, v2, v3, vcc
	v_cmp_eq_u32_e32 vcc, 2, v0
	v_cndmask_b32_e32 v12, v12, v4, vcc
	v_cmp_eq_u32_e32 vcc, 3, v0
	;; [unrolled: 2-line block ×5, first 2 shown]
	ds_read_b32 v13, v45
	v_cndmask_b32_e32 v12, v12, v8, vcc
	v_cmp_eq_u32_e32 vcc, 7, v0
	v_cndmask_b32_e32 v12, v12, v9, vcc
	v_cmp_eq_u32_e32 vcc, 8, v0
	;; [unrolled: 2-line block ×3, first 2 shown]
	s_waitcnt vmcnt(0)
	v_cndmask_b32_e32 v12, v12, v11, vcc
	s_waitcnt lgkmcnt(0)
	v_mul_f32_e32 v12, v12, v13
	s_cbranch_execz .LBB9_148
	s_branch .LBB9_149
.LBB9_147:
                                        ; implicit-def: $vgpr12
.LBB9_148:
	ds_read_b32 v12, v45
.LBB9_149:
	v_cmp_ne_u32_e32 vcc, 2, v0
	s_and_saveexec_b64 s[8:9], vcc
	s_cbranch_execz .LBB9_151
; %bb.150:
	v_cmp_eq_u32_e32 vcc, 1, v14
	s_waitcnt vmcnt(1)
	v_cndmask_b32_e32 v13, v2, v3, vcc
	v_cmp_eq_u32_e32 vcc, 2, v14
	v_cndmask_b32_e32 v13, v13, v4, vcc
	v_cmp_eq_u32_e32 vcc, 3, v14
	v_cndmask_b32_e32 v5, v13, v5, vcc
	v_cmp_eq_u32_e32 vcc, 4, v14
	v_cndmask_b32_e32 v5, v5, v6, vcc
	v_cmp_eq_u32_e32 vcc, 5, v14
	v_cndmask_b32_e32 v5, v5, v7, vcc
	v_cmp_eq_u32_e32 vcc, 6, v14
	v_mov_b32_e32 v13, 0
	v_cndmask_b32_e32 v5, v5, v8, vcc
	v_cmp_eq_u32_e32 vcc, 7, v14
	ds_read_b32 v15, v45 offset:4
	ds_read_b32 v13, v13 offset:56
	v_cndmask_b32_e32 v5, v5, v9, vcc
	v_cmp_eq_u32_e32 vcc, 8, v14
	v_cndmask_b32_e32 v5, v5, v10, vcc
	v_cmp_eq_u32_e32 vcc, 9, v14
	s_waitcnt vmcnt(0)
	v_cndmask_b32_e32 v5, v5, v11, vcc
	s_waitcnt lgkmcnt(1)
	v_fmac_f32_e32 v12, v5, v15
	s_waitcnt lgkmcnt(0)
	v_fma_f32 v5, v4, v13, v12
	v_cndmask_b32_e64 v12, v12, v5, s[0:1]
.LBB9_151:
	s_or_b64 exec, exec, s[8:9]
	v_mov_b32_e32 v5, 0
	ds_read_b32 v5, v5 offset:12
	s_waitcnt lgkmcnt(0)
	v_mul_f32_e32 v5, v12, v5
.LBB9_152:
	s_or_b64 exec, exec, s[6:7]
	v_cmp_gt_u32_e64 s[6:7], 4, v0
	s_waitcnt vmcnt(6)
	ds_write_b32 v45, v6
	s_waitcnt lgkmcnt(0)
	; wave barrier
	s_waitcnt lgkmcnt(0)
	s_and_saveexec_b64 s[10:11], s[6:7]
	s_cbranch_execz .LBB9_162
; %bb.153:
	s_and_b64 vcc, exec, s[4:5]
	s_cbranch_vccnz .LBB9_155
; %bb.154:
	v_cmp_eq_u32_e32 vcc, 1, v0
	s_waitcnt vmcnt(1)
	v_cndmask_b32_e32 v12, v2, v3, vcc
	v_cmp_eq_u32_e32 vcc, 2, v0
	v_cndmask_b32_e32 v12, v12, v4, vcc
	v_cmp_eq_u32_e32 vcc, 3, v0
	;; [unrolled: 2-line block ×5, first 2 shown]
	ds_read_b32 v13, v45
	v_cndmask_b32_e32 v12, v12, v8, vcc
	v_cmp_eq_u32_e32 vcc, 7, v0
	v_cndmask_b32_e32 v12, v12, v9, vcc
	v_cmp_eq_u32_e32 vcc, 8, v0
	;; [unrolled: 2-line block ×3, first 2 shown]
	s_waitcnt vmcnt(0)
	v_cndmask_b32_e32 v12, v12, v11, vcc
	s_waitcnt lgkmcnt(0)
	v_mul_f32_e32 v15, v12, v13
	s_cbranch_execz .LBB9_156
	s_branch .LBB9_157
.LBB9_155:
                                        ; implicit-def: $vgpr15
.LBB9_156:
	ds_read_b32 v15, v45
.LBB9_157:
	v_cmp_ne_u32_e32 vcc, 3, v0
	s_and_saveexec_b64 s[12:13], vcc
	s_cbranch_execz .LBB9_161
; %bb.158:
	v_lshl_add_u32 v16, v0, 2, 52
	s_mov_b64 s[14:15], 0
	v_pk_mov_b32 v[12:13], v[0:1], v[0:1] op_sel:[0,1]
.LBB9_159:                              ; =>This Inner Loop Header: Depth=1
	v_add_co_u32_e32 v12, vcc, 1, v12
	v_addc_co_u32_e32 v13, vcc, 0, v13, vcc
	v_cmp_eq_u32_e32 vcc, 1, v12
	s_waitcnt vmcnt(1)
	v_cndmask_b32_e32 v18, v2, v3, vcc
	v_cmp_lt_u32_e32 vcc, 2, v12
	v_cmp_eq_u32_e64 s[8:9], 2, v12
	v_cndmask_b32_e64 v18, v18, v4, s[8:9]
	s_or_b64 s[14:15], vcc, s[14:15]
	v_cmp_eq_u32_e32 vcc, 3, v12
	v_cndmask_b32_e32 v18, v18, v5, vcc
	v_cmp_eq_u32_e32 vcc, 4, v12
	v_cndmask_b32_e32 v18, v18, v6, vcc
	v_cmp_eq_u32_e32 vcc, 5, v12
	ds_read_b32 v17, v16
	v_cndmask_b32_e32 v18, v18, v7, vcc
	v_cmp_eq_u32_e32 vcc, 6, v12
	v_cndmask_b32_e32 v18, v18, v8, vcc
	v_cmp_eq_u32_e32 vcc, 7, v12
	;; [unrolled: 2-line block ×4, first 2 shown]
	s_waitcnt vmcnt(0)
	v_cndmask_b32_e32 v18, v18, v11, vcc
	v_add_u32_e32 v16, 4, v16
	s_waitcnt lgkmcnt(0)
	v_fmac_f32_e32 v15, v18, v17
	s_andn2_b64 exec, exec, s[14:15]
	s_cbranch_execnz .LBB9_159
; %bb.160:
	s_or_b64 exec, exec, s[14:15]
.LBB9_161:
	s_or_b64 exec, exec, s[12:13]
	v_mov_b32_e32 v6, 0
	ds_read_b32 v6, v6 offset:16
	s_waitcnt lgkmcnt(0)
	v_mul_f32_e32 v6, v15, v6
.LBB9_162:
	s_or_b64 exec, exec, s[10:11]
	v_cmp_gt_u32_e32 vcc, 5, v0
	s_waitcnt vmcnt(5)
	ds_write_b32 v45, v7
	s_waitcnt lgkmcnt(0)
	; wave barrier
	s_waitcnt lgkmcnt(0)
	s_and_saveexec_b64 s[10:11], vcc
	s_cbranch_execz .LBB9_172
; %bb.163:
	s_and_b64 vcc, exec, s[4:5]
	s_cbranch_vccnz .LBB9_165
; %bb.164:
	v_cmp_eq_u32_e32 vcc, 1, v0
	s_waitcnt vmcnt(1)
	v_cndmask_b32_e32 v12, v2, v3, vcc
	v_cmp_eq_u32_e32 vcc, 2, v0
	v_cndmask_b32_e32 v12, v12, v4, vcc
	v_cmp_eq_u32_e32 vcc, 3, v0
	v_cndmask_b32_e32 v12, v12, v5, vcc
	v_cmp_eq_u32_e32 vcc, 4, v0
	v_cndmask_b32_e32 v12, v12, v6, vcc
	v_cmp_eq_u32_e32 vcc, 5, v0
	v_cndmask_b32_e32 v12, v12, v7, vcc
	v_cmp_eq_u32_e32 vcc, 6, v0
	ds_read_b32 v13, v45
	v_cndmask_b32_e32 v12, v12, v8, vcc
	v_cmp_eq_u32_e32 vcc, 7, v0
	v_cndmask_b32_e32 v12, v12, v9, vcc
	v_cmp_eq_u32_e32 vcc, 8, v0
	;; [unrolled: 2-line block ×3, first 2 shown]
	s_waitcnt vmcnt(0)
	v_cndmask_b32_e32 v12, v12, v11, vcc
	s_waitcnt lgkmcnt(0)
	v_mul_f32_e32 v15, v12, v13
	s_cbranch_execz .LBB9_166
	s_branch .LBB9_167
.LBB9_165:
                                        ; implicit-def: $vgpr15
.LBB9_166:
	ds_read_b32 v15, v45
.LBB9_167:
	v_cmp_ne_u32_e32 vcc, 4, v0
	s_and_saveexec_b64 s[12:13], vcc
	s_cbranch_execz .LBB9_171
; %bb.168:
	v_lshl_add_u32 v16, v0, 2, 52
	s_mov_b64 s[14:15], 0
	v_pk_mov_b32 v[12:13], v[0:1], v[0:1] op_sel:[0,1]
.LBB9_169:                              ; =>This Inner Loop Header: Depth=1
	v_add_co_u32_e32 v12, vcc, 1, v12
	v_addc_co_u32_e32 v13, vcc, 0, v13, vcc
	v_cmp_eq_u32_e32 vcc, 1, v12
	s_waitcnt vmcnt(1)
	v_cndmask_b32_e32 v18, v2, v3, vcc
	v_cmp_lt_u32_e32 vcc, 3, v12
	v_cmp_eq_u32_e64 s[8:9], 2, v12
	v_cndmask_b32_e64 v18, v18, v4, s[8:9]
	s_or_b64 s[14:15], vcc, s[14:15]
	v_cmp_eq_u32_e32 vcc, 3, v12
	v_cndmask_b32_e32 v18, v18, v5, vcc
	v_cmp_eq_u32_e32 vcc, 4, v12
	v_cndmask_b32_e32 v18, v18, v6, vcc
	v_cmp_eq_u32_e32 vcc, 5, v12
	ds_read_b32 v17, v16
	v_cndmask_b32_e32 v18, v18, v7, vcc
	v_cmp_eq_u32_e32 vcc, 6, v12
	v_cndmask_b32_e32 v18, v18, v8, vcc
	v_cmp_eq_u32_e32 vcc, 7, v12
	;; [unrolled: 2-line block ×4, first 2 shown]
	s_waitcnt vmcnt(0)
	v_cndmask_b32_e32 v18, v18, v11, vcc
	v_add_u32_e32 v16, 4, v16
	s_waitcnt lgkmcnt(0)
	v_fmac_f32_e32 v15, v18, v17
	s_andn2_b64 exec, exec, s[14:15]
	s_cbranch_execnz .LBB9_169
; %bb.170:
	s_or_b64 exec, exec, s[14:15]
.LBB9_171:
	s_or_b64 exec, exec, s[12:13]
	v_mov_b32_e32 v7, 0
	ds_read_b32 v7, v7 offset:20
	s_waitcnt lgkmcnt(0)
	v_mul_f32_e32 v7, v15, v7
.LBB9_172:
	s_or_b64 exec, exec, s[10:11]
	v_cmp_gt_u32_e64 s[8:9], 6, v0
	s_waitcnt vmcnt(4)
	ds_write_b32 v45, v8
	s_waitcnt lgkmcnt(0)
	; wave barrier
	s_waitcnt lgkmcnt(0)
	s_and_saveexec_b64 s[12:13], s[8:9]
	s_cbranch_execz .LBB9_182
; %bb.173:
	s_and_b64 vcc, exec, s[4:5]
	s_cbranch_vccnz .LBB9_175
; %bb.174:
	v_cmp_eq_u32_e32 vcc, 1, v0
	s_waitcnt vmcnt(1)
	v_cndmask_b32_e32 v12, v2, v3, vcc
	v_cmp_eq_u32_e32 vcc, 2, v0
	v_cndmask_b32_e32 v12, v12, v4, vcc
	v_cmp_eq_u32_e32 vcc, 3, v0
	;; [unrolled: 2-line block ×5, first 2 shown]
	ds_read_b32 v13, v45
	v_cndmask_b32_e32 v12, v12, v8, vcc
	v_cmp_eq_u32_e32 vcc, 7, v0
	v_cndmask_b32_e32 v12, v12, v9, vcc
	v_cmp_eq_u32_e32 vcc, 8, v0
	;; [unrolled: 2-line block ×3, first 2 shown]
	s_waitcnt vmcnt(0)
	v_cndmask_b32_e32 v12, v12, v11, vcc
	s_waitcnt lgkmcnt(0)
	v_mul_f32_e32 v15, v12, v13
	s_cbranch_execz .LBB9_176
	s_branch .LBB9_177
.LBB9_175:
                                        ; implicit-def: $vgpr15
.LBB9_176:
	ds_read_b32 v15, v45
.LBB9_177:
	v_cmp_ne_u32_e32 vcc, 5, v0
	s_and_saveexec_b64 s[14:15], vcc
	s_cbranch_execz .LBB9_181
; %bb.178:
	v_lshl_add_u32 v16, v0, 2, 52
	s_mov_b64 s[16:17], 0
	v_pk_mov_b32 v[12:13], v[0:1], v[0:1] op_sel:[0,1]
.LBB9_179:                              ; =>This Inner Loop Header: Depth=1
	v_add_co_u32_e32 v12, vcc, 1, v12
	v_addc_co_u32_e32 v13, vcc, 0, v13, vcc
	v_cmp_eq_u32_e32 vcc, 1, v12
	s_waitcnt vmcnt(1)
	v_cndmask_b32_e32 v18, v2, v3, vcc
	v_cmp_lt_u32_e32 vcc, 4, v12
	v_cmp_eq_u32_e64 s[10:11], 2, v12
	v_cndmask_b32_e64 v18, v18, v4, s[10:11]
	s_or_b64 s[16:17], vcc, s[16:17]
	v_cmp_eq_u32_e32 vcc, 3, v12
	v_cndmask_b32_e32 v18, v18, v5, vcc
	v_cmp_eq_u32_e32 vcc, 4, v12
	v_cndmask_b32_e32 v18, v18, v6, vcc
	v_cmp_eq_u32_e32 vcc, 5, v12
	ds_read_b32 v17, v16
	v_cndmask_b32_e32 v18, v18, v7, vcc
	v_cmp_eq_u32_e32 vcc, 6, v12
	v_cndmask_b32_e32 v18, v18, v8, vcc
	v_cmp_eq_u32_e32 vcc, 7, v12
	;; [unrolled: 2-line block ×4, first 2 shown]
	s_waitcnt vmcnt(0)
	v_cndmask_b32_e32 v18, v18, v11, vcc
	v_add_u32_e32 v16, 4, v16
	s_waitcnt lgkmcnt(0)
	v_fmac_f32_e32 v15, v18, v17
	s_andn2_b64 exec, exec, s[16:17]
	s_cbranch_execnz .LBB9_179
; %bb.180:
	s_or_b64 exec, exec, s[16:17]
.LBB9_181:
	s_or_b64 exec, exec, s[14:15]
	v_mov_b32_e32 v8, 0
	ds_read_b32 v8, v8 offset:24
	s_waitcnt lgkmcnt(0)
	v_mul_f32_e32 v8, v15, v8
.LBB9_182:
	s_or_b64 exec, exec, s[12:13]
	v_cmp_gt_u32_e32 vcc, 7, v0
	s_waitcnt vmcnt(3)
	ds_write_b32 v45, v9
	s_waitcnt lgkmcnt(0)
	; wave barrier
	s_waitcnt lgkmcnt(0)
	s_and_saveexec_b64 s[12:13], vcc
	s_cbranch_execz .LBB9_192
; %bb.183:
	s_and_b64 vcc, exec, s[4:5]
	s_cbranch_vccnz .LBB9_185
; %bb.184:
	v_cmp_eq_u32_e32 vcc, 1, v0
	s_waitcnt vmcnt(1)
	v_cndmask_b32_e32 v12, v2, v3, vcc
	v_cmp_eq_u32_e32 vcc, 2, v0
	v_cndmask_b32_e32 v12, v12, v4, vcc
	v_cmp_eq_u32_e32 vcc, 3, v0
	;; [unrolled: 2-line block ×5, first 2 shown]
	ds_read_b32 v13, v45
	v_cndmask_b32_e32 v12, v12, v8, vcc
	v_cmp_eq_u32_e32 vcc, 7, v0
	v_cndmask_b32_e32 v12, v12, v9, vcc
	v_cmp_eq_u32_e32 vcc, 8, v0
	;; [unrolled: 2-line block ×3, first 2 shown]
	s_waitcnt vmcnt(0)
	v_cndmask_b32_e32 v12, v12, v11, vcc
	s_waitcnt lgkmcnt(0)
	v_mul_f32_e32 v15, v12, v13
	s_cbranch_execz .LBB9_186
	s_branch .LBB9_187
.LBB9_185:
                                        ; implicit-def: $vgpr15
.LBB9_186:
	ds_read_b32 v15, v45
.LBB9_187:
	v_cmp_ne_u32_e32 vcc, 6, v0
	s_and_saveexec_b64 s[14:15], vcc
	s_cbranch_execz .LBB9_191
; %bb.188:
	v_lshl_add_u32 v16, v0, 2, 52
	s_mov_b64 s[16:17], 0
	v_pk_mov_b32 v[12:13], v[0:1], v[0:1] op_sel:[0,1]
.LBB9_189:                              ; =>This Inner Loop Header: Depth=1
	v_add_co_u32_e32 v12, vcc, 1, v12
	v_addc_co_u32_e32 v13, vcc, 0, v13, vcc
	v_cmp_eq_u32_e32 vcc, 1, v12
	s_waitcnt vmcnt(1)
	v_cndmask_b32_e32 v18, v2, v3, vcc
	v_cmp_lt_u32_e32 vcc, 5, v12
	v_cmp_eq_u32_e64 s[10:11], 2, v12
	v_cndmask_b32_e64 v18, v18, v4, s[10:11]
	s_or_b64 s[16:17], vcc, s[16:17]
	v_cmp_eq_u32_e32 vcc, 3, v12
	v_cndmask_b32_e32 v18, v18, v5, vcc
	v_cmp_eq_u32_e32 vcc, 4, v12
	v_cndmask_b32_e32 v18, v18, v6, vcc
	v_cmp_eq_u32_e32 vcc, 5, v12
	ds_read_b32 v17, v16
	v_cndmask_b32_e32 v18, v18, v7, vcc
	v_cmp_eq_u32_e32 vcc, 6, v12
	v_cndmask_b32_e32 v18, v18, v8, vcc
	v_cmp_eq_u32_e32 vcc, 7, v12
	;; [unrolled: 2-line block ×4, first 2 shown]
	s_waitcnt vmcnt(0)
	v_cndmask_b32_e32 v18, v18, v11, vcc
	v_add_u32_e32 v16, 4, v16
	s_waitcnt lgkmcnt(0)
	v_fmac_f32_e32 v15, v18, v17
	s_andn2_b64 exec, exec, s[16:17]
	s_cbranch_execnz .LBB9_189
; %bb.190:
	s_or_b64 exec, exec, s[16:17]
.LBB9_191:
	s_or_b64 exec, exec, s[14:15]
	v_mov_b32_e32 v9, 0
	ds_read_b32 v9, v9 offset:28
	s_waitcnt lgkmcnt(0)
	v_mul_f32_e32 v9, v15, v9
.LBB9_192:
	s_or_b64 exec, exec, s[12:13]
	v_cmp_gt_u32_e64 s[10:11], 8, v0
	s_waitcnt vmcnt(2)
	ds_write_b32 v45, v10
	s_waitcnt lgkmcnt(0)
	; wave barrier
	s_waitcnt lgkmcnt(0)
	s_and_saveexec_b64 s[14:15], s[10:11]
	s_cbranch_execz .LBB9_202
; %bb.193:
	s_and_b64 vcc, exec, s[4:5]
	s_cbranch_vccnz .LBB9_195
; %bb.194:
	v_cmp_eq_u32_e32 vcc, 1, v0
	s_waitcnt vmcnt(1)
	v_cndmask_b32_e32 v12, v2, v3, vcc
	v_cmp_eq_u32_e32 vcc, 2, v0
	v_cndmask_b32_e32 v12, v12, v4, vcc
	v_cmp_eq_u32_e32 vcc, 3, v0
	v_cndmask_b32_e32 v12, v12, v5, vcc
	v_cmp_eq_u32_e32 vcc, 4, v0
	v_cndmask_b32_e32 v12, v12, v6, vcc
	v_cmp_eq_u32_e32 vcc, 5, v0
	v_cndmask_b32_e32 v12, v12, v7, vcc
	v_cmp_eq_u32_e32 vcc, 6, v0
	ds_read_b32 v13, v45
	v_cndmask_b32_e32 v12, v12, v8, vcc
	v_cmp_eq_u32_e32 vcc, 7, v0
	v_cndmask_b32_e32 v12, v12, v9, vcc
	v_cmp_eq_u32_e32 vcc, 8, v0
	;; [unrolled: 2-line block ×3, first 2 shown]
	s_waitcnt vmcnt(0)
	v_cndmask_b32_e32 v12, v12, v11, vcc
	s_waitcnt lgkmcnt(0)
	v_mul_f32_e32 v15, v12, v13
	s_cbranch_execz .LBB9_196
	s_branch .LBB9_197
.LBB9_195:
                                        ; implicit-def: $vgpr15
.LBB9_196:
	ds_read_b32 v15, v45
.LBB9_197:
	v_cmp_ne_u32_e32 vcc, 7, v0
	s_and_saveexec_b64 s[16:17], vcc
	s_cbranch_execz .LBB9_201
; %bb.198:
	v_lshl_add_u32 v16, v0, 2, 52
	s_mov_b64 s[18:19], 0
	v_pk_mov_b32 v[12:13], v[0:1], v[0:1] op_sel:[0,1]
.LBB9_199:                              ; =>This Inner Loop Header: Depth=1
	v_add_co_u32_e32 v12, vcc, 1, v12
	v_addc_co_u32_e32 v13, vcc, 0, v13, vcc
	v_cmp_eq_u32_e32 vcc, 1, v12
	s_waitcnt vmcnt(1)
	v_cndmask_b32_e32 v17, v2, v3, vcc
	v_cmp_lt_u32_e32 vcc, 6, v12
	v_cmp_eq_u32_e64 s[12:13], 2, v12
	v_cndmask_b32_e64 v17, v17, v4, s[12:13]
	s_or_b64 s[18:19], vcc, s[18:19]
	v_cmp_eq_u32_e32 vcc, 3, v12
	v_cndmask_b32_e32 v17, v17, v5, vcc
	v_cmp_eq_u32_e32 vcc, 4, v12
	v_cndmask_b32_e32 v17, v17, v6, vcc
	v_cmp_eq_u32_e32 vcc, 5, v12
	ds_read_b32 v1, v16
	v_cndmask_b32_e32 v17, v17, v7, vcc
	v_cmp_eq_u32_e32 vcc, 6, v12
	v_cndmask_b32_e32 v17, v17, v8, vcc
	v_cmp_eq_u32_e32 vcc, 7, v12
	;; [unrolled: 2-line block ×4, first 2 shown]
	s_waitcnt vmcnt(0)
	v_cndmask_b32_e32 v17, v17, v11, vcc
	v_add_u32_e32 v16, 4, v16
	s_waitcnt lgkmcnt(0)
	v_fmac_f32_e32 v15, v17, v1
	s_andn2_b64 exec, exec, s[18:19]
	s_cbranch_execnz .LBB9_199
; %bb.200:
	s_or_b64 exec, exec, s[18:19]
.LBB9_201:
	s_or_b64 exec, exec, s[16:17]
	v_mov_b32_e32 v1, 0
	ds_read_b32 v1, v1 offset:32
	s_waitcnt lgkmcnt(0)
	v_mul_f32_e32 v10, v15, v1
.LBB9_202:
	s_or_b64 exec, exec, s[14:15]
	v_cmp_ne_u32_e32 vcc, 9, v0
	s_waitcnt vmcnt(0)
	ds_write_b32 v45, v11
	s_waitcnt lgkmcnt(0)
	; wave barrier
	s_waitcnt lgkmcnt(0)
	s_and_saveexec_b64 s[12:13], vcc
	s_cbranch_execz .LBB9_224
; %bb.203:
	s_and_b64 vcc, exec, s[4:5]
	s_cbranch_vccnz .LBB9_205
; %bb.204:
	v_cmp_eq_u32_e32 vcc, 1, v0
	v_cndmask_b32_e32 v1, v2, v3, vcc
	v_cmp_eq_u32_e32 vcc, 2, v0
	v_cndmask_b32_e32 v1, v1, v4, vcc
	v_cmp_eq_u32_e32 vcc, 3, v0
	v_cndmask_b32_e32 v1, v1, v5, vcc
	v_cmp_eq_u32_e32 vcc, 4, v0
	v_cndmask_b32_e32 v1, v1, v6, vcc
	v_cmp_eq_u32_e32 vcc, 5, v0
	v_cndmask_b32_e32 v1, v1, v7, vcc
	v_cmp_eq_u32_e32 vcc, 6, v0
	ds_read_b32 v12, v45
	v_cndmask_b32_e32 v1, v1, v8, vcc
	v_cmp_eq_u32_e32 vcc, 7, v0
	v_cndmask_b32_e32 v1, v1, v9, vcc
	v_cmp_eq_u32_e32 vcc, 8, v0
	;; [unrolled: 2-line block ×3, first 2 shown]
	v_cndmask_b32_e32 v1, v1, v11, vcc
	s_waitcnt lgkmcnt(0)
	v_mul_f32_e32 v1, v1, v12
	s_cbranch_execz .LBB9_206
	s_branch .LBB9_207
.LBB9_205:
                                        ; implicit-def: $vgpr1
.LBB9_206:
	ds_read_b32 v1, v45
.LBB9_207:
	s_and_saveexec_b64 s[4:5], s[10:11]
	s_cbranch_execz .LBB9_223
; %bb.208:
	v_cmp_eq_u32_e32 vcc, 1, v14
	v_cndmask_b32_e32 v12, v2, v3, vcc
	v_cmp_eq_u32_e32 vcc, 2, v14
	v_cndmask_b32_e32 v12, v12, v4, vcc
	v_cmp_eq_u32_e32 vcc, 3, v14
	v_cndmask_b32_e32 v12, v12, v5, vcc
	v_cmp_eq_u32_e32 vcc, 4, v14
	v_cndmask_b32_e32 v12, v12, v6, vcc
	v_cmp_eq_u32_e32 vcc, 5, v14
	v_cndmask_b32_e32 v12, v12, v7, vcc
	v_cmp_eq_u32_e32 vcc, 6, v14
	ds_read_b32 v13, v45 offset:4
	v_cndmask_b32_e32 v12, v12, v8, vcc
	v_cmp_eq_u32_e32 vcc, 7, v14
	v_cndmask_b32_e32 v12, v12, v9, vcc
	v_cmp_eq_u32_e32 vcc, 8, v14
	v_cndmask_b32_e32 v12, v12, v10, vcc
	v_cmp_eq_u32_e32 vcc, 9, v14
	v_cndmask_b32_e32 v12, v12, v11, vcc
	s_waitcnt lgkmcnt(0)
	v_fmac_f32_e32 v1, v12, v13
	v_cmp_ne_u32_e32 vcc, 7, v0
	s_and_saveexec_b64 s[10:11], vcc
	s_cbranch_execz .LBB9_222
; %bb.209:
	v_add_u32_e32 v12, 2, v0
	v_cmp_eq_u32_e32 vcc, 1, v12
	v_cndmask_b32_e32 v13, v2, v3, vcc
	v_cmp_eq_u32_e32 vcc, 2, v12
	v_cndmask_b32_e32 v13, v13, v4, vcc
	v_cmp_eq_u32_e32 vcc, 3, v12
	v_cndmask_b32_e32 v13, v13, v5, vcc
	v_cmp_eq_u32_e32 vcc, 4, v12
	v_cndmask_b32_e32 v13, v13, v6, vcc
	v_cmp_eq_u32_e32 vcc, 5, v12
	v_cndmask_b32_e32 v13, v13, v7, vcc
	v_cmp_eq_u32_e32 vcc, 6, v12
	ds_read_b32 v14, v45 offset:8
	v_cndmask_b32_e32 v13, v13, v8, vcc
	v_cmp_eq_u32_e32 vcc, 7, v12
	v_cndmask_b32_e32 v13, v13, v9, vcc
	v_cmp_eq_u32_e32 vcc, 8, v12
	v_cndmask_b32_e32 v13, v13, v10, vcc
	v_cmp_eq_u32_e32 vcc, 9, v12
	v_cndmask_b32_e32 v12, v13, v11, vcc
	s_waitcnt lgkmcnt(0)
	v_fmac_f32_e32 v1, v12, v14
	s_and_saveexec_b64 s[14:15], s[8:9]
	s_cbranch_execz .LBB9_221
; %bb.210:
	v_add_u32_e32 v12, 3, v0
	v_cmp_eq_u32_e32 vcc, 1, v12
	v_cndmask_b32_e32 v13, v2, v3, vcc
	v_cmp_eq_u32_e32 vcc, 2, v12
	v_cndmask_b32_e32 v13, v13, v4, vcc
	v_cmp_eq_u32_e32 vcc, 3, v12
	v_cndmask_b32_e32 v13, v13, v5, vcc
	v_cmp_eq_u32_e32 vcc, 4, v12
	v_cndmask_b32_e32 v13, v13, v6, vcc
	v_cmp_eq_u32_e32 vcc, 5, v12
	v_cndmask_b32_e32 v13, v13, v7, vcc
	v_cmp_eq_u32_e32 vcc, 6, v12
	ds_read_b32 v14, v45 offset:12
	v_cndmask_b32_e32 v13, v13, v8, vcc
	v_cmp_eq_u32_e32 vcc, 7, v12
	v_cndmask_b32_e32 v13, v13, v9, vcc
	v_cmp_eq_u32_e32 vcc, 8, v12
	v_cndmask_b32_e32 v13, v13, v10, vcc
	v_cmp_eq_u32_e32 vcc, 9, v12
	v_cndmask_b32_e32 v12, v13, v11, vcc
	s_waitcnt lgkmcnt(0)
	v_fmac_f32_e32 v1, v12, v14
	v_cmp_ne_u32_e32 vcc, 5, v0
	s_and_saveexec_b64 s[8:9], vcc
	s_cbranch_execz .LBB9_220
; %bb.211:
	v_add_u32_e32 v12, 4, v0
	v_cmp_eq_u32_e32 vcc, 1, v12
	v_cndmask_b32_e32 v13, v2, v3, vcc
	v_cmp_eq_u32_e32 vcc, 2, v12
	v_cndmask_b32_e32 v13, v13, v4, vcc
	v_cmp_eq_u32_e32 vcc, 3, v12
	v_cndmask_b32_e32 v13, v13, v5, vcc
	v_cmp_eq_u32_e32 vcc, 4, v12
	v_cndmask_b32_e32 v13, v13, v6, vcc
	v_cmp_eq_u32_e32 vcc, 5, v12
	v_cndmask_b32_e32 v13, v13, v7, vcc
	v_cmp_eq_u32_e32 vcc, 6, v12
	ds_read_b32 v14, v45 offset:16
	v_cndmask_b32_e32 v13, v13, v8, vcc
	v_cmp_eq_u32_e32 vcc, 7, v12
	v_cndmask_b32_e32 v13, v13, v9, vcc
	v_cmp_eq_u32_e32 vcc, 8, v12
	v_cndmask_b32_e32 v13, v13, v10, vcc
	v_cmp_eq_u32_e32 vcc, 9, v12
	v_cndmask_b32_e32 v12, v13, v11, vcc
	s_waitcnt lgkmcnt(0)
	v_fmac_f32_e32 v1, v12, v14
	s_and_saveexec_b64 s[16:17], s[6:7]
	s_cbranch_execz .LBB9_219
; %bb.212:
	v_add_u32_e32 v12, 5, v0
	;; [unrolled: 51-line block ×3, first 2 shown]
	v_cmp_eq_u32_e32 vcc, 1, v0
	v_cndmask_b32_e32 v12, v2, v3, vcc
	v_cmp_eq_u32_e32 vcc, 2, v0
	v_cndmask_b32_e32 v12, v12, v4, vcc
	;; [unrolled: 2-line block ×5, first 2 shown]
	v_cmp_eq_u32_e32 vcc, 6, v0
	ds_read_b32 v13, v45 offset:28
	v_cndmask_b32_e32 v12, v12, v8, vcc
	v_cmp_eq_u32_e32 vcc, 7, v0
	v_cndmask_b32_e32 v12, v12, v9, vcc
	v_cmp_eq_u32_e32 vcc, 8, v0
	;; [unrolled: 2-line block ×3, first 2 shown]
	v_cndmask_b32_e32 v0, v12, v11, vcc
	s_waitcnt lgkmcnt(0)
	v_fmac_f32_e32 v1, v0, v13
	s_and_saveexec_b64 s[2:3], s[0:1]
	s_cbranch_execz .LBB9_216
; %bb.215:
	ds_read_b32 v0, v45 offset:32
	s_waitcnt lgkmcnt(0)
	v_fmac_f32_e32 v1, v10, v0
.LBB9_216:
	s_or_b64 exec, exec, s[2:3]
.LBB9_217:
	s_or_b64 exec, exec, s[18:19]
.LBB9_218:
	s_or_b64 exec, exec, s[6:7]
.LBB9_219:
	s_or_b64 exec, exec, s[16:17]
.LBB9_220:
	s_or_b64 exec, exec, s[8:9]
.LBB9_221:
	s_or_b64 exec, exec, s[14:15]
.LBB9_222:
	s_or_b64 exec, exec, s[10:11]
.LBB9_223:
	s_or_b64 exec, exec, s[4:5]
	v_mov_b32_e32 v0, 0
	ds_read_b32 v0, v0 offset:36
	s_waitcnt lgkmcnt(0)
	v_mul_f32_e32 v11, v1, v0
.LBB9_224:
	s_or_b64 exec, exec, s[12:13]
	v_pk_mov_b32 v[20:21], v[10:11], v[10:11] op_sel:[0,1]
	v_pk_mov_b32 v[18:19], v[8:9], v[8:9] op_sel:[0,1]
	v_pk_mov_b32 v[16:17], v[6:7], v[6:7] op_sel:[0,1]
	v_pk_mov_b32 v[14:15], v[4:5], v[4:5] op_sel:[0,1]
	v_pk_mov_b32 v[12:13], v[2:3], v[2:3] op_sel:[0,1]
.LBB9_225:
	global_store_dword v[22:23], v12, off
	global_store_dword v[24:25], v13, off
	global_store_dword v[26:27], v14, off
	global_store_dword v[28:29], v15, off
	global_store_dword v[30:31], v16, off
	global_store_dword v[32:33], v17, off
	global_store_dword v[34:35], v18, off
	global_store_dword v[36:37], v19, off
	global_store_dword v[38:39], v20, off
	global_store_dword v[40:41], v21, off
.LBB9_226:
	s_endpgm
	.section	.rodata,"a",@progbits
	.p2align	6, 0x0
	.amdhsa_kernel _ZN9rocsolver6v33100L18trti2_kernel_smallILi10EfPfEEv13rocblas_fill_17rocblas_diagonal_T1_iil
		.amdhsa_group_segment_fixed_size 88
		.amdhsa_private_segment_fixed_size 0
		.amdhsa_kernarg_size 32
		.amdhsa_user_sgpr_count 6
		.amdhsa_user_sgpr_private_segment_buffer 1
		.amdhsa_user_sgpr_dispatch_ptr 0
		.amdhsa_user_sgpr_queue_ptr 0
		.amdhsa_user_sgpr_kernarg_segment_ptr 1
		.amdhsa_user_sgpr_dispatch_id 0
		.amdhsa_user_sgpr_flat_scratch_init 0
		.amdhsa_user_sgpr_kernarg_preload_length 0
		.amdhsa_user_sgpr_kernarg_preload_offset 0
		.amdhsa_user_sgpr_private_segment_size 0
		.amdhsa_uses_dynamic_stack 0
		.amdhsa_system_sgpr_private_segment_wavefront_offset 0
		.amdhsa_system_sgpr_workgroup_id_x 1
		.amdhsa_system_sgpr_workgroup_id_y 0
		.amdhsa_system_sgpr_workgroup_id_z 0
		.amdhsa_system_sgpr_workgroup_info 0
		.amdhsa_system_vgpr_workitem_id 0
		.amdhsa_next_free_vgpr 60
		.amdhsa_next_free_sgpr 28
		.amdhsa_accum_offset 60
		.amdhsa_reserve_vcc 1
		.amdhsa_reserve_flat_scratch 0
		.amdhsa_float_round_mode_32 0
		.amdhsa_float_round_mode_16_64 0
		.amdhsa_float_denorm_mode_32 3
		.amdhsa_float_denorm_mode_16_64 3
		.amdhsa_dx10_clamp 1
		.amdhsa_ieee_mode 1
		.amdhsa_fp16_overflow 0
		.amdhsa_tg_split 0
		.amdhsa_exception_fp_ieee_invalid_op 0
		.amdhsa_exception_fp_denorm_src 0
		.amdhsa_exception_fp_ieee_div_zero 0
		.amdhsa_exception_fp_ieee_overflow 0
		.amdhsa_exception_fp_ieee_underflow 0
		.amdhsa_exception_fp_ieee_inexact 0
		.amdhsa_exception_int_div_zero 0
	.end_amdhsa_kernel
	.section	.text._ZN9rocsolver6v33100L18trti2_kernel_smallILi10EfPfEEv13rocblas_fill_17rocblas_diagonal_T1_iil,"axG",@progbits,_ZN9rocsolver6v33100L18trti2_kernel_smallILi10EfPfEEv13rocblas_fill_17rocblas_diagonal_T1_iil,comdat
.Lfunc_end9:
	.size	_ZN9rocsolver6v33100L18trti2_kernel_smallILi10EfPfEEv13rocblas_fill_17rocblas_diagonal_T1_iil, .Lfunc_end9-_ZN9rocsolver6v33100L18trti2_kernel_smallILi10EfPfEEv13rocblas_fill_17rocblas_diagonal_T1_iil
                                        ; -- End function
	.section	.AMDGPU.csdata,"",@progbits
; Kernel info:
; codeLenInByte = 9352
; NumSgprs: 32
; NumVgprs: 60
; NumAgprs: 0
; TotalNumVgprs: 60
; ScratchSize: 0
; MemoryBound: 0
; FloatMode: 240
; IeeeMode: 1
; LDSByteSize: 88 bytes/workgroup (compile time only)
; SGPRBlocks: 3
; VGPRBlocks: 7
; NumSGPRsForWavesPerEU: 32
; NumVGPRsForWavesPerEU: 60
; AccumOffset: 60
; Occupancy: 8
; WaveLimiterHint : 0
; COMPUTE_PGM_RSRC2:SCRATCH_EN: 0
; COMPUTE_PGM_RSRC2:USER_SGPR: 6
; COMPUTE_PGM_RSRC2:TRAP_HANDLER: 0
; COMPUTE_PGM_RSRC2:TGID_X_EN: 1
; COMPUTE_PGM_RSRC2:TGID_Y_EN: 0
; COMPUTE_PGM_RSRC2:TGID_Z_EN: 0
; COMPUTE_PGM_RSRC2:TIDIG_COMP_CNT: 0
; COMPUTE_PGM_RSRC3_GFX90A:ACCUM_OFFSET: 14
; COMPUTE_PGM_RSRC3_GFX90A:TG_SPLIT: 0
	.section	.text._ZN9rocsolver6v33100L18trti2_kernel_smallILi11EfPfEEv13rocblas_fill_17rocblas_diagonal_T1_iil,"axG",@progbits,_ZN9rocsolver6v33100L18trti2_kernel_smallILi11EfPfEEv13rocblas_fill_17rocblas_diagonal_T1_iil,comdat
	.globl	_ZN9rocsolver6v33100L18trti2_kernel_smallILi11EfPfEEv13rocblas_fill_17rocblas_diagonal_T1_iil ; -- Begin function _ZN9rocsolver6v33100L18trti2_kernel_smallILi11EfPfEEv13rocblas_fill_17rocblas_diagonal_T1_iil
	.p2align	8
	.type	_ZN9rocsolver6v33100L18trti2_kernel_smallILi11EfPfEEv13rocblas_fill_17rocblas_diagonal_T1_iil,@function
_ZN9rocsolver6v33100L18trti2_kernel_smallILi11EfPfEEv13rocblas_fill_17rocblas_diagonal_T1_iil: ; @_ZN9rocsolver6v33100L18trti2_kernel_smallILi11EfPfEEv13rocblas_fill_17rocblas_diagonal_T1_iil
; %bb.0:
	v_cmp_gt_u32_e32 vcc, 11, v0
	s_and_saveexec_b64 s[0:1], vcc
	s_cbranch_execz .LBB10_252
; %bb.1:
	s_load_dwordx8 s[24:31], s[4:5], 0x0
	s_ashr_i32 s2, s6, 31
	v_lshlrev_b32_e32 v13, 2, v0
	s_waitcnt lgkmcnt(0)
	s_mul_i32 s3, s6, s31
	s_mul_hi_u32 s4, s6, s30
	s_add_i32 s3, s4, s3
	s_mul_i32 s2, s2, s30
	s_add_i32 s3, s3, s2
	s_mul_i32 s2, s6, s30
	s_ashr_i32 s1, s28, 31
	s_lshl_b64 s[2:3], s[2:3], 2
	s_mov_b32 s0, s28
	s_add_u32 s2, s26, s2
	s_addc_u32 s3, s27, s3
	s_lshl_b64 s[0:1], s[0:1], 2
	s_add_u32 s0, s2, s0
	s_addc_u32 s1, s3, s1
	v_mov_b32_e32 v1, s1
	v_add_co_u32_e32 v26, vcc, s0, v13
	s_ashr_i32 s3, s29, 31
	s_mov_b32 s2, s29
	v_addc_co_u32_e32 v27, vcc, 0, v1, vcc
	s_lshl_b64 s[2:3], s[2:3], 2
	v_add_co_u32_e32 v28, vcc, s2, v26
	s_add_i32 s2, s29, s29
	v_add_u32_e32 v2, s2, v0
	v_mov_b32_e32 v1, s3
	v_ashrrev_i32_e32 v3, 31, v2
	v_addc_co_u32_e32 v29, vcc, v27, v1, vcc
	v_lshlrev_b64 v[4:5], 2, v[2:3]
	v_add_u32_e32 v2, s29, v2
	v_mov_b32_e32 v1, s1
	v_add_co_u32_e32 v30, vcc, s0, v4
	v_ashrrev_i32_e32 v3, 31, v2
	v_addc_co_u32_e32 v31, vcc, v1, v5, vcc
	v_lshlrev_b64 v[4:5], 2, v[2:3]
	v_add_u32_e32 v2, s29, v2
	v_add_co_u32_e32 v32, vcc, s0, v4
	v_ashrrev_i32_e32 v3, 31, v2
	v_addc_co_u32_e32 v33, vcc, v1, v5, vcc
	v_lshlrev_b64 v[4:5], 2, v[2:3]
	v_add_u32_e32 v2, s29, v2
	;; [unrolled: 5-line block ×5, first 2 shown]
	v_add_co_u32_e32 v40, vcc, s0, v4
	v_ashrrev_i32_e32 v3, 31, v2
	v_addc_co_u32_e32 v41, vcc, v1, v5, vcc
	v_lshlrev_b64 v[4:5], 2, v[2:3]
	v_add_co_u32_e32 v42, vcc, s0, v4
	v_addc_co_u32_e32 v43, vcc, v1, v5, vcc
	global_load_dword v3, v[28:29], off
	global_load_dword v4, v[30:31], off
	;; [unrolled: 1-line block ×8, first 2 shown]
	v_add_u32_e32 v14, s29, v2
	v_ashrrev_i32_e32 v15, 31, v14
	v_lshlrev_b64 v[16:17], 2, v[14:15]
	v_add_u32_e32 v14, s29, v14
	v_add_co_u32_e32 v44, vcc, s0, v16
	v_ashrrev_i32_e32 v15, 31, v14
	v_addc_co_u32_e32 v45, vcc, v1, v17, vcc
	v_lshlrev_b64 v[14:15], 2, v[14:15]
	v_add_co_u32_e32 v46, vcc, s0, v14
	global_load_dword v11, v[44:45], off
	v_addc_co_u32_e32 v47, vcc, v1, v15, vcc
	global_load_dword v2, v13, s[0:1]
	global_load_dword v12, v[46:47], off
	s_cmpk_lg_i32 s25, 0x84
	v_mov_b32_e32 v1, 0
	s_cselect_b64 s[22:23], -1, 0
	s_cmpk_eq_i32 s25, 0x84
	v_mov_b32_e32 v14, -1.0
	v_cmp_eq_u32_e64 s[0:1], 0, v0
	s_cbranch_scc1 .LBB10_3
; %bb.2:
	v_cmp_eq_u32_e64 s[2:3], 1, v0
	s_waitcnt vmcnt(1)
	v_cndmask_b32_e64 v14, v2, v3, s[2:3]
	v_cmp_eq_u32_e64 s[4:5], 2, v0
	v_cndmask_b32_e64 v14, v14, v4, s[4:5]
	v_cmp_eq_u32_e64 s[6:7], 3, v0
	;; [unrolled: 2-line block ×9, first 2 shown]
	s_waitcnt vmcnt(0)
	v_cndmask_b32_e64 v14, v14, v12, s[20:21]
	v_div_scale_f32 v15, s[26:27], v14, v14, 1.0
	v_rcp_f32_e32 v16, v15
	v_fma_f32 v17, -v15, v16, 1.0
	v_fmac_f32_e32 v16, v17, v16
	v_div_scale_f32 v17, vcc, 1.0, v14, 1.0
	v_mul_f32_e32 v18, v17, v16
	v_fma_f32 v19, -v15, v18, v17
	v_fmac_f32_e32 v18, v19, v16
	v_fma_f32 v15, -v15, v18, v17
	v_div_fmas_f32 v15, v15, v16, v18
	v_div_fixup_f32 v14, v15, v14, 1.0
	v_cndmask_b32_e64 v12, v12, v14, s[20:21]
	v_cndmask_b32_e64 v11, v11, v14, s[18:19]
	;; [unrolled: 1-line block ×11, first 2 shown]
	v_xor_b32_e32 v14, 0x80000000, v14
.LBB10_3:
	s_cmpk_eq_i32 s24, 0x79
	v_add_u32_e32 v25, 48, v13
	ds_write_b32 v13, v14
	s_cbranch_scc1 .LBB10_7
; %bb.4:
	s_waitcnt vmcnt(0)
	v_mov_b32_e32 v24, v12
	v_cmp_eq_u32_e64 s[2:3], 10, v0
	v_mov_b32_e32 v23, v11
	v_mov_b32_e32 v22, v10
	;; [unrolled: 1-line block ×10, first 2 shown]
	ds_write_b32 v25, v11
	s_waitcnt lgkmcnt(0)
	; wave barrier
	s_waitcnt lgkmcnt(0)
	s_and_saveexec_b64 s[0:1], s[2:3]
	s_cbranch_execz .LBB10_11
; %bb.5:
	s_and_b64 vcc, exec, s[22:23]
	s_cbranch_vccz .LBB10_8
; %bb.6:
	v_cmp_eq_u32_e32 vcc, 1, v0
	v_cndmask_b32_e32 v13, v2, v3, vcc
	v_cmp_eq_u32_e32 vcc, 2, v0
	v_cndmask_b32_e32 v13, v13, v4, vcc
	;; [unrolled: 2-line block ×6, first 2 shown]
	v_cmp_eq_u32_e32 vcc, 7, v0
	ds_read_b32 v14, v25
	v_cndmask_b32_e32 v13, v13, v9, vcc
	v_cmp_eq_u32_e32 vcc, 8, v0
	v_cndmask_b32_e32 v13, v13, v10, vcc
	v_cmp_eq_u32_e32 vcc, 9, v0
	;; [unrolled: 2-line block ×3, first 2 shown]
	v_cndmask_b32_e32 v13, v13, v12, vcc
	s_waitcnt lgkmcnt(0)
	v_mul_f32_e32 v13, v13, v14
	s_cbranch_execz .LBB10_9
	s_branch .LBB10_10
.LBB10_7:
                                        ; implicit-def: $vgpr14_vgpr15_vgpr16_vgpr17_vgpr18_vgpr19_vgpr20_vgpr21_vgpr22_vgpr23_vgpr24
	s_cbranch_execnz .LBB10_146
	s_branch .LBB10_251
.LBB10_8:
                                        ; implicit-def: $vgpr13
.LBB10_9:
	ds_read_b32 v13, v25
.LBB10_10:
	v_mov_b32_e32 v14, 0
	ds_read_b32 v14, v14 offset:36
	s_waitcnt lgkmcnt(0)
	v_mul_f32_e32 v13, v13, v14
	v_mov_b32_e32 v24, v12
	v_mov_b32_e32 v23, v11
	;; [unrolled: 1-line block ×12, first 2 shown]
.LBB10_11:
	s_or_b64 exec, exec, s[0:1]
	v_cmp_lt_u32_e64 s[0:1], 8, v0
	ds_write_b32 v25, v22
	s_waitcnt lgkmcnt(0)
	; wave barrier
	s_waitcnt lgkmcnt(0)
	s_and_saveexec_b64 s[4:5], s[0:1]
	s_cbranch_execz .LBB10_17
; %bb.12:
	s_andn2_b64 vcc, exec, s[22:23]
	s_cbranch_vccnz .LBB10_14
; %bb.13:
	v_cmp_eq_u32_e32 vcc, 1, v0
	v_cndmask_b32_e32 v13, v14, v15, vcc
	v_cmp_eq_u32_e32 vcc, 2, v0
	v_cndmask_b32_e32 v13, v13, v16, vcc
	v_cmp_eq_u32_e32 vcc, 3, v0
	v_cndmask_b32_e32 v13, v13, v17, vcc
	v_cmp_eq_u32_e32 vcc, 4, v0
	v_cndmask_b32_e32 v13, v13, v18, vcc
	v_cmp_eq_u32_e32 vcc, 5, v0
	v_cndmask_b32_e32 v13, v13, v19, vcc
	v_cmp_eq_u32_e32 vcc, 6, v0
	v_cndmask_b32_e32 v13, v13, v20, vcc
	v_cmp_eq_u32_e32 vcc, 7, v0
	v_cndmask_b32_e32 v13, v13, v21, vcc
	v_cmp_eq_u32_e32 vcc, 8, v0
	v_cndmask_b32_e32 v13, v13, v22, vcc
	ds_read_b32 v22, v25
	v_cmp_eq_u32_e32 vcc, 9, v0
	v_cndmask_b32_e32 v13, v13, v23, vcc
	v_cmp_eq_u32_e32 vcc, 10, v0
	v_cndmask_b32_e32 v13, v13, v24, vcc
	s_waitcnt lgkmcnt(0)
	v_mul_f32_e32 v13, v13, v22
	s_cbranch_execz .LBB10_15
	s_branch .LBB10_16
.LBB10_14:
                                        ; implicit-def: $vgpr13
.LBB10_15:
	ds_read_b32 v13, v25
.LBB10_16:
	v_mov_b32_e32 v22, 0
	ds_read2_b32 v[48:49], v22 offset0:8 offset1:21
	s_waitcnt lgkmcnt(0)
	v_fma_f32 v22, v23, v49, v13
	v_cndmask_b32_e64 v13, v13, v22, s[2:3]
	v_mul_f32_e32 v22, v13, v48
.LBB10_17:
	s_or_b64 exec, exec, s[4:5]
	v_cmp_lt_u32_e64 s[2:3], 7, v0
	ds_write_b32 v25, v21
	s_waitcnt lgkmcnt(0)
	; wave barrier
	s_waitcnt lgkmcnt(0)
	s_and_saveexec_b64 s[4:5], s[2:3]
	s_cbranch_execz .LBB10_33
; %bb.18:
	s_andn2_b64 vcc, exec, s[22:23]
	s_cbranch_vccnz .LBB10_20
; %bb.19:
	v_cmp_eq_u32_e32 vcc, 1, v0
	v_cndmask_b32_e32 v13, v14, v15, vcc
	v_cmp_eq_u32_e32 vcc, 2, v0
	v_cndmask_b32_e32 v13, v13, v16, vcc
	;; [unrolled: 2-line block ×6, first 2 shown]
	v_cmp_eq_u32_e32 vcc, 7, v0
	ds_read_b32 v48, v25
	v_cndmask_b32_e32 v13, v13, v21, vcc
	v_cmp_eq_u32_e32 vcc, 8, v0
	v_cndmask_b32_e32 v13, v13, v22, vcc
	v_cmp_eq_u32_e32 vcc, 9, v0
	;; [unrolled: 2-line block ×3, first 2 shown]
	v_cndmask_b32_e32 v13, v13, v24, vcc
	s_waitcnt lgkmcnt(0)
	v_mul_f32_e32 v49, v13, v48
	s_cbranch_execz .LBB10_21
	s_branch .LBB10_22
.LBB10_20:
                                        ; implicit-def: $vgpr49
.LBB10_21:
	ds_read_b32 v49, v25
.LBB10_22:
	s_and_saveexec_b64 s[6:7], s[0:1]
	s_cbranch_execz .LBB10_32
; %bb.23:
	v_add_u32_e32 v13, -9, v0
	v_cmp_lt_u32_e32 vcc, 6, v13
	v_mov_b32_e32 v48, 8
	s_and_saveexec_b64 s[0:1], vcc
	s_cbranch_execz .LBB10_27
; %bb.24:
	v_and_b32_e32 v13, 8, v0
	v_sub_u32_e32 v50, 0, v13
	s_mov_b64 s[8:9], 15
	s_movk_i32 s12, 0x50
	s_mov_b64 s[10:11], 0
.LBB10_25:                              ; =>This Inner Loop Header: Depth=1
	s_add_i32 s13, s8, -7
	v_mov_b32_e32 v13, s12
	s_add_i32 s14, s8, -6
	s_set_gpr_idx_on s13, gpr_idx(SRC0)
	v_mov_b32_e32 v48, v14
	s_set_gpr_idx_off
	s_add_i32 s15, s8, -5
	ds_read_b128 v[52:55], v13
	ds_read_b128 v[56:59], v13 offset:16
	s_set_gpr_idx_on s14, gpr_idx(SRC0)
	v_mov_b32_e32 v13, v14
	s_set_gpr_idx_off
	s_add_i32 s16, s8, -4
	s_set_gpr_idx_on s15, gpr_idx(SRC0)
	v_mov_b32_e32 v51, v14
	s_set_gpr_idx_off
	s_add_i32 s17, s8, -3
	;; [unrolled: 4-line block ×4, first 2 shown]
	s_waitcnt lgkmcnt(1)
	v_fmac_f32_e32 v49, v48, v52
	s_set_gpr_idx_on s18, gpr_idx(SRC0)
	v_mov_b32_e32 v52, v14
	s_set_gpr_idx_off
	v_fmac_f32_e32 v49, v13, v53
	s_set_gpr_idx_on s19, gpr_idx(SRC0)
	v_mov_b32_e32 v13, v14
	s_set_gpr_idx_off
	;; [unrolled: 4-line block ×3, first 2 shown]
	v_fmac_f32_e32 v49, v60, v55
	s_add_u32 s8, s8, 8
	s_waitcnt lgkmcnt(0)
	v_fmac_f32_e32 v49, v61, v56
	v_add_u32_e32 v48, s8, v50
	v_fmac_f32_e32 v49, v52, v57
	s_addc_u32 s9, s9, 0
	s_add_i32 s12, s12, 32
	s_add_i32 s13, s8, -7
	v_cmp_eq_u32_e32 vcc, 7, v48
	v_fmac_f32_e32 v49, v13, v58
	v_mov_b32_e32 v48, s13
	s_or_b64 s[10:11], vcc, s[10:11]
	v_fmac_f32_e32 v49, v51, v59
	s_andn2_b64 exec, exec, s[10:11]
	s_cbranch_execnz .LBB10_25
; %bb.26:
	s_or_b64 exec, exec, s[10:11]
.LBB10_27:
	s_or_b64 exec, exec, s[0:1]
	v_and_b32_e32 v50, 7, v0
	v_cmp_ne_u32_e32 vcc, 0, v50
	s_and_saveexec_b64 s[8:9], vcc
	s_cbranch_execz .LBB10_31
; %bb.28:
	v_lshl_add_u32 v51, v48, 2, 48
	v_mov_b32_e32 v13, 0
	s_mov_b64 s[10:11], 0
.LBB10_29:                              ; =>This Inner Loop Header: Depth=1
	v_cmp_eq_u32_e32 vcc, 1, v48
	v_cndmask_b32_e32 v52, v14, v15, vcc
	v_add_u32_e32 v50, -1, v50
	v_cmp_eq_u32_e32 vcc, 2, v48
	v_cndmask_b32_e32 v52, v52, v16, vcc
	v_cmp_eq_u32_e32 vcc, 0, v50
	v_cmp_eq_u32_e64 s[0:1], 3, v48
	v_cndmask_b32_e64 v52, v52, v17, s[0:1]
	s_or_b64 s[10:11], vcc, s[10:11]
	v_cmp_eq_u32_e32 vcc, 4, v48
	v_cndmask_b32_e32 v52, v52, v18, vcc
	v_cmp_eq_u32_e32 vcc, 5, v48
	v_cndmask_b32_e32 v52, v52, v19, vcc
	v_cmp_eq_u32_e32 vcc, 6, v48
	ds_read_b32 v53, v51
	v_cndmask_b32_e32 v52, v52, v20, vcc
	v_cmp_eq_u32_e32 vcc, 7, v48
	v_cndmask_b32_e32 v52, v52, v21, vcc
	v_cmp_eq_u32_e32 vcc, 8, v48
	;; [unrolled: 2-line block ×4, first 2 shown]
	v_add_co_u32_e64 v48, s[0:1], 1, v48
	v_cndmask_b32_e32 v52, v52, v24, vcc
	v_add_u32_e32 v51, 4, v51
	v_addc_co_u32_e64 v13, s[0:1], 0, v13, s[0:1]
	s_waitcnt lgkmcnt(0)
	v_fmac_f32_e32 v49, v52, v53
	s_andn2_b64 exec, exec, s[10:11]
	s_cbranch_execnz .LBB10_29
; %bb.30:
	s_or_b64 exec, exec, s[10:11]
.LBB10_31:
	s_or_b64 exec, exec, s[8:9]
.LBB10_32:
	s_or_b64 exec, exec, s[6:7]
	v_mov_b32_e32 v13, 0
	ds_read_b32 v13, v13 offset:28
	s_waitcnt lgkmcnt(0)
	v_mul_f32_e32 v21, v49, v13
.LBB10_33:
	s_or_b64 exec, exec, s[4:5]
	v_cmp_lt_u32_e64 s[0:1], 6, v0
	ds_write_b32 v25, v20
	s_waitcnt lgkmcnt(0)
	; wave barrier
	s_waitcnt lgkmcnt(0)
	s_and_saveexec_b64 s[4:5], s[0:1]
	s_cbranch_execz .LBB10_49
; %bb.34:
	s_andn2_b64 vcc, exec, s[22:23]
	s_cbranch_vccnz .LBB10_36
; %bb.35:
	v_cmp_eq_u32_e32 vcc, 1, v0
	v_cndmask_b32_e32 v13, v14, v15, vcc
	v_cmp_eq_u32_e32 vcc, 2, v0
	v_cndmask_b32_e32 v13, v13, v16, vcc
	v_cmp_eq_u32_e32 vcc, 3, v0
	v_cndmask_b32_e32 v13, v13, v17, vcc
	v_cmp_eq_u32_e32 vcc, 4, v0
	v_cndmask_b32_e32 v13, v13, v18, vcc
	v_cmp_eq_u32_e32 vcc, 5, v0
	v_cndmask_b32_e32 v13, v13, v19, vcc
	v_cmp_eq_u32_e32 vcc, 6, v0
	v_cndmask_b32_e32 v13, v13, v20, vcc
	v_cmp_eq_u32_e32 vcc, 7, v0
	ds_read_b32 v48, v25
	v_cndmask_b32_e32 v13, v13, v21, vcc
	v_cmp_eq_u32_e32 vcc, 8, v0
	v_cndmask_b32_e32 v13, v13, v22, vcc
	v_cmp_eq_u32_e32 vcc, 9, v0
	;; [unrolled: 2-line block ×3, first 2 shown]
	v_cndmask_b32_e32 v13, v13, v24, vcc
	s_waitcnt lgkmcnt(0)
	v_mul_f32_e32 v49, v13, v48
	s_cbranch_execz .LBB10_37
	s_branch .LBB10_38
.LBB10_36:
                                        ; implicit-def: $vgpr49
.LBB10_37:
	ds_read_b32 v49, v25
.LBB10_38:
	s_and_saveexec_b64 s[6:7], s[2:3]
	s_cbranch_execz .LBB10_48
; %bb.39:
	v_add_u32_e32 v48, -8, v0
	v_add_u32_e32 v13, -7, v0
	v_cmp_lt_u32_e32 vcc, 6, v48
	v_mov_b32_e32 v48, 7
	s_and_saveexec_b64 s[2:3], vcc
	s_cbranch_execz .LBB10_43
; %bb.40:
	v_and_b32_e32 v48, -8, v13
	v_sub_u32_e32 v50, 0, v48
	s_mov_b64 s[8:9], 14
	s_movk_i32 s12, 0x4c
	s_mov_b64 s[10:11], 0
.LBB10_41:                              ; =>This Inner Loop Header: Depth=1
	s_add_i32 s13, s8, -7
	v_mov_b32_e32 v48, s12
	s_add_i32 s14, s8, -6
	s_set_gpr_idx_on s13, gpr_idx(SRC0)
	v_mov_b32_e32 v51, v14
	s_set_gpr_idx_off
	ds_read2_b32 v[52:53], v48 offset1:1
	s_add_i32 s15, s8, -5
	s_set_gpr_idx_on s14, gpr_idx(SRC0)
	v_mov_b32_e32 v58, v14
	s_set_gpr_idx_off
	s_add_i32 s16, s8, -4
	s_set_gpr_idx_on s15, gpr_idx(SRC0)
	v_mov_b32_e32 v59, v14
	s_set_gpr_idx_off
	ds_read2_b32 v[54:55], v48 offset0:2 offset1:3
	s_add_i32 s17, s8, -3
	s_set_gpr_idx_on s16, gpr_idx(SRC0)
	v_mov_b32_e32 v60, v14
	s_set_gpr_idx_off
	s_add_i32 s18, s8, -2
	s_set_gpr_idx_on s17, gpr_idx(SRC0)
	v_mov_b32_e32 v61, v14
	s_set_gpr_idx_off
	ds_read2_b32 v[56:57], v48 offset0:4 offset1:5
	s_add_i32 s19, s8, -1
	s_waitcnt lgkmcnt(2)
	v_fmac_f32_e32 v49, v51, v52
	s_set_gpr_idx_on s18, gpr_idx(SRC0)
	v_mov_b32_e32 v51, v14
	s_set_gpr_idx_off
	v_fmac_f32_e32 v49, v58, v53
	s_set_gpr_idx_on s19, gpr_idx(SRC0)
	v_mov_b32_e32 v58, v14
	s_set_gpr_idx_off
	ds_read2_b32 v[52:53], v48 offset0:6 offset1:7
	s_waitcnt lgkmcnt(2)
	v_fmac_f32_e32 v49, v59, v54
	s_set_gpr_idx_on s8, gpr_idx(SRC0)
	v_mov_b32_e32 v54, v14
	s_set_gpr_idx_off
	v_fmac_f32_e32 v49, v60, v55
	s_add_u32 s8, s8, 8
	s_waitcnt lgkmcnt(1)
	v_fmac_f32_e32 v49, v61, v56
	v_add_u32_e32 v48, s8, v50
	v_fmac_f32_e32 v49, v51, v57
	s_addc_u32 s9, s9, 0
	s_add_i32 s12, s12, 32
	s_add_i32 s13, s8, -7
	v_cmp_eq_u32_e32 vcc, 14, v48
	s_waitcnt lgkmcnt(0)
	v_fmac_f32_e32 v49, v58, v52
	v_mov_b32_e32 v48, s13
	s_or_b64 s[10:11], vcc, s[10:11]
	v_fmac_f32_e32 v49, v54, v53
	s_andn2_b64 exec, exec, s[10:11]
	s_cbranch_execnz .LBB10_41
; %bb.42:
	s_or_b64 exec, exec, s[10:11]
.LBB10_43:
	s_or_b64 exec, exec, s[2:3]
	v_and_b32_e32 v50, 7, v13
	v_cmp_ne_u32_e32 vcc, 0, v50
	s_and_saveexec_b64 s[8:9], vcc
	s_cbranch_execz .LBB10_47
; %bb.44:
	v_lshl_add_u32 v51, v48, 2, 48
	v_mov_b32_e32 v13, 0
	s_mov_b64 s[10:11], 0
.LBB10_45:                              ; =>This Inner Loop Header: Depth=1
	v_cmp_eq_u32_e32 vcc, 1, v48
	v_cndmask_b32_e32 v52, v14, v15, vcc
	v_add_u32_e32 v50, -1, v50
	v_cmp_eq_u32_e32 vcc, 2, v48
	v_cndmask_b32_e32 v52, v52, v16, vcc
	v_cmp_eq_u32_e32 vcc, 0, v50
	v_cmp_eq_u32_e64 s[2:3], 3, v48
	v_cndmask_b32_e64 v52, v52, v17, s[2:3]
	s_or_b64 s[10:11], vcc, s[10:11]
	v_cmp_eq_u32_e32 vcc, 4, v48
	v_cndmask_b32_e32 v52, v52, v18, vcc
	v_cmp_eq_u32_e32 vcc, 5, v48
	v_cndmask_b32_e32 v52, v52, v19, vcc
	v_cmp_eq_u32_e32 vcc, 6, v48
	ds_read_b32 v53, v51
	v_cndmask_b32_e32 v52, v52, v20, vcc
	v_cmp_eq_u32_e32 vcc, 7, v48
	v_cndmask_b32_e32 v52, v52, v21, vcc
	v_cmp_eq_u32_e32 vcc, 8, v48
	;; [unrolled: 2-line block ×4, first 2 shown]
	v_add_co_u32_e64 v48, s[2:3], 1, v48
	v_cndmask_b32_e32 v52, v52, v24, vcc
	v_add_u32_e32 v51, 4, v51
	v_addc_co_u32_e64 v13, s[2:3], 0, v13, s[2:3]
	s_waitcnt lgkmcnt(0)
	v_fmac_f32_e32 v49, v52, v53
	s_andn2_b64 exec, exec, s[10:11]
	s_cbranch_execnz .LBB10_45
; %bb.46:
	s_or_b64 exec, exec, s[10:11]
.LBB10_47:
	s_or_b64 exec, exec, s[8:9]
.LBB10_48:
	s_or_b64 exec, exec, s[6:7]
	v_mov_b32_e32 v13, 0
	ds_read_b32 v13, v13 offset:24
	s_waitcnt lgkmcnt(0)
	v_mul_f32_e32 v20, v49, v13
.LBB10_49:
	s_or_b64 exec, exec, s[4:5]
	v_cmp_lt_u32_e64 s[2:3], 5, v0
	ds_write_b32 v25, v19
	s_waitcnt lgkmcnt(0)
	; wave barrier
	s_waitcnt lgkmcnt(0)
	s_and_saveexec_b64 s[4:5], s[2:3]
	s_cbranch_execz .LBB10_65
; %bb.50:
	s_andn2_b64 vcc, exec, s[22:23]
	s_cbranch_vccnz .LBB10_52
; %bb.51:
	v_cmp_eq_u32_e32 vcc, 1, v0
	v_cndmask_b32_e32 v13, v14, v15, vcc
	v_cmp_eq_u32_e32 vcc, 2, v0
	v_cndmask_b32_e32 v13, v13, v16, vcc
	;; [unrolled: 2-line block ×6, first 2 shown]
	v_cmp_eq_u32_e32 vcc, 7, v0
	ds_read_b32 v48, v25
	v_cndmask_b32_e32 v13, v13, v21, vcc
	v_cmp_eq_u32_e32 vcc, 8, v0
	v_cndmask_b32_e32 v13, v13, v22, vcc
	v_cmp_eq_u32_e32 vcc, 9, v0
	;; [unrolled: 2-line block ×3, first 2 shown]
	v_cndmask_b32_e32 v13, v13, v24, vcc
	s_waitcnt lgkmcnt(0)
	v_mul_f32_e32 v49, v13, v48
	s_cbranch_execz .LBB10_53
	s_branch .LBB10_54
.LBB10_52:
                                        ; implicit-def: $vgpr49
.LBB10_53:
	ds_read_b32 v49, v25
.LBB10_54:
	s_and_saveexec_b64 s[6:7], s[0:1]
	s_cbranch_execz .LBB10_64
; %bb.55:
	v_add_u32_e32 v48, -7, v0
	v_add_u32_e32 v13, -6, v0
	v_cmp_lt_u32_e32 vcc, 6, v48
	v_mov_b32_e32 v48, 6
	s_and_saveexec_b64 s[0:1], vcc
	s_cbranch_execz .LBB10_59
; %bb.56:
	v_and_b32_e32 v48, -8, v13
	v_sub_u32_e32 v50, 0, v48
	s_mov_b64 s[8:9], 13
	s_movk_i32 s12, 0x48
	s_mov_b64 s[10:11], 0
.LBB10_57:                              ; =>This Inner Loop Header: Depth=1
	s_add_i32 s13, s8, -7
	v_mov_b32_e32 v48, s12
	s_add_i32 s14, s8, -6
	s_set_gpr_idx_on s13, gpr_idx(SRC0)
	v_mov_b32_e32 v51, v14
	s_set_gpr_idx_off
	ds_read2_b64 v[52:55], v48 offset1:1
	s_add_i32 s15, s8, -5
	s_set_gpr_idx_on s14, gpr_idx(SRC0)
	v_mov_b32_e32 v60, v14
	s_set_gpr_idx_off
	s_add_i32 s16, s8, -4
	s_set_gpr_idx_on s15, gpr_idx(SRC0)
	v_mov_b32_e32 v61, v14
	s_set_gpr_idx_off
	;; [unrolled: 4-line block ×4, first 2 shown]
	ds_read2_b64 v[56:59], v48 offset0:2 offset1:3
	s_add_i32 s19, s8, -1
	s_waitcnt lgkmcnt(1)
	v_fmac_f32_e32 v49, v51, v52
	s_set_gpr_idx_on s18, gpr_idx(SRC0)
	v_mov_b32_e32 v51, v14
	s_set_gpr_idx_off
	v_fmac_f32_e32 v49, v60, v53
	s_set_gpr_idx_on s19, gpr_idx(SRC0)
	v_mov_b32_e32 v52, v14
	s_set_gpr_idx_off
	;; [unrolled: 4-line block ×3, first 2 shown]
	v_fmac_f32_e32 v49, v62, v55
	s_add_u32 s8, s8, 8
	s_waitcnt lgkmcnt(0)
	v_fmac_f32_e32 v49, v63, v56
	v_add_u32_e32 v48, s8, v50
	v_fmac_f32_e32 v49, v51, v57
	s_addc_u32 s9, s9, 0
	s_add_i32 s12, s12, 32
	s_add_i32 s13, s8, -7
	v_cmp_eq_u32_e32 vcc, 13, v48
	v_fmac_f32_e32 v49, v52, v58
	v_mov_b32_e32 v48, s13
	s_or_b64 s[10:11], vcc, s[10:11]
	v_fmac_f32_e32 v49, v53, v59
	s_andn2_b64 exec, exec, s[10:11]
	s_cbranch_execnz .LBB10_57
; %bb.58:
	s_or_b64 exec, exec, s[10:11]
.LBB10_59:
	s_or_b64 exec, exec, s[0:1]
	v_and_b32_e32 v50, 7, v13
	v_cmp_ne_u32_e32 vcc, 0, v50
	s_and_saveexec_b64 s[8:9], vcc
	s_cbranch_execz .LBB10_63
; %bb.60:
	v_lshl_add_u32 v51, v48, 2, 48
	v_mov_b32_e32 v13, 0
	s_mov_b64 s[10:11], 0
.LBB10_61:                              ; =>This Inner Loop Header: Depth=1
	v_cmp_eq_u32_e32 vcc, 1, v48
	v_cndmask_b32_e32 v52, v14, v15, vcc
	v_add_u32_e32 v50, -1, v50
	v_cmp_eq_u32_e32 vcc, 2, v48
	v_cndmask_b32_e32 v52, v52, v16, vcc
	v_cmp_eq_u32_e32 vcc, 0, v50
	v_cmp_eq_u32_e64 s[0:1], 3, v48
	v_cndmask_b32_e64 v52, v52, v17, s[0:1]
	s_or_b64 s[10:11], vcc, s[10:11]
	v_cmp_eq_u32_e32 vcc, 4, v48
	v_cndmask_b32_e32 v52, v52, v18, vcc
	v_cmp_eq_u32_e32 vcc, 5, v48
	v_cndmask_b32_e32 v52, v52, v19, vcc
	v_cmp_eq_u32_e32 vcc, 6, v48
	ds_read_b32 v53, v51
	v_cndmask_b32_e32 v52, v52, v20, vcc
	v_cmp_eq_u32_e32 vcc, 7, v48
	v_cndmask_b32_e32 v52, v52, v21, vcc
	v_cmp_eq_u32_e32 vcc, 8, v48
	;; [unrolled: 2-line block ×4, first 2 shown]
	v_add_co_u32_e64 v48, s[0:1], 1, v48
	v_cndmask_b32_e32 v52, v52, v24, vcc
	v_add_u32_e32 v51, 4, v51
	v_addc_co_u32_e64 v13, s[0:1], 0, v13, s[0:1]
	s_waitcnt lgkmcnt(0)
	v_fmac_f32_e32 v49, v52, v53
	s_andn2_b64 exec, exec, s[10:11]
	s_cbranch_execnz .LBB10_61
; %bb.62:
	s_or_b64 exec, exec, s[10:11]
.LBB10_63:
	s_or_b64 exec, exec, s[8:9]
.LBB10_64:
	s_or_b64 exec, exec, s[6:7]
	v_mov_b32_e32 v13, 0
	ds_read_b32 v13, v13 offset:20
	s_waitcnt lgkmcnt(0)
	v_mul_f32_e32 v19, v49, v13
.LBB10_65:
	s_or_b64 exec, exec, s[4:5]
	v_cmp_lt_u32_e64 s[0:1], 4, v0
	ds_write_b32 v25, v18
	s_waitcnt lgkmcnt(0)
	; wave barrier
	s_waitcnt lgkmcnt(0)
	s_and_saveexec_b64 s[4:5], s[0:1]
	s_cbranch_execz .LBB10_81
; %bb.66:
	s_andn2_b64 vcc, exec, s[22:23]
	s_cbranch_vccnz .LBB10_68
; %bb.67:
	v_cmp_eq_u32_e32 vcc, 1, v0
	v_cndmask_b32_e32 v13, v14, v15, vcc
	v_cmp_eq_u32_e32 vcc, 2, v0
	v_cndmask_b32_e32 v13, v13, v16, vcc
	;; [unrolled: 2-line block ×6, first 2 shown]
	v_cmp_eq_u32_e32 vcc, 7, v0
	ds_read_b32 v48, v25
	v_cndmask_b32_e32 v13, v13, v21, vcc
	v_cmp_eq_u32_e32 vcc, 8, v0
	v_cndmask_b32_e32 v13, v13, v22, vcc
	v_cmp_eq_u32_e32 vcc, 9, v0
	;; [unrolled: 2-line block ×3, first 2 shown]
	v_cndmask_b32_e32 v13, v13, v24, vcc
	s_waitcnt lgkmcnt(0)
	v_mul_f32_e32 v49, v13, v48
	s_cbranch_execz .LBB10_69
	s_branch .LBB10_70
.LBB10_68:
                                        ; implicit-def: $vgpr49
.LBB10_69:
	ds_read_b32 v49, v25
.LBB10_70:
	s_and_saveexec_b64 s[6:7], s[2:3]
	s_cbranch_execz .LBB10_80
; %bb.71:
	v_add_u32_e32 v48, -6, v0
	v_add_u32_e32 v13, -5, v0
	v_cmp_lt_u32_e32 vcc, 6, v48
	v_mov_b32_e32 v48, 5
	s_and_saveexec_b64 s[2:3], vcc
	s_cbranch_execz .LBB10_75
; %bb.72:
	v_and_b32_e32 v48, -8, v13
	v_sub_u32_e32 v50, 0, v48
	s_mov_b64 s[8:9], 12
	s_movk_i32 s12, 0x44
	s_mov_b64 s[10:11], 0
.LBB10_73:                              ; =>This Inner Loop Header: Depth=1
	s_add_i32 s13, s8, -7
	v_mov_b32_e32 v48, s12
	s_add_i32 s14, s8, -6
	s_set_gpr_idx_on s13, gpr_idx(SRC0)
	v_mov_b32_e32 v51, v14
	s_set_gpr_idx_off
	ds_read2_b32 v[52:53], v48 offset1:1
	s_add_i32 s15, s8, -5
	s_set_gpr_idx_on s14, gpr_idx(SRC0)
	v_mov_b32_e32 v58, v14
	s_set_gpr_idx_off
	s_add_i32 s16, s8, -4
	s_set_gpr_idx_on s15, gpr_idx(SRC0)
	v_mov_b32_e32 v59, v14
	s_set_gpr_idx_off
	ds_read2_b32 v[54:55], v48 offset0:2 offset1:3
	s_add_i32 s17, s8, -3
	s_set_gpr_idx_on s16, gpr_idx(SRC0)
	v_mov_b32_e32 v60, v14
	s_set_gpr_idx_off
	s_add_i32 s18, s8, -2
	s_set_gpr_idx_on s17, gpr_idx(SRC0)
	v_mov_b32_e32 v61, v14
	s_set_gpr_idx_off
	ds_read2_b32 v[56:57], v48 offset0:4 offset1:5
	s_add_i32 s19, s8, -1
	s_waitcnt lgkmcnt(2)
	v_fmac_f32_e32 v49, v51, v52
	s_set_gpr_idx_on s18, gpr_idx(SRC0)
	v_mov_b32_e32 v51, v14
	s_set_gpr_idx_off
	v_fmac_f32_e32 v49, v58, v53
	s_set_gpr_idx_on s19, gpr_idx(SRC0)
	v_mov_b32_e32 v58, v14
	s_set_gpr_idx_off
	ds_read2_b32 v[52:53], v48 offset0:6 offset1:7
	s_waitcnt lgkmcnt(2)
	v_fmac_f32_e32 v49, v59, v54
	s_set_gpr_idx_on s8, gpr_idx(SRC0)
	v_mov_b32_e32 v54, v14
	s_set_gpr_idx_off
	v_fmac_f32_e32 v49, v60, v55
	s_add_u32 s8, s8, 8
	s_waitcnt lgkmcnt(1)
	v_fmac_f32_e32 v49, v61, v56
	v_add_u32_e32 v48, s8, v50
	v_fmac_f32_e32 v49, v51, v57
	s_addc_u32 s9, s9, 0
	s_add_i32 s12, s12, 32
	s_add_i32 s13, s8, -7
	v_cmp_eq_u32_e32 vcc, 12, v48
	s_waitcnt lgkmcnt(0)
	v_fmac_f32_e32 v49, v58, v52
	v_mov_b32_e32 v48, s13
	s_or_b64 s[10:11], vcc, s[10:11]
	v_fmac_f32_e32 v49, v54, v53
	s_andn2_b64 exec, exec, s[10:11]
	s_cbranch_execnz .LBB10_73
; %bb.74:
	s_or_b64 exec, exec, s[10:11]
.LBB10_75:
	s_or_b64 exec, exec, s[2:3]
	v_and_b32_e32 v50, 7, v13
	v_cmp_ne_u32_e32 vcc, 0, v50
	s_and_saveexec_b64 s[8:9], vcc
	s_cbranch_execz .LBB10_79
; %bb.76:
	v_lshl_add_u32 v51, v48, 2, 48
	v_mov_b32_e32 v13, 0
	s_mov_b64 s[10:11], 0
.LBB10_77:                              ; =>This Inner Loop Header: Depth=1
	v_cmp_eq_u32_e32 vcc, 1, v48
	v_cndmask_b32_e32 v52, v14, v15, vcc
	v_add_u32_e32 v50, -1, v50
	v_cmp_eq_u32_e32 vcc, 2, v48
	v_cndmask_b32_e32 v52, v52, v16, vcc
	v_cmp_eq_u32_e32 vcc, 0, v50
	v_cmp_eq_u32_e64 s[2:3], 3, v48
	v_cndmask_b32_e64 v52, v52, v17, s[2:3]
	s_or_b64 s[10:11], vcc, s[10:11]
	v_cmp_eq_u32_e32 vcc, 4, v48
	v_cndmask_b32_e32 v52, v52, v18, vcc
	v_cmp_eq_u32_e32 vcc, 5, v48
	v_cndmask_b32_e32 v52, v52, v19, vcc
	v_cmp_eq_u32_e32 vcc, 6, v48
	ds_read_b32 v53, v51
	v_cndmask_b32_e32 v52, v52, v20, vcc
	v_cmp_eq_u32_e32 vcc, 7, v48
	v_cndmask_b32_e32 v52, v52, v21, vcc
	v_cmp_eq_u32_e32 vcc, 8, v48
	;; [unrolled: 2-line block ×4, first 2 shown]
	v_add_co_u32_e64 v48, s[2:3], 1, v48
	v_cndmask_b32_e32 v52, v52, v24, vcc
	v_add_u32_e32 v51, 4, v51
	v_addc_co_u32_e64 v13, s[2:3], 0, v13, s[2:3]
	s_waitcnt lgkmcnt(0)
	v_fmac_f32_e32 v49, v52, v53
	s_andn2_b64 exec, exec, s[10:11]
	s_cbranch_execnz .LBB10_77
; %bb.78:
	s_or_b64 exec, exec, s[10:11]
.LBB10_79:
	s_or_b64 exec, exec, s[8:9]
.LBB10_80:
	s_or_b64 exec, exec, s[6:7]
	v_mov_b32_e32 v13, 0
	ds_read_b32 v13, v13 offset:16
	s_waitcnt lgkmcnt(0)
	v_mul_f32_e32 v18, v49, v13
.LBB10_81:
	s_or_b64 exec, exec, s[4:5]
	v_cmp_lt_u32_e64 s[2:3], 3, v0
	ds_write_b32 v25, v17
	s_waitcnt lgkmcnt(0)
	; wave barrier
	s_waitcnt lgkmcnt(0)
	s_and_saveexec_b64 s[4:5], s[2:3]
	s_cbranch_execz .LBB10_97
; %bb.82:
	s_andn2_b64 vcc, exec, s[22:23]
	s_cbranch_vccnz .LBB10_84
; %bb.83:
	v_cmp_eq_u32_e32 vcc, 1, v0
	v_cndmask_b32_e32 v13, v14, v15, vcc
	v_cmp_eq_u32_e32 vcc, 2, v0
	v_cndmask_b32_e32 v13, v13, v16, vcc
	;; [unrolled: 2-line block ×6, first 2 shown]
	v_cmp_eq_u32_e32 vcc, 7, v0
	ds_read_b32 v48, v25
	v_cndmask_b32_e32 v13, v13, v21, vcc
	v_cmp_eq_u32_e32 vcc, 8, v0
	v_cndmask_b32_e32 v13, v13, v22, vcc
	v_cmp_eq_u32_e32 vcc, 9, v0
	v_cndmask_b32_e32 v13, v13, v23, vcc
	v_cmp_eq_u32_e32 vcc, 10, v0
	v_cndmask_b32_e32 v13, v13, v24, vcc
	s_waitcnt lgkmcnt(0)
	v_mul_f32_e32 v49, v13, v48
	s_cbranch_execz .LBB10_85
	s_branch .LBB10_86
.LBB10_84:
                                        ; implicit-def: $vgpr49
.LBB10_85:
	ds_read_b32 v49, v25
.LBB10_86:
	s_and_saveexec_b64 s[6:7], s[0:1]
	s_cbranch_execz .LBB10_96
; %bb.87:
	v_add_u32_e32 v48, -5, v0
	v_add_u32_e32 v13, -4, v0
	v_cmp_lt_u32_e32 vcc, 6, v48
	v_mov_b32_e32 v48, 4
	s_and_saveexec_b64 s[0:1], vcc
	s_cbranch_execz .LBB10_91
; %bb.88:
	v_and_b32_e32 v48, -8, v13
	v_sub_u32_e32 v50, 0, v48
	s_mov_b64 s[8:9], 5
	s_mov_b32 s12, 64
	s_mov_b64 s[10:11], 0
.LBB10_89:                              ; =>This Inner Loop Header: Depth=1
	s_add_i32 s13, s8, -1
	v_mov_b32_e32 v48, s12
	s_set_gpr_idx_on s13, gpr_idx(SRC0)
	v_mov_b32_e32 v51, v14
	s_set_gpr_idx_off
	s_add_i32 s14, s8, 1
	ds_read_b128 v[52:55], v48
	ds_read_b128 v[56:59], v48 offset:16
	s_set_gpr_idx_on s8, gpr_idx(SRC0)
	v_mov_b32_e32 v60, v14
	s_set_gpr_idx_off
	s_add_i32 s15, s8, 2
	s_set_gpr_idx_on s14, gpr_idx(SRC0)
	v_mov_b32_e32 v61, v14
	s_set_gpr_idx_off
	s_add_i32 s16, s8, 3
	;; [unrolled: 4-line block ×4, first 2 shown]
	s_waitcnt lgkmcnt(1)
	v_fmac_f32_e32 v49, v51, v52
	s_set_gpr_idx_on s17, gpr_idx(SRC0)
	v_mov_b32_e32 v51, v14
	s_set_gpr_idx_off
	s_add_i32 s19, s8, 6
	v_fmac_f32_e32 v49, v60, v53
	s_set_gpr_idx_on s18, gpr_idx(SRC0)
	v_mov_b32_e32 v52, v14
	s_set_gpr_idx_off
	v_fmac_f32_e32 v49, v61, v54
	s_set_gpr_idx_on s19, gpr_idx(SRC0)
	v_mov_b32_e32 v53, v14
	s_set_gpr_idx_off
	v_fmac_f32_e32 v49, v62, v55
	s_add_u32 s8, s8, 8
	s_waitcnt lgkmcnt(0)
	v_fmac_f32_e32 v49, v63, v56
	v_add_u32_e32 v48, s8, v50
	v_fmac_f32_e32 v49, v51, v57
	s_addc_u32 s9, s9, 0
	s_add_i32 s12, s12, 32
	s_add_i32 s13, s8, -1
	v_cmp_eq_u32_e32 vcc, 5, v48
	v_fmac_f32_e32 v49, v52, v58
	v_mov_b32_e32 v48, s13
	s_or_b64 s[10:11], vcc, s[10:11]
	v_fmac_f32_e32 v49, v53, v59
	s_andn2_b64 exec, exec, s[10:11]
	s_cbranch_execnz .LBB10_89
; %bb.90:
	s_or_b64 exec, exec, s[10:11]
.LBB10_91:
	s_or_b64 exec, exec, s[0:1]
	v_and_b32_e32 v50, 7, v13
	v_cmp_ne_u32_e32 vcc, 0, v50
	s_and_saveexec_b64 s[8:9], vcc
	s_cbranch_execz .LBB10_95
; %bb.92:
	v_lshl_add_u32 v51, v48, 2, 48
	v_mov_b32_e32 v13, 0
	s_mov_b64 s[10:11], 0
.LBB10_93:                              ; =>This Inner Loop Header: Depth=1
	v_cmp_eq_u32_e32 vcc, 1, v48
	v_cndmask_b32_e32 v52, v14, v15, vcc
	v_add_u32_e32 v50, -1, v50
	v_cmp_eq_u32_e32 vcc, 2, v48
	v_cndmask_b32_e32 v52, v52, v16, vcc
	v_cmp_eq_u32_e32 vcc, 0, v50
	v_cmp_eq_u32_e64 s[0:1], 3, v48
	v_cndmask_b32_e64 v52, v52, v17, s[0:1]
	s_or_b64 s[10:11], vcc, s[10:11]
	v_cmp_eq_u32_e32 vcc, 4, v48
	v_cndmask_b32_e32 v52, v52, v18, vcc
	v_cmp_eq_u32_e32 vcc, 5, v48
	v_cndmask_b32_e32 v52, v52, v19, vcc
	v_cmp_eq_u32_e32 vcc, 6, v48
	ds_read_b32 v53, v51
	v_cndmask_b32_e32 v52, v52, v20, vcc
	v_cmp_eq_u32_e32 vcc, 7, v48
	v_cndmask_b32_e32 v52, v52, v21, vcc
	v_cmp_eq_u32_e32 vcc, 8, v48
	;; [unrolled: 2-line block ×4, first 2 shown]
	v_add_co_u32_e64 v48, s[0:1], 1, v48
	v_cndmask_b32_e32 v52, v52, v24, vcc
	v_add_u32_e32 v51, 4, v51
	v_addc_co_u32_e64 v13, s[0:1], 0, v13, s[0:1]
	s_waitcnt lgkmcnt(0)
	v_fmac_f32_e32 v49, v52, v53
	s_andn2_b64 exec, exec, s[10:11]
	s_cbranch_execnz .LBB10_93
; %bb.94:
	s_or_b64 exec, exec, s[10:11]
.LBB10_95:
	s_or_b64 exec, exec, s[8:9]
.LBB10_96:
	s_or_b64 exec, exec, s[6:7]
	v_mov_b32_e32 v13, 0
	ds_read_b32 v13, v13 offset:12
	s_waitcnt lgkmcnt(0)
	v_mul_f32_e32 v17, v49, v13
.LBB10_97:
	s_or_b64 exec, exec, s[4:5]
	v_cmp_lt_u32_e64 s[0:1], 2, v0
	ds_write_b32 v25, v16
	s_waitcnt lgkmcnt(0)
	; wave barrier
	s_waitcnt lgkmcnt(0)
	s_and_saveexec_b64 s[4:5], s[0:1]
	s_cbranch_execz .LBB10_113
; %bb.98:
	s_andn2_b64 vcc, exec, s[22:23]
	s_cbranch_vccnz .LBB10_100
; %bb.99:
	v_cmp_eq_u32_e32 vcc, 1, v0
	v_cndmask_b32_e32 v13, v14, v15, vcc
	v_cmp_eq_u32_e32 vcc, 2, v0
	v_cndmask_b32_e32 v13, v13, v16, vcc
	;; [unrolled: 2-line block ×6, first 2 shown]
	v_cmp_eq_u32_e32 vcc, 7, v0
	ds_read_b32 v48, v25
	v_cndmask_b32_e32 v13, v13, v21, vcc
	v_cmp_eq_u32_e32 vcc, 8, v0
	v_cndmask_b32_e32 v13, v13, v22, vcc
	v_cmp_eq_u32_e32 vcc, 9, v0
	;; [unrolled: 2-line block ×3, first 2 shown]
	v_cndmask_b32_e32 v13, v13, v24, vcc
	s_waitcnt lgkmcnt(0)
	v_mul_f32_e32 v49, v13, v48
	s_cbranch_execz .LBB10_101
	s_branch .LBB10_102
.LBB10_100:
                                        ; implicit-def: $vgpr49
.LBB10_101:
	ds_read_b32 v49, v25
.LBB10_102:
	s_and_saveexec_b64 s[6:7], s[2:3]
	s_cbranch_execz .LBB10_112
; %bb.103:
	v_add_u32_e32 v48, -4, v0
	v_add_u32_e32 v13, -3, v0
	v_cmp_lt_u32_e32 vcc, 6, v48
	v_mov_b32_e32 v48, 3
	s_and_saveexec_b64 s[2:3], vcc
	s_cbranch_execz .LBB10_107
; %bb.104:
	v_and_b32_e32 v48, -8, v13
	v_sub_u32_e32 v50, 0, v48
	s_mov_b64 s[8:9], 10
	s_mov_b32 s12, 60
	s_mov_b64 s[10:11], 0
.LBB10_105:                             ; =>This Inner Loop Header: Depth=1
	s_add_i32 s13, s8, -7
	v_mov_b32_e32 v48, s12
	s_add_i32 s14, s8, -6
	s_set_gpr_idx_on s13, gpr_idx(SRC0)
	v_mov_b32_e32 v51, v14
	s_set_gpr_idx_off
	ds_read2_b32 v[52:53], v48 offset1:1
	s_add_i32 s15, s8, -5
	s_set_gpr_idx_on s14, gpr_idx(SRC0)
	v_mov_b32_e32 v58, v14
	s_set_gpr_idx_off
	s_add_i32 s16, s8, -4
	s_set_gpr_idx_on s15, gpr_idx(SRC0)
	v_mov_b32_e32 v59, v14
	s_set_gpr_idx_off
	ds_read2_b32 v[54:55], v48 offset0:2 offset1:3
	s_add_i32 s17, s8, -3
	s_set_gpr_idx_on s16, gpr_idx(SRC0)
	v_mov_b32_e32 v60, v14
	s_set_gpr_idx_off
	s_add_i32 s18, s8, -2
	s_set_gpr_idx_on s17, gpr_idx(SRC0)
	v_mov_b32_e32 v61, v14
	s_set_gpr_idx_off
	ds_read2_b32 v[56:57], v48 offset0:4 offset1:5
	s_add_i32 s19, s8, -1
	s_waitcnt lgkmcnt(2)
	v_fmac_f32_e32 v49, v51, v52
	s_set_gpr_idx_on s18, gpr_idx(SRC0)
	v_mov_b32_e32 v51, v14
	s_set_gpr_idx_off
	v_fmac_f32_e32 v49, v58, v53
	s_set_gpr_idx_on s19, gpr_idx(SRC0)
	v_mov_b32_e32 v58, v14
	s_set_gpr_idx_off
	ds_read2_b32 v[52:53], v48 offset0:6 offset1:7
	s_waitcnt lgkmcnt(2)
	v_fmac_f32_e32 v49, v59, v54
	s_set_gpr_idx_on s8, gpr_idx(SRC0)
	v_mov_b32_e32 v54, v14
	s_set_gpr_idx_off
	v_fmac_f32_e32 v49, v60, v55
	s_add_u32 s8, s8, 8
	s_waitcnt lgkmcnt(1)
	v_fmac_f32_e32 v49, v61, v56
	v_add_u32_e32 v48, s8, v50
	v_fmac_f32_e32 v49, v51, v57
	s_addc_u32 s9, s9, 0
	s_add_i32 s12, s12, 32
	s_add_i32 s13, s8, -7
	v_cmp_eq_u32_e32 vcc, 10, v48
	s_waitcnt lgkmcnt(0)
	v_fmac_f32_e32 v49, v58, v52
	v_mov_b32_e32 v48, s13
	s_or_b64 s[10:11], vcc, s[10:11]
	v_fmac_f32_e32 v49, v54, v53
	s_andn2_b64 exec, exec, s[10:11]
	s_cbranch_execnz .LBB10_105
; %bb.106:
	s_or_b64 exec, exec, s[10:11]
.LBB10_107:
	s_or_b64 exec, exec, s[2:3]
	v_and_b32_e32 v50, 7, v13
	v_cmp_ne_u32_e32 vcc, 0, v50
	s_and_saveexec_b64 s[8:9], vcc
	s_cbranch_execz .LBB10_111
; %bb.108:
	v_lshl_add_u32 v51, v48, 2, 48
	v_mov_b32_e32 v13, 0
	s_mov_b64 s[10:11], 0
.LBB10_109:                             ; =>This Inner Loop Header: Depth=1
	v_cmp_eq_u32_e32 vcc, 1, v48
	v_cndmask_b32_e32 v52, v14, v15, vcc
	v_add_u32_e32 v50, -1, v50
	v_cmp_eq_u32_e32 vcc, 2, v48
	v_cndmask_b32_e32 v52, v52, v16, vcc
	v_cmp_eq_u32_e32 vcc, 0, v50
	v_cmp_eq_u32_e64 s[2:3], 3, v48
	v_cndmask_b32_e64 v52, v52, v17, s[2:3]
	s_or_b64 s[10:11], vcc, s[10:11]
	v_cmp_eq_u32_e32 vcc, 4, v48
	v_cndmask_b32_e32 v52, v52, v18, vcc
	v_cmp_eq_u32_e32 vcc, 5, v48
	v_cndmask_b32_e32 v52, v52, v19, vcc
	v_cmp_eq_u32_e32 vcc, 6, v48
	ds_read_b32 v53, v51
	v_cndmask_b32_e32 v52, v52, v20, vcc
	v_cmp_eq_u32_e32 vcc, 7, v48
	v_cndmask_b32_e32 v52, v52, v21, vcc
	v_cmp_eq_u32_e32 vcc, 8, v48
	;; [unrolled: 2-line block ×4, first 2 shown]
	v_add_co_u32_e64 v48, s[2:3], 1, v48
	v_cndmask_b32_e32 v52, v52, v24, vcc
	v_add_u32_e32 v51, 4, v51
	v_addc_co_u32_e64 v13, s[2:3], 0, v13, s[2:3]
	s_waitcnt lgkmcnt(0)
	v_fmac_f32_e32 v49, v52, v53
	s_andn2_b64 exec, exec, s[10:11]
	s_cbranch_execnz .LBB10_109
; %bb.110:
	s_or_b64 exec, exec, s[10:11]
.LBB10_111:
	s_or_b64 exec, exec, s[8:9]
.LBB10_112:
	s_or_b64 exec, exec, s[6:7]
	v_mov_b32_e32 v13, 0
	ds_read_b32 v13, v13 offset:8
	s_waitcnt lgkmcnt(0)
	v_mul_f32_e32 v16, v49, v13
.LBB10_113:
	s_or_b64 exec, exec, s[4:5]
	v_cmp_lt_u32_e64 s[2:3], 1, v0
	ds_write_b32 v25, v15
	s_waitcnt lgkmcnt(0)
	; wave barrier
	s_waitcnt lgkmcnt(0)
	s_and_saveexec_b64 s[4:5], s[2:3]
	s_cbranch_execz .LBB10_129
; %bb.114:
	s_andn2_b64 vcc, exec, s[22:23]
	s_cbranch_vccnz .LBB10_116
; %bb.115:
	v_cmp_eq_u32_e32 vcc, 1, v0
	v_cndmask_b32_e32 v13, v14, v15, vcc
	v_cmp_eq_u32_e32 vcc, 2, v0
	v_cndmask_b32_e32 v13, v13, v16, vcc
	;; [unrolled: 2-line block ×6, first 2 shown]
	v_cmp_eq_u32_e32 vcc, 7, v0
	ds_read_b32 v48, v25
	v_cndmask_b32_e32 v13, v13, v21, vcc
	v_cmp_eq_u32_e32 vcc, 8, v0
	v_cndmask_b32_e32 v13, v13, v22, vcc
	v_cmp_eq_u32_e32 vcc, 9, v0
	;; [unrolled: 2-line block ×3, first 2 shown]
	v_cndmask_b32_e32 v13, v13, v24, vcc
	s_waitcnt lgkmcnt(0)
	v_mul_f32_e32 v49, v13, v48
	s_cbranch_execz .LBB10_117
	s_branch .LBB10_118
.LBB10_116:
                                        ; implicit-def: $vgpr49
.LBB10_117:
	ds_read_b32 v49, v25
.LBB10_118:
	s_and_saveexec_b64 s[6:7], s[0:1]
	s_cbranch_execz .LBB10_128
; %bb.119:
	v_add_u32_e32 v48, -3, v0
	v_add_u32_e32 v13, -2, v0
	v_cmp_lt_u32_e32 vcc, 6, v48
	v_mov_b32_e32 v48, 2
	s_and_saveexec_b64 s[0:1], vcc
	s_cbranch_execz .LBB10_123
; %bb.120:
	v_and_b32_e32 v48, -8, v13
	v_sub_u32_e32 v50, 0, v48
	s_mov_b64 s[8:9], 9
	s_mov_b32 s12, 56
	s_mov_b64 s[10:11], 0
.LBB10_121:                             ; =>This Inner Loop Header: Depth=1
	s_add_i32 s13, s8, -7
	v_mov_b32_e32 v48, s12
	s_add_i32 s14, s8, -6
	s_set_gpr_idx_on s13, gpr_idx(SRC0)
	v_mov_b32_e32 v51, v14
	s_set_gpr_idx_off
	ds_read2_b64 v[52:55], v48 offset1:1
	s_add_i32 s15, s8, -5
	s_set_gpr_idx_on s14, gpr_idx(SRC0)
	v_mov_b32_e32 v60, v14
	s_set_gpr_idx_off
	s_add_i32 s16, s8, -4
	s_set_gpr_idx_on s15, gpr_idx(SRC0)
	v_mov_b32_e32 v61, v14
	s_set_gpr_idx_off
	;; [unrolled: 4-line block ×4, first 2 shown]
	ds_read2_b64 v[56:59], v48 offset0:2 offset1:3
	s_add_i32 s19, s8, -1
	s_waitcnt lgkmcnt(1)
	v_fmac_f32_e32 v49, v51, v52
	s_set_gpr_idx_on s18, gpr_idx(SRC0)
	v_mov_b32_e32 v51, v14
	s_set_gpr_idx_off
	v_fmac_f32_e32 v49, v60, v53
	s_set_gpr_idx_on s19, gpr_idx(SRC0)
	v_mov_b32_e32 v52, v14
	s_set_gpr_idx_off
	;; [unrolled: 4-line block ×3, first 2 shown]
	v_fmac_f32_e32 v49, v62, v55
	s_add_u32 s8, s8, 8
	s_waitcnt lgkmcnt(0)
	v_fmac_f32_e32 v49, v63, v56
	v_add_u32_e32 v48, s8, v50
	v_fmac_f32_e32 v49, v51, v57
	s_addc_u32 s9, s9, 0
	s_add_i32 s12, s12, 32
	s_add_i32 s13, s8, -7
	v_cmp_eq_u32_e32 vcc, 9, v48
	v_fmac_f32_e32 v49, v52, v58
	v_mov_b32_e32 v48, s13
	s_or_b64 s[10:11], vcc, s[10:11]
	v_fmac_f32_e32 v49, v53, v59
	s_andn2_b64 exec, exec, s[10:11]
	s_cbranch_execnz .LBB10_121
; %bb.122:
	s_or_b64 exec, exec, s[10:11]
.LBB10_123:
	s_or_b64 exec, exec, s[0:1]
	v_and_b32_e32 v50, 7, v13
	v_cmp_ne_u32_e32 vcc, 0, v50
	s_and_saveexec_b64 s[8:9], vcc
	s_cbranch_execz .LBB10_127
; %bb.124:
	v_lshl_add_u32 v51, v48, 2, 48
	v_mov_b32_e32 v13, 0
	s_mov_b64 s[10:11], 0
.LBB10_125:                             ; =>This Inner Loop Header: Depth=1
	v_cmp_eq_u32_e32 vcc, 1, v48
	v_cndmask_b32_e32 v52, v14, v15, vcc
	v_add_u32_e32 v50, -1, v50
	v_cmp_eq_u32_e32 vcc, 2, v48
	v_cndmask_b32_e32 v52, v52, v16, vcc
	v_cmp_eq_u32_e32 vcc, 0, v50
	v_cmp_eq_u32_e64 s[0:1], 3, v48
	v_cndmask_b32_e64 v52, v52, v17, s[0:1]
	s_or_b64 s[10:11], vcc, s[10:11]
	v_cmp_eq_u32_e32 vcc, 4, v48
	v_cndmask_b32_e32 v52, v52, v18, vcc
	v_cmp_eq_u32_e32 vcc, 5, v48
	v_cndmask_b32_e32 v52, v52, v19, vcc
	v_cmp_eq_u32_e32 vcc, 6, v48
	ds_read_b32 v53, v51
	v_cndmask_b32_e32 v52, v52, v20, vcc
	v_cmp_eq_u32_e32 vcc, 7, v48
	v_cndmask_b32_e32 v52, v52, v21, vcc
	v_cmp_eq_u32_e32 vcc, 8, v48
	;; [unrolled: 2-line block ×4, first 2 shown]
	v_add_co_u32_e64 v48, s[0:1], 1, v48
	v_cndmask_b32_e32 v52, v52, v24, vcc
	v_add_u32_e32 v51, 4, v51
	v_addc_co_u32_e64 v13, s[0:1], 0, v13, s[0:1]
	s_waitcnt lgkmcnt(0)
	v_fmac_f32_e32 v49, v52, v53
	s_andn2_b64 exec, exec, s[10:11]
	s_cbranch_execnz .LBB10_125
; %bb.126:
	s_or_b64 exec, exec, s[10:11]
.LBB10_127:
	s_or_b64 exec, exec, s[8:9]
.LBB10_128:
	s_or_b64 exec, exec, s[6:7]
	v_mov_b32_e32 v13, 0
	ds_read_b32 v13, v13 offset:4
	s_waitcnt lgkmcnt(0)
	v_mul_f32_e32 v15, v49, v13
.LBB10_129:
	s_or_b64 exec, exec, s[4:5]
	v_cmp_ne_u32_e32 vcc, 0, v0
	ds_write_b32 v25, v14
	s_waitcnt lgkmcnt(0)
	; wave barrier
	s_waitcnt lgkmcnt(0)
	s_and_saveexec_b64 s[4:5], vcc
	s_cbranch_execz .LBB10_145
; %bb.130:
	s_andn2_b64 vcc, exec, s[22:23]
	s_cbranch_vccnz .LBB10_132
; %bb.131:
	v_cmp_eq_u32_e32 vcc, 1, v0
	v_cndmask_b32_e32 v13, v14, v15, vcc
	v_cmp_eq_u32_e32 vcc, 2, v0
	v_cndmask_b32_e32 v13, v13, v16, vcc
	;; [unrolled: 2-line block ×6, first 2 shown]
	v_cmp_eq_u32_e32 vcc, 7, v0
	ds_read_b32 v48, v25
	v_cndmask_b32_e32 v13, v13, v21, vcc
	v_cmp_eq_u32_e32 vcc, 8, v0
	v_cndmask_b32_e32 v13, v13, v22, vcc
	v_cmp_eq_u32_e32 vcc, 9, v0
	;; [unrolled: 2-line block ×3, first 2 shown]
	v_cndmask_b32_e32 v13, v13, v24, vcc
	s_waitcnt lgkmcnt(0)
	v_mul_f32_e32 v49, v13, v48
	s_cbranch_execz .LBB10_133
	s_branch .LBB10_134
.LBB10_132:
                                        ; implicit-def: $vgpr49
.LBB10_133:
	ds_read_b32 v49, v25
.LBB10_134:
	s_and_saveexec_b64 s[6:7], s[2:3]
	s_cbranch_execz .LBB10_144
; %bb.135:
	v_add_u32_e32 v48, -2, v0
	v_add_u32_e32 v13, -1, v0
	v_cmp_lt_u32_e32 vcc, 6, v48
	v_mov_b32_e32 v48, 1
	s_and_saveexec_b64 s[0:1], vcc
	s_cbranch_execz .LBB10_139
; %bb.136:
	v_and_b32_e32 v48, -8, v13
	v_sub_u32_e32 v50, 0, v48
	s_mov_b64 s[2:3], 8
	s_mov_b32 s10, 52
	s_mov_b64 s[8:9], 0
.LBB10_137:                             ; =>This Inner Loop Header: Depth=1
	s_add_i32 s11, s2, -7
	v_mov_b32_e32 v48, s10
	s_add_i32 s12, s2, -6
	s_set_gpr_idx_on s11, gpr_idx(SRC0)
	v_mov_b32_e32 v51, v14
	s_set_gpr_idx_off
	ds_read2_b32 v[52:53], v48 offset1:1
	s_add_i32 s13, s2, -5
	s_set_gpr_idx_on s12, gpr_idx(SRC0)
	v_mov_b32_e32 v58, v14
	s_set_gpr_idx_off
	s_add_i32 s14, s2, -4
	s_set_gpr_idx_on s13, gpr_idx(SRC0)
	v_mov_b32_e32 v59, v14
	s_set_gpr_idx_off
	ds_read2_b32 v[54:55], v48 offset0:2 offset1:3
	s_add_i32 s15, s2, -3
	s_set_gpr_idx_on s14, gpr_idx(SRC0)
	v_mov_b32_e32 v60, v14
	s_set_gpr_idx_off
	s_add_i32 s16, s2, -2
	s_set_gpr_idx_on s15, gpr_idx(SRC0)
	v_mov_b32_e32 v61, v14
	s_set_gpr_idx_off
	ds_read2_b32 v[56:57], v48 offset0:4 offset1:5
	s_add_i32 s17, s2, -1
	s_waitcnt lgkmcnt(2)
	v_fmac_f32_e32 v49, v51, v52
	s_set_gpr_idx_on s16, gpr_idx(SRC0)
	v_mov_b32_e32 v51, v14
	s_set_gpr_idx_off
	v_fmac_f32_e32 v49, v58, v53
	s_set_gpr_idx_on s17, gpr_idx(SRC0)
	v_mov_b32_e32 v58, v14
	s_set_gpr_idx_off
	ds_read2_b32 v[52:53], v48 offset0:6 offset1:7
	s_waitcnt lgkmcnt(2)
	v_fmac_f32_e32 v49, v59, v54
	s_set_gpr_idx_on s2, gpr_idx(SRC0)
	v_mov_b32_e32 v54, v14
	s_set_gpr_idx_off
	v_fmac_f32_e32 v49, v60, v55
	s_add_u32 s2, s2, 8
	s_waitcnt lgkmcnt(1)
	v_fmac_f32_e32 v49, v61, v56
	v_add_u32_e32 v48, s2, v50
	v_fmac_f32_e32 v49, v51, v57
	s_addc_u32 s3, s3, 0
	s_add_i32 s10, s10, 32
	s_add_i32 s11, s2, -7
	v_cmp_eq_u32_e32 vcc, 8, v48
	s_waitcnt lgkmcnt(0)
	v_fmac_f32_e32 v49, v58, v52
	v_mov_b32_e32 v48, s11
	s_or_b64 s[8:9], vcc, s[8:9]
	v_fmac_f32_e32 v49, v54, v53
	s_andn2_b64 exec, exec, s[8:9]
	s_cbranch_execnz .LBB10_137
; %bb.138:
	s_or_b64 exec, exec, s[8:9]
.LBB10_139:
	s_or_b64 exec, exec, s[0:1]
	v_and_b32_e32 v50, 7, v13
	v_cmp_ne_u32_e32 vcc, 0, v50
	s_and_saveexec_b64 s[2:3], vcc
	s_cbranch_execz .LBB10_143
; %bb.140:
	v_lshl_add_u32 v51, v48, 2, 48
	v_mov_b32_e32 v13, 0
	s_mov_b64 s[8:9], 0
.LBB10_141:                             ; =>This Inner Loop Header: Depth=1
	v_cmp_eq_u32_e32 vcc, 1, v48
	v_cndmask_b32_e32 v52, v14, v15, vcc
	v_add_u32_e32 v50, -1, v50
	v_cmp_eq_u32_e32 vcc, 2, v48
	v_cndmask_b32_e32 v52, v52, v16, vcc
	v_cmp_eq_u32_e32 vcc, 0, v50
	v_cmp_eq_u32_e64 s[0:1], 3, v48
	v_cndmask_b32_e64 v52, v52, v17, s[0:1]
	s_or_b64 s[8:9], vcc, s[8:9]
	v_cmp_eq_u32_e32 vcc, 4, v48
	v_cndmask_b32_e32 v52, v52, v18, vcc
	v_cmp_eq_u32_e32 vcc, 5, v48
	v_cndmask_b32_e32 v52, v52, v19, vcc
	v_cmp_eq_u32_e32 vcc, 6, v48
	ds_read_b32 v53, v51
	v_cndmask_b32_e32 v52, v52, v20, vcc
	v_cmp_eq_u32_e32 vcc, 7, v48
	v_cndmask_b32_e32 v52, v52, v21, vcc
	v_cmp_eq_u32_e32 vcc, 8, v48
	;; [unrolled: 2-line block ×4, first 2 shown]
	v_add_co_u32_e64 v48, s[0:1], 1, v48
	v_cndmask_b32_e32 v52, v52, v24, vcc
	v_add_u32_e32 v51, 4, v51
	v_addc_co_u32_e64 v13, s[0:1], 0, v13, s[0:1]
	s_waitcnt lgkmcnt(0)
	v_fmac_f32_e32 v49, v52, v53
	s_andn2_b64 exec, exec, s[8:9]
	s_cbranch_execnz .LBB10_141
; %bb.142:
	s_or_b64 exec, exec, s[8:9]
.LBB10_143:
	s_or_b64 exec, exec, s[2:3]
.LBB10_144:
	s_or_b64 exec, exec, s[6:7]
	v_mov_b32_e32 v13, 0
	ds_read_b32 v13, v13
	s_waitcnt lgkmcnt(0)
	v_mul_f32_e32 v14, v49, v13
.LBB10_145:
	s_or_b64 exec, exec, s[4:5]
	s_branch .LBB10_251
.LBB10_146:
	v_cmp_eq_u32_e64 s[0:1], 0, v0
	s_waitcnt vmcnt(10)
	ds_write_b32 v25, v3
	s_waitcnt lgkmcnt(0)
	; wave barrier
	s_waitcnt lgkmcnt(0)
	s_and_saveexec_b64 s[2:3], s[0:1]
	s_cbranch_execz .LBB10_152
; %bb.147:
	s_and_b64 vcc, exec, s[22:23]
	s_cbranch_vccz .LBB10_149
; %bb.148:
	v_cmp_eq_u32_e32 vcc, 1, v0
	s_waitcnt vmcnt(1)
	v_cndmask_b32_e32 v3, v2, v3, vcc
	v_cmp_eq_u32_e32 vcc, 2, v0
	v_cndmask_b32_e32 v3, v3, v4, vcc
	v_cmp_eq_u32_e32 vcc, 3, v0
	;; [unrolled: 2-line block ×6, first 2 shown]
	ds_read_b32 v13, v25
	v_cndmask_b32_e32 v3, v3, v9, vcc
	v_cmp_eq_u32_e32 vcc, 8, v0
	v_cndmask_b32_e32 v3, v3, v10, vcc
	v_cmp_eq_u32_e32 vcc, 9, v0
	;; [unrolled: 2-line block ×3, first 2 shown]
	s_waitcnt vmcnt(0)
	v_cndmask_b32_e32 v3, v3, v12, vcc
	s_waitcnt lgkmcnt(0)
	v_mul_f32_e32 v3, v3, v13
	s_cbranch_execz .LBB10_150
	s_branch .LBB10_151
.LBB10_149:
                                        ; implicit-def: $vgpr3
.LBB10_150:
	ds_read_b32 v3, v25
.LBB10_151:
	v_mov_b32_e32 v13, 0
	ds_read_b32 v13, v13 offset:4
	s_waitcnt lgkmcnt(0)
	v_mul_f32_e32 v3, v3, v13
.LBB10_152:
	s_or_b64 exec, exec, s[2:3]
	v_cndmask_b32_e64 v14, 0, 1, s[22:23]
	v_add_u32_e32 v13, 1, v0
	v_cmp_gt_u32_e32 vcc, 2, v0
	v_cmp_ne_u32_e64 s[2:3], 1, v14
	s_waitcnt vmcnt(9)
	ds_write_b32 v25, v4
	s_waitcnt lgkmcnt(0)
	; wave barrier
	s_waitcnt lgkmcnt(0)
	s_and_saveexec_b64 s[4:5], vcc
	s_cbranch_execz .LBB10_160
; %bb.153:
	s_and_b64 vcc, exec, s[2:3]
	s_cbranch_vccnz .LBB10_155
; %bb.154:
	v_cmp_eq_u32_e32 vcc, 1, v0
	s_waitcnt vmcnt(1)
	v_cndmask_b32_e32 v14, v2, v3, vcc
	v_cmp_eq_u32_e32 vcc, 2, v0
	v_cndmask_b32_e32 v14, v14, v4, vcc
	v_cmp_eq_u32_e32 vcc, 3, v0
	;; [unrolled: 2-line block ×6, first 2 shown]
	ds_read_b32 v15, v25
	v_cndmask_b32_e32 v14, v14, v9, vcc
	v_cmp_eq_u32_e32 vcc, 8, v0
	v_cndmask_b32_e32 v14, v14, v10, vcc
	v_cmp_eq_u32_e32 vcc, 9, v0
	;; [unrolled: 2-line block ×3, first 2 shown]
	s_waitcnt vmcnt(0)
	v_cndmask_b32_e32 v14, v14, v12, vcc
	s_waitcnt lgkmcnt(0)
	v_mul_f32_e32 v14, v14, v15
	s_cbranch_execz .LBB10_156
	s_branch .LBB10_157
.LBB10_155:
                                        ; implicit-def: $vgpr14
.LBB10_156:
	ds_read_b32 v14, v25
.LBB10_157:
	s_and_saveexec_b64 s[6:7], s[0:1]
	s_cbranch_execz .LBB10_159
; %bb.158:
	v_cmp_eq_u32_e32 vcc, 1, v13
	s_waitcnt vmcnt(1)
	v_cndmask_b32_e32 v15, v2, v3, vcc
	v_cmp_eq_u32_e32 vcc, 2, v13
	v_cndmask_b32_e32 v4, v15, v4, vcc
	v_cmp_eq_u32_e32 vcc, 3, v13
	;; [unrolled: 2-line block ×6, first 2 shown]
	ds_read_b32 v15, v25 offset:4
	v_cndmask_b32_e32 v4, v4, v9, vcc
	v_cmp_eq_u32_e32 vcc, 8, v13
	v_cndmask_b32_e32 v4, v4, v10, vcc
	v_cmp_eq_u32_e32 vcc, 9, v13
	;; [unrolled: 2-line block ×3, first 2 shown]
	s_waitcnt vmcnt(0)
	v_cndmask_b32_e32 v4, v4, v12, vcc
	s_waitcnt lgkmcnt(0)
	v_fmac_f32_e32 v14, v4, v15
.LBB10_159:
	s_or_b64 exec, exec, s[6:7]
	v_mov_b32_e32 v4, 0
	ds_read_b32 v4, v4 offset:8
	s_waitcnt lgkmcnt(0)
	v_mul_f32_e32 v4, v14, v4
.LBB10_160:
	s_or_b64 exec, exec, s[4:5]
	v_cmp_gt_u32_e64 s[4:5], 3, v0
	s_waitcnt vmcnt(8)
	ds_write_b32 v25, v5
	s_waitcnt lgkmcnt(0)
	; wave barrier
	s_waitcnt lgkmcnt(0)
	s_and_saveexec_b64 s[6:7], s[4:5]
	s_cbranch_execz .LBB10_168
; %bb.161:
	s_and_b64 vcc, exec, s[2:3]
	s_cbranch_vccnz .LBB10_163
; %bb.162:
	v_cmp_eq_u32_e32 vcc, 1, v0
	s_waitcnt vmcnt(1)
	v_cndmask_b32_e32 v14, v2, v3, vcc
	v_cmp_eq_u32_e32 vcc, 2, v0
	v_cndmask_b32_e32 v14, v14, v4, vcc
	v_cmp_eq_u32_e32 vcc, 3, v0
	;; [unrolled: 2-line block ×6, first 2 shown]
	ds_read_b32 v15, v25
	v_cndmask_b32_e32 v14, v14, v9, vcc
	v_cmp_eq_u32_e32 vcc, 8, v0
	v_cndmask_b32_e32 v14, v14, v10, vcc
	v_cmp_eq_u32_e32 vcc, 9, v0
	;; [unrolled: 2-line block ×3, first 2 shown]
	s_waitcnt vmcnt(0)
	v_cndmask_b32_e32 v14, v14, v12, vcc
	s_waitcnt lgkmcnt(0)
	v_mul_f32_e32 v14, v14, v15
	s_cbranch_execz .LBB10_164
	s_branch .LBB10_165
.LBB10_163:
                                        ; implicit-def: $vgpr14
.LBB10_164:
	ds_read_b32 v14, v25
.LBB10_165:
	v_cmp_ne_u32_e32 vcc, 2, v0
	s_and_saveexec_b64 s[8:9], vcc
	s_cbranch_execz .LBB10_167
; %bb.166:
	v_cmp_eq_u32_e32 vcc, 1, v13
	s_waitcnt vmcnt(1)
	v_cndmask_b32_e32 v15, v2, v3, vcc
	v_cmp_eq_u32_e32 vcc, 2, v13
	v_cndmask_b32_e32 v15, v15, v4, vcc
	v_cmp_eq_u32_e32 vcc, 3, v13
	;; [unrolled: 2-line block ×6, first 2 shown]
	v_mov_b32_e32 v15, 0
	v_cndmask_b32_e32 v5, v5, v9, vcc
	v_cmp_eq_u32_e32 vcc, 8, v13
	ds_read_b32 v16, v25 offset:4
	ds_read_b32 v15, v15 offset:56
	v_cndmask_b32_e32 v5, v5, v10, vcc
	v_cmp_eq_u32_e32 vcc, 9, v13
	v_cndmask_b32_e32 v5, v5, v11, vcc
	v_cmp_eq_u32_e32 vcc, 10, v13
	s_waitcnt vmcnt(0)
	v_cndmask_b32_e32 v5, v5, v12, vcc
	s_waitcnt lgkmcnt(1)
	v_fmac_f32_e32 v14, v5, v16
	s_waitcnt lgkmcnt(0)
	v_fma_f32 v5, v4, v15, v14
	v_cndmask_b32_e64 v14, v14, v5, s[0:1]
.LBB10_167:
	s_or_b64 exec, exec, s[8:9]
	v_mov_b32_e32 v5, 0
	ds_read_b32 v5, v5 offset:12
	s_waitcnt lgkmcnt(0)
	v_mul_f32_e32 v5, v14, v5
.LBB10_168:
	s_or_b64 exec, exec, s[6:7]
	v_cmp_gt_u32_e32 vcc, 4, v0
	s_waitcnt vmcnt(7)
	ds_write_b32 v25, v6
	s_waitcnt lgkmcnt(0)
	; wave barrier
	s_waitcnt lgkmcnt(0)
	s_and_saveexec_b64 s[8:9], vcc
	s_cbranch_execz .LBB10_178
; %bb.169:
	s_and_b64 vcc, exec, s[2:3]
	s_cbranch_vccnz .LBB10_171
; %bb.170:
	v_cmp_eq_u32_e32 vcc, 1, v0
	s_waitcnt vmcnt(1)
	v_cndmask_b32_e32 v14, v2, v3, vcc
	v_cmp_eq_u32_e32 vcc, 2, v0
	v_cndmask_b32_e32 v14, v14, v4, vcc
	v_cmp_eq_u32_e32 vcc, 3, v0
	;; [unrolled: 2-line block ×6, first 2 shown]
	ds_read_b32 v15, v25
	v_cndmask_b32_e32 v14, v14, v9, vcc
	v_cmp_eq_u32_e32 vcc, 8, v0
	v_cndmask_b32_e32 v14, v14, v10, vcc
	v_cmp_eq_u32_e32 vcc, 9, v0
	;; [unrolled: 2-line block ×3, first 2 shown]
	s_waitcnt vmcnt(0)
	v_cndmask_b32_e32 v14, v14, v12, vcc
	s_waitcnt lgkmcnt(0)
	v_mul_f32_e32 v16, v14, v15
	s_cbranch_execz .LBB10_172
	s_branch .LBB10_173
.LBB10_171:
                                        ; implicit-def: $vgpr16
.LBB10_172:
	ds_read_b32 v16, v25
.LBB10_173:
	v_cmp_ne_u32_e32 vcc, 3, v0
	s_and_saveexec_b64 s[10:11], vcc
	s_cbranch_execz .LBB10_177
; %bb.174:
	v_lshl_add_u32 v17, v0, 2, 52
	s_mov_b64 s[12:13], 0
	v_pk_mov_b32 v[14:15], v[0:1], v[0:1] op_sel:[0,1]
.LBB10_175:                             ; =>This Inner Loop Header: Depth=1
	v_add_co_u32_e32 v14, vcc, 1, v14
	v_addc_co_u32_e32 v15, vcc, 0, v15, vcc
	v_cmp_eq_u32_e32 vcc, 1, v14
	s_waitcnt vmcnt(1)
	v_cndmask_b32_e32 v19, v2, v3, vcc
	v_cmp_lt_u32_e32 vcc, 2, v14
	v_cmp_eq_u32_e64 s[6:7], 2, v14
	v_cndmask_b32_e64 v19, v19, v4, s[6:7]
	s_or_b64 s[12:13], vcc, s[12:13]
	v_cmp_eq_u32_e32 vcc, 3, v14
	v_cndmask_b32_e32 v19, v19, v5, vcc
	v_cmp_eq_u32_e32 vcc, 4, v14
	v_cndmask_b32_e32 v19, v19, v6, vcc
	;; [unrolled: 2-line block ×3, first 2 shown]
	v_cmp_eq_u32_e32 vcc, 6, v14
	ds_read_b32 v18, v17
	v_cndmask_b32_e32 v19, v19, v8, vcc
	v_cmp_eq_u32_e32 vcc, 7, v14
	v_cndmask_b32_e32 v19, v19, v9, vcc
	v_cmp_eq_u32_e32 vcc, 8, v14
	;; [unrolled: 2-line block ×4, first 2 shown]
	s_waitcnt vmcnt(0)
	v_cndmask_b32_e32 v19, v19, v12, vcc
	v_add_u32_e32 v17, 4, v17
	s_waitcnt lgkmcnt(0)
	v_fmac_f32_e32 v16, v19, v18
	s_andn2_b64 exec, exec, s[12:13]
	s_cbranch_execnz .LBB10_175
; %bb.176:
	s_or_b64 exec, exec, s[12:13]
.LBB10_177:
	s_or_b64 exec, exec, s[10:11]
	v_mov_b32_e32 v6, 0
	ds_read_b32 v6, v6 offset:16
	s_waitcnt lgkmcnt(0)
	v_mul_f32_e32 v6, v16, v6
.LBB10_178:
	s_or_b64 exec, exec, s[8:9]
	v_cmp_gt_u32_e64 s[6:7], 5, v0
	s_waitcnt vmcnt(6)
	ds_write_b32 v25, v7
	s_waitcnt lgkmcnt(0)
	; wave barrier
	s_waitcnt lgkmcnt(0)
	s_and_saveexec_b64 s[10:11], s[6:7]
	s_cbranch_execz .LBB10_188
; %bb.179:
	s_and_b64 vcc, exec, s[2:3]
	s_cbranch_vccnz .LBB10_181
; %bb.180:
	v_cmp_eq_u32_e32 vcc, 1, v0
	s_waitcnt vmcnt(1)
	v_cndmask_b32_e32 v14, v2, v3, vcc
	v_cmp_eq_u32_e32 vcc, 2, v0
	v_cndmask_b32_e32 v14, v14, v4, vcc
	v_cmp_eq_u32_e32 vcc, 3, v0
	;; [unrolled: 2-line block ×6, first 2 shown]
	ds_read_b32 v15, v25
	v_cndmask_b32_e32 v14, v14, v9, vcc
	v_cmp_eq_u32_e32 vcc, 8, v0
	v_cndmask_b32_e32 v14, v14, v10, vcc
	v_cmp_eq_u32_e32 vcc, 9, v0
	;; [unrolled: 2-line block ×3, first 2 shown]
	s_waitcnt vmcnt(0)
	v_cndmask_b32_e32 v14, v14, v12, vcc
	s_waitcnt lgkmcnt(0)
	v_mul_f32_e32 v16, v14, v15
	s_cbranch_execz .LBB10_182
	s_branch .LBB10_183
.LBB10_181:
                                        ; implicit-def: $vgpr16
.LBB10_182:
	ds_read_b32 v16, v25
.LBB10_183:
	v_cmp_ne_u32_e32 vcc, 4, v0
	s_and_saveexec_b64 s[12:13], vcc
	s_cbranch_execz .LBB10_187
; %bb.184:
	v_lshl_add_u32 v17, v0, 2, 52
	s_mov_b64 s[14:15], 0
	v_pk_mov_b32 v[14:15], v[0:1], v[0:1] op_sel:[0,1]
.LBB10_185:                             ; =>This Inner Loop Header: Depth=1
	v_add_co_u32_e32 v14, vcc, 1, v14
	v_addc_co_u32_e32 v15, vcc, 0, v15, vcc
	v_cmp_eq_u32_e32 vcc, 1, v14
	s_waitcnt vmcnt(1)
	v_cndmask_b32_e32 v19, v2, v3, vcc
	v_cmp_lt_u32_e32 vcc, 3, v14
	v_cmp_eq_u32_e64 s[8:9], 2, v14
	v_cndmask_b32_e64 v19, v19, v4, s[8:9]
	s_or_b64 s[14:15], vcc, s[14:15]
	v_cmp_eq_u32_e32 vcc, 3, v14
	v_cndmask_b32_e32 v19, v19, v5, vcc
	v_cmp_eq_u32_e32 vcc, 4, v14
	v_cndmask_b32_e32 v19, v19, v6, vcc
	;; [unrolled: 2-line block ×3, first 2 shown]
	v_cmp_eq_u32_e32 vcc, 6, v14
	ds_read_b32 v18, v17
	v_cndmask_b32_e32 v19, v19, v8, vcc
	v_cmp_eq_u32_e32 vcc, 7, v14
	v_cndmask_b32_e32 v19, v19, v9, vcc
	v_cmp_eq_u32_e32 vcc, 8, v14
	;; [unrolled: 2-line block ×4, first 2 shown]
	s_waitcnt vmcnt(0)
	v_cndmask_b32_e32 v19, v19, v12, vcc
	v_add_u32_e32 v17, 4, v17
	s_waitcnt lgkmcnt(0)
	v_fmac_f32_e32 v16, v19, v18
	s_andn2_b64 exec, exec, s[14:15]
	s_cbranch_execnz .LBB10_185
; %bb.186:
	s_or_b64 exec, exec, s[14:15]
.LBB10_187:
	s_or_b64 exec, exec, s[12:13]
	v_mov_b32_e32 v7, 0
	ds_read_b32 v7, v7 offset:20
	s_waitcnt lgkmcnt(0)
	v_mul_f32_e32 v7, v16, v7
.LBB10_188:
	s_or_b64 exec, exec, s[10:11]
	v_cmp_gt_u32_e32 vcc, 6, v0
	s_waitcnt vmcnt(5)
	ds_write_b32 v25, v8
	s_waitcnt lgkmcnt(0)
	; wave barrier
	s_waitcnt lgkmcnt(0)
	s_and_saveexec_b64 s[10:11], vcc
	s_cbranch_execz .LBB10_198
; %bb.189:
	s_and_b64 vcc, exec, s[2:3]
	s_cbranch_vccnz .LBB10_191
; %bb.190:
	v_cmp_eq_u32_e32 vcc, 1, v0
	s_waitcnt vmcnt(1)
	v_cndmask_b32_e32 v14, v2, v3, vcc
	v_cmp_eq_u32_e32 vcc, 2, v0
	v_cndmask_b32_e32 v14, v14, v4, vcc
	v_cmp_eq_u32_e32 vcc, 3, v0
	v_cndmask_b32_e32 v14, v14, v5, vcc
	v_cmp_eq_u32_e32 vcc, 4, v0
	v_cndmask_b32_e32 v14, v14, v6, vcc
	v_cmp_eq_u32_e32 vcc, 5, v0
	v_cndmask_b32_e32 v14, v14, v7, vcc
	v_cmp_eq_u32_e32 vcc, 6, v0
	v_cndmask_b32_e32 v14, v14, v8, vcc
	v_cmp_eq_u32_e32 vcc, 7, v0
	ds_read_b32 v15, v25
	v_cndmask_b32_e32 v14, v14, v9, vcc
	v_cmp_eq_u32_e32 vcc, 8, v0
	v_cndmask_b32_e32 v14, v14, v10, vcc
	v_cmp_eq_u32_e32 vcc, 9, v0
	;; [unrolled: 2-line block ×3, first 2 shown]
	s_waitcnt vmcnt(0)
	v_cndmask_b32_e32 v14, v14, v12, vcc
	s_waitcnt lgkmcnt(0)
	v_mul_f32_e32 v16, v14, v15
	s_cbranch_execz .LBB10_192
	s_branch .LBB10_193
.LBB10_191:
                                        ; implicit-def: $vgpr16
.LBB10_192:
	ds_read_b32 v16, v25
.LBB10_193:
	v_cmp_ne_u32_e32 vcc, 5, v0
	s_and_saveexec_b64 s[12:13], vcc
	s_cbranch_execz .LBB10_197
; %bb.194:
	v_lshl_add_u32 v17, v0, 2, 52
	s_mov_b64 s[14:15], 0
	v_pk_mov_b32 v[14:15], v[0:1], v[0:1] op_sel:[0,1]
.LBB10_195:                             ; =>This Inner Loop Header: Depth=1
	v_add_co_u32_e32 v14, vcc, 1, v14
	v_addc_co_u32_e32 v15, vcc, 0, v15, vcc
	v_cmp_eq_u32_e32 vcc, 1, v14
	s_waitcnt vmcnt(1)
	v_cndmask_b32_e32 v19, v2, v3, vcc
	v_cmp_lt_u32_e32 vcc, 4, v14
	v_cmp_eq_u32_e64 s[8:9], 2, v14
	v_cndmask_b32_e64 v19, v19, v4, s[8:9]
	s_or_b64 s[14:15], vcc, s[14:15]
	v_cmp_eq_u32_e32 vcc, 3, v14
	v_cndmask_b32_e32 v19, v19, v5, vcc
	v_cmp_eq_u32_e32 vcc, 4, v14
	v_cndmask_b32_e32 v19, v19, v6, vcc
	;; [unrolled: 2-line block ×3, first 2 shown]
	v_cmp_eq_u32_e32 vcc, 6, v14
	ds_read_b32 v18, v17
	v_cndmask_b32_e32 v19, v19, v8, vcc
	v_cmp_eq_u32_e32 vcc, 7, v14
	v_cndmask_b32_e32 v19, v19, v9, vcc
	v_cmp_eq_u32_e32 vcc, 8, v14
	;; [unrolled: 2-line block ×4, first 2 shown]
	s_waitcnt vmcnt(0)
	v_cndmask_b32_e32 v19, v19, v12, vcc
	v_add_u32_e32 v17, 4, v17
	s_waitcnt lgkmcnt(0)
	v_fmac_f32_e32 v16, v19, v18
	s_andn2_b64 exec, exec, s[14:15]
	s_cbranch_execnz .LBB10_195
; %bb.196:
	s_or_b64 exec, exec, s[14:15]
.LBB10_197:
	s_or_b64 exec, exec, s[12:13]
	v_mov_b32_e32 v8, 0
	ds_read_b32 v8, v8 offset:24
	s_waitcnt lgkmcnt(0)
	v_mul_f32_e32 v8, v16, v8
.LBB10_198:
	s_or_b64 exec, exec, s[10:11]
	v_cmp_gt_u32_e64 s[10:11], 7, v0
	s_waitcnt vmcnt(4)
	ds_write_b32 v25, v9
	s_waitcnt lgkmcnt(0)
	; wave barrier
	s_waitcnt lgkmcnt(0)
	s_and_saveexec_b64 s[12:13], s[10:11]
	s_cbranch_execz .LBB10_208
; %bb.199:
	s_and_b64 vcc, exec, s[2:3]
	s_cbranch_vccnz .LBB10_201
; %bb.200:
	v_cmp_eq_u32_e32 vcc, 1, v0
	s_waitcnt vmcnt(1)
	v_cndmask_b32_e32 v14, v2, v3, vcc
	v_cmp_eq_u32_e32 vcc, 2, v0
	v_cndmask_b32_e32 v14, v14, v4, vcc
	v_cmp_eq_u32_e32 vcc, 3, v0
	;; [unrolled: 2-line block ×6, first 2 shown]
	ds_read_b32 v15, v25
	v_cndmask_b32_e32 v14, v14, v9, vcc
	v_cmp_eq_u32_e32 vcc, 8, v0
	v_cndmask_b32_e32 v14, v14, v10, vcc
	v_cmp_eq_u32_e32 vcc, 9, v0
	;; [unrolled: 2-line block ×3, first 2 shown]
	s_waitcnt vmcnt(0)
	v_cndmask_b32_e32 v14, v14, v12, vcc
	s_waitcnt lgkmcnt(0)
	v_mul_f32_e32 v16, v14, v15
	s_cbranch_execz .LBB10_202
	s_branch .LBB10_203
.LBB10_201:
                                        ; implicit-def: $vgpr16
.LBB10_202:
	ds_read_b32 v16, v25
.LBB10_203:
	v_cmp_ne_u32_e32 vcc, 6, v0
	s_and_saveexec_b64 s[14:15], vcc
	s_cbranch_execz .LBB10_207
; %bb.204:
	v_lshl_add_u32 v17, v0, 2, 52
	s_mov_b64 s[16:17], 0
	v_pk_mov_b32 v[14:15], v[0:1], v[0:1] op_sel:[0,1]
.LBB10_205:                             ; =>This Inner Loop Header: Depth=1
	v_add_co_u32_e32 v14, vcc, 1, v14
	v_addc_co_u32_e32 v15, vcc, 0, v15, vcc
	v_cmp_eq_u32_e32 vcc, 1, v14
	s_waitcnt vmcnt(1)
	v_cndmask_b32_e32 v19, v2, v3, vcc
	v_cmp_lt_u32_e32 vcc, 5, v14
	v_cmp_eq_u32_e64 s[8:9], 2, v14
	v_cndmask_b32_e64 v19, v19, v4, s[8:9]
	s_or_b64 s[16:17], vcc, s[16:17]
	v_cmp_eq_u32_e32 vcc, 3, v14
	v_cndmask_b32_e32 v19, v19, v5, vcc
	v_cmp_eq_u32_e32 vcc, 4, v14
	v_cndmask_b32_e32 v19, v19, v6, vcc
	v_cmp_eq_u32_e32 vcc, 5, v14
	v_cndmask_b32_e32 v19, v19, v7, vcc
	v_cmp_eq_u32_e32 vcc, 6, v14
	ds_read_b32 v18, v17
	v_cndmask_b32_e32 v19, v19, v8, vcc
	v_cmp_eq_u32_e32 vcc, 7, v14
	v_cndmask_b32_e32 v19, v19, v9, vcc
	v_cmp_eq_u32_e32 vcc, 8, v14
	;; [unrolled: 2-line block ×4, first 2 shown]
	s_waitcnt vmcnt(0)
	v_cndmask_b32_e32 v19, v19, v12, vcc
	v_add_u32_e32 v17, 4, v17
	s_waitcnt lgkmcnt(0)
	v_fmac_f32_e32 v16, v19, v18
	s_andn2_b64 exec, exec, s[16:17]
	s_cbranch_execnz .LBB10_205
; %bb.206:
	s_or_b64 exec, exec, s[16:17]
.LBB10_207:
	s_or_b64 exec, exec, s[14:15]
	v_mov_b32_e32 v9, 0
	ds_read_b32 v9, v9 offset:28
	s_waitcnt lgkmcnt(0)
	v_mul_f32_e32 v9, v16, v9
.LBB10_208:
	s_or_b64 exec, exec, s[12:13]
	v_cmp_gt_u32_e32 vcc, 8, v0
	s_waitcnt vmcnt(3)
	ds_write_b32 v25, v10
	s_waitcnt lgkmcnt(0)
	; wave barrier
	s_waitcnt lgkmcnt(0)
	s_and_saveexec_b64 s[12:13], vcc
	s_cbranch_execz .LBB10_218
; %bb.209:
	s_and_b64 vcc, exec, s[2:3]
	s_cbranch_vccnz .LBB10_211
; %bb.210:
	v_cmp_eq_u32_e32 vcc, 1, v0
	s_waitcnt vmcnt(1)
	v_cndmask_b32_e32 v14, v2, v3, vcc
	v_cmp_eq_u32_e32 vcc, 2, v0
	v_cndmask_b32_e32 v14, v14, v4, vcc
	v_cmp_eq_u32_e32 vcc, 3, v0
	;; [unrolled: 2-line block ×6, first 2 shown]
	ds_read_b32 v15, v25
	v_cndmask_b32_e32 v14, v14, v9, vcc
	v_cmp_eq_u32_e32 vcc, 8, v0
	v_cndmask_b32_e32 v14, v14, v10, vcc
	v_cmp_eq_u32_e32 vcc, 9, v0
	;; [unrolled: 2-line block ×3, first 2 shown]
	s_waitcnt vmcnt(0)
	v_cndmask_b32_e32 v14, v14, v12, vcc
	s_waitcnt lgkmcnt(0)
	v_mul_f32_e32 v16, v14, v15
	s_cbranch_execz .LBB10_212
	s_branch .LBB10_213
.LBB10_211:
                                        ; implicit-def: $vgpr16
.LBB10_212:
	ds_read_b32 v16, v25
.LBB10_213:
	v_cmp_ne_u32_e32 vcc, 7, v0
	s_and_saveexec_b64 s[14:15], vcc
	s_cbranch_execz .LBB10_217
; %bb.214:
	v_lshl_add_u32 v17, v0, 2, 52
	s_mov_b64 s[16:17], 0
	v_pk_mov_b32 v[14:15], v[0:1], v[0:1] op_sel:[0,1]
.LBB10_215:                             ; =>This Inner Loop Header: Depth=1
	v_add_co_u32_e32 v14, vcc, 1, v14
	v_addc_co_u32_e32 v15, vcc, 0, v15, vcc
	v_cmp_eq_u32_e32 vcc, 1, v14
	s_waitcnt vmcnt(1)
	v_cndmask_b32_e32 v19, v2, v3, vcc
	v_cmp_lt_u32_e32 vcc, 6, v14
	v_cmp_eq_u32_e64 s[8:9], 2, v14
	v_cndmask_b32_e64 v19, v19, v4, s[8:9]
	s_or_b64 s[16:17], vcc, s[16:17]
	v_cmp_eq_u32_e32 vcc, 3, v14
	v_cndmask_b32_e32 v19, v19, v5, vcc
	v_cmp_eq_u32_e32 vcc, 4, v14
	v_cndmask_b32_e32 v19, v19, v6, vcc
	;; [unrolled: 2-line block ×3, first 2 shown]
	v_cmp_eq_u32_e32 vcc, 6, v14
	ds_read_b32 v18, v17
	v_cndmask_b32_e32 v19, v19, v8, vcc
	v_cmp_eq_u32_e32 vcc, 7, v14
	v_cndmask_b32_e32 v19, v19, v9, vcc
	v_cmp_eq_u32_e32 vcc, 8, v14
	;; [unrolled: 2-line block ×4, first 2 shown]
	s_waitcnt vmcnt(0)
	v_cndmask_b32_e32 v19, v19, v12, vcc
	v_add_u32_e32 v17, 4, v17
	s_waitcnt lgkmcnt(0)
	v_fmac_f32_e32 v16, v19, v18
	s_andn2_b64 exec, exec, s[16:17]
	s_cbranch_execnz .LBB10_215
; %bb.216:
	s_or_b64 exec, exec, s[16:17]
.LBB10_217:
	s_or_b64 exec, exec, s[14:15]
	v_mov_b32_e32 v10, 0
	ds_read_b32 v10, v10 offset:32
	s_waitcnt lgkmcnt(0)
	v_mul_f32_e32 v10, v16, v10
.LBB10_218:
	s_or_b64 exec, exec, s[12:13]
	v_cmp_gt_u32_e64 s[8:9], 9, v0
	s_waitcnt vmcnt(2)
	ds_write_b32 v25, v11
	s_waitcnt lgkmcnt(0)
	; wave barrier
	s_waitcnt lgkmcnt(0)
	s_and_saveexec_b64 s[12:13], s[8:9]
	s_cbranch_execz .LBB10_240
; %bb.219:
	s_and_b64 vcc, exec, s[2:3]
	s_cbranch_vccnz .LBB10_221
; %bb.220:
	v_cmp_eq_u32_e32 vcc, 1, v0
	s_waitcnt vmcnt(1)
	v_cndmask_b32_e32 v14, v2, v3, vcc
	v_cmp_eq_u32_e32 vcc, 2, v0
	v_cndmask_b32_e32 v14, v14, v4, vcc
	v_cmp_eq_u32_e32 vcc, 3, v0
	;; [unrolled: 2-line block ×6, first 2 shown]
	ds_read_b32 v15, v25
	v_cndmask_b32_e32 v14, v14, v9, vcc
	v_cmp_eq_u32_e32 vcc, 8, v0
	v_cndmask_b32_e32 v14, v14, v10, vcc
	v_cmp_eq_u32_e32 vcc, 9, v0
	;; [unrolled: 2-line block ×3, first 2 shown]
	s_waitcnt vmcnt(0)
	v_cndmask_b32_e32 v14, v14, v12, vcc
	s_waitcnt lgkmcnt(0)
	v_mul_f32_e32 v14, v14, v15
	s_cbranch_execz .LBB10_222
	s_branch .LBB10_223
.LBB10_221:
                                        ; implicit-def: $vgpr14
.LBB10_222:
	ds_read_b32 v14, v25
.LBB10_223:
	v_cmp_ne_u32_e32 vcc, 8, v0
	s_and_saveexec_b64 s[14:15], vcc
	s_cbranch_execz .LBB10_239
; %bb.224:
	v_cmp_eq_u32_e32 vcc, 1, v13
	s_waitcnt vmcnt(1)
	v_cndmask_b32_e32 v15, v2, v3, vcc
	v_cmp_eq_u32_e32 vcc, 2, v13
	v_cndmask_b32_e32 v15, v15, v4, vcc
	v_cmp_eq_u32_e32 vcc, 3, v13
	;; [unrolled: 2-line block ×6, first 2 shown]
	ds_read_b32 v16, v25 offset:4
	v_cndmask_b32_e32 v15, v15, v9, vcc
	v_cmp_eq_u32_e32 vcc, 8, v13
	v_cndmask_b32_e32 v15, v15, v10, vcc
	v_cmp_eq_u32_e32 vcc, 9, v13
	v_cndmask_b32_e32 v15, v15, v11, vcc
	v_cmp_eq_u32_e32 vcc, 10, v13
	s_waitcnt vmcnt(0)
	v_cndmask_b32_e32 v13, v15, v12, vcc
	s_waitcnt lgkmcnt(0)
	v_fmac_f32_e32 v14, v13, v16
	s_and_saveexec_b64 s[16:17], s[10:11]
	s_cbranch_execz .LBB10_238
; %bb.225:
	v_add_u32_e32 v13, 2, v0
	v_cmp_eq_u32_e32 vcc, 1, v13
	v_cndmask_b32_e32 v15, v2, v3, vcc
	v_cmp_eq_u32_e32 vcc, 2, v13
	v_cndmask_b32_e32 v15, v15, v4, vcc
	v_cmp_eq_u32_e32 vcc, 3, v13
	v_cndmask_b32_e32 v15, v15, v5, vcc
	v_cmp_eq_u32_e32 vcc, 4, v13
	v_cndmask_b32_e32 v15, v15, v6, vcc
	v_cmp_eq_u32_e32 vcc, 5, v13
	v_cndmask_b32_e32 v15, v15, v7, vcc
	v_cmp_eq_u32_e32 vcc, 6, v13
	v_cndmask_b32_e32 v15, v15, v8, vcc
	v_cmp_eq_u32_e32 vcc, 7, v13
	ds_read_b32 v16, v25 offset:8
	v_cndmask_b32_e32 v15, v15, v9, vcc
	v_cmp_eq_u32_e32 vcc, 8, v13
	v_cndmask_b32_e32 v15, v15, v10, vcc
	v_cmp_eq_u32_e32 vcc, 9, v13
	v_cndmask_b32_e32 v15, v15, v11, vcc
	v_cmp_eq_u32_e32 vcc, 10, v13
	v_cndmask_b32_e32 v13, v15, v12, vcc
	s_waitcnt lgkmcnt(0)
	v_fmac_f32_e32 v14, v13, v16
	v_cmp_ne_u32_e32 vcc, 6, v0
	s_and_saveexec_b64 s[10:11], vcc
	s_cbranch_execz .LBB10_237
; %bb.226:
	v_add_u32_e32 v13, 3, v0
	v_cmp_eq_u32_e32 vcc, 1, v13
	v_cndmask_b32_e32 v15, v2, v3, vcc
	v_cmp_eq_u32_e32 vcc, 2, v13
	v_cndmask_b32_e32 v15, v15, v4, vcc
	v_cmp_eq_u32_e32 vcc, 3, v13
	v_cndmask_b32_e32 v15, v15, v5, vcc
	v_cmp_eq_u32_e32 vcc, 4, v13
	v_cndmask_b32_e32 v15, v15, v6, vcc
	v_cmp_eq_u32_e32 vcc, 5, v13
	v_cndmask_b32_e32 v15, v15, v7, vcc
	v_cmp_eq_u32_e32 vcc, 6, v13
	v_cndmask_b32_e32 v15, v15, v8, vcc
	v_cmp_eq_u32_e32 vcc, 7, v13
	ds_read_b32 v16, v25 offset:12
	v_cndmask_b32_e32 v15, v15, v9, vcc
	v_cmp_eq_u32_e32 vcc, 8, v13
	v_cndmask_b32_e32 v15, v15, v10, vcc
	v_cmp_eq_u32_e32 vcc, 9, v13
	v_cndmask_b32_e32 v15, v15, v11, vcc
	v_cmp_eq_u32_e32 vcc, 10, v13
	v_cndmask_b32_e32 v13, v15, v12, vcc
	s_waitcnt lgkmcnt(0)
	v_fmac_f32_e32 v14, v13, v16
	s_and_saveexec_b64 s[18:19], s[6:7]
	s_cbranch_execz .LBB10_236
; %bb.227:
	v_add_u32_e32 v13, 4, v0
	v_cmp_eq_u32_e32 vcc, 1, v13
	v_cndmask_b32_e32 v15, v2, v3, vcc
	v_cmp_eq_u32_e32 vcc, 2, v13
	v_cndmask_b32_e32 v15, v15, v4, vcc
	v_cmp_eq_u32_e32 vcc, 3, v13
	v_cndmask_b32_e32 v15, v15, v5, vcc
	v_cmp_eq_u32_e32 vcc, 4, v13
	v_cndmask_b32_e32 v15, v15, v6, vcc
	v_cmp_eq_u32_e32 vcc, 5, v13
	v_cndmask_b32_e32 v15, v15, v7, vcc
	v_cmp_eq_u32_e32 vcc, 6, v13
	v_cndmask_b32_e32 v15, v15, v8, vcc
	v_cmp_eq_u32_e32 vcc, 7, v13
	ds_read_b32 v16, v25 offset:16
	v_cndmask_b32_e32 v15, v15, v9, vcc
	v_cmp_eq_u32_e32 vcc, 8, v13
	v_cndmask_b32_e32 v15, v15, v10, vcc
	v_cmp_eq_u32_e32 vcc, 9, v13
	v_cndmask_b32_e32 v15, v15, v11, vcc
	v_cmp_eq_u32_e32 vcc, 10, v13
	v_cndmask_b32_e32 v13, v15, v12, vcc
	s_waitcnt lgkmcnt(0)
	v_fmac_f32_e32 v14, v13, v16
	v_cmp_ne_u32_e32 vcc, 4, v0
	s_and_saveexec_b64 s[6:7], vcc
	s_cbranch_execz .LBB10_235
; %bb.228:
	v_add_u32_e32 v13, 5, v0
	v_cmp_eq_u32_e32 vcc, 1, v13
	v_cndmask_b32_e32 v15, v2, v3, vcc
	v_cmp_eq_u32_e32 vcc, 2, v13
	v_cndmask_b32_e32 v15, v15, v4, vcc
	v_cmp_eq_u32_e32 vcc, 3, v13
	v_cndmask_b32_e32 v15, v15, v5, vcc
	v_cmp_eq_u32_e32 vcc, 4, v13
	v_cndmask_b32_e32 v15, v15, v6, vcc
	v_cmp_eq_u32_e32 vcc, 5, v13
	v_cndmask_b32_e32 v15, v15, v7, vcc
	v_cmp_eq_u32_e32 vcc, 6, v13
	v_cndmask_b32_e32 v15, v15, v8, vcc
	v_cmp_eq_u32_e32 vcc, 7, v13
	ds_read_b32 v16, v25 offset:20
	v_cndmask_b32_e32 v15, v15, v9, vcc
	v_cmp_eq_u32_e32 vcc, 8, v13
	v_cndmask_b32_e32 v15, v15, v10, vcc
	v_cmp_eq_u32_e32 vcc, 9, v13
	v_cndmask_b32_e32 v15, v15, v11, vcc
	v_cmp_eq_u32_e32 vcc, 10, v13
	;; [unrolled: 55-line block ×3, first 2 shown]
	v_cndmask_b32_e32 v11, v11, v12, vcc
	s_waitcnt lgkmcnt(0)
	v_fmac_f32_e32 v14, v11, v16
	s_and_saveexec_b64 s[22:23], s[0:1]
	s_cbranch_execz .LBB10_232
; %bb.231:
	ds_read_b32 v11, v25 offset:32
	s_waitcnt lgkmcnt(0)
	v_fmac_f32_e32 v14, v10, v11
.LBB10_232:
	s_or_b64 exec, exec, s[22:23]
.LBB10_233:
	s_or_b64 exec, exec, s[4:5]
.LBB10_234:
	s_or_b64 exec, exec, s[20:21]
.LBB10_235:
	s_or_b64 exec, exec, s[6:7]
.LBB10_236:
	s_or_b64 exec, exec, s[18:19]
.LBB10_237:
	s_or_b64 exec, exec, s[10:11]
.LBB10_238:
	s_or_b64 exec, exec, s[16:17]
.LBB10_239:
	s_or_b64 exec, exec, s[14:15]
	v_mov_b32_e32 v11, 0
	ds_read_b32 v11, v11 offset:36
	s_waitcnt lgkmcnt(0)
	v_mul_f32_e32 v11, v14, v11
.LBB10_240:
	s_or_b64 exec, exec, s[12:13]
	v_cmp_ne_u32_e32 vcc, 10, v0
	s_waitcnt vmcnt(0)
	ds_write_b32 v25, v12
	s_waitcnt lgkmcnt(0)
	; wave barrier
	s_waitcnt lgkmcnt(0)
	s_and_saveexec_b64 s[4:5], vcc
	s_cbranch_execz .LBB10_250
; %bb.241:
	s_and_b64 vcc, exec, s[2:3]
	s_cbranch_vccnz .LBB10_243
; %bb.242:
	v_cmp_eq_u32_e32 vcc, 1, v0
	v_cndmask_b32_e32 v13, v2, v3, vcc
	v_cmp_eq_u32_e32 vcc, 2, v0
	v_cndmask_b32_e32 v13, v13, v4, vcc
	;; [unrolled: 2-line block ×6, first 2 shown]
	v_cmp_eq_u32_e32 vcc, 7, v0
	ds_read_b32 v14, v25
	v_cndmask_b32_e32 v13, v13, v9, vcc
	v_cmp_eq_u32_e32 vcc, 8, v0
	v_cndmask_b32_e32 v13, v13, v10, vcc
	v_cmp_eq_u32_e32 vcc, 9, v0
	;; [unrolled: 2-line block ×3, first 2 shown]
	v_cndmask_b32_e32 v13, v13, v12, vcc
	s_waitcnt lgkmcnt(0)
	v_mul_f32_e32 v13, v13, v14
	s_cbranch_execz .LBB10_244
	s_branch .LBB10_245
.LBB10_243:
                                        ; implicit-def: $vgpr13
.LBB10_244:
	ds_read_b32 v13, v25
.LBB10_245:
	s_and_saveexec_b64 s[2:3], s[8:9]
	s_cbranch_execz .LBB10_249
; %bb.246:
	v_lshl_add_u32 v14, v0, 2, 52
	s_mov_b64 s[6:7], 0
.LBB10_247:                             ; =>This Inner Loop Header: Depth=1
	v_add_co_u32_e32 v0, vcc, 1, v0
	v_addc_co_u32_e32 v1, vcc, 0, v1, vcc
	v_cmp_eq_u32_e32 vcc, 1, v0
	v_cndmask_b32_e32 v16, v2, v3, vcc
	v_cmp_lt_u32_e32 vcc, 8, v0
	v_cmp_eq_u32_e64 s[0:1], 2, v0
	v_cndmask_b32_e64 v16, v16, v4, s[0:1]
	s_or_b64 s[6:7], vcc, s[6:7]
	v_cmp_eq_u32_e32 vcc, 3, v0
	v_cndmask_b32_e32 v16, v16, v5, vcc
	v_cmp_eq_u32_e32 vcc, 4, v0
	v_cndmask_b32_e32 v16, v16, v6, vcc
	;; [unrolled: 2-line block ×3, first 2 shown]
	v_cmp_eq_u32_e32 vcc, 6, v0
	ds_read_b32 v15, v14
	v_cndmask_b32_e32 v16, v16, v8, vcc
	v_cmp_eq_u32_e32 vcc, 7, v0
	v_cndmask_b32_e32 v16, v16, v9, vcc
	v_cmp_eq_u32_e32 vcc, 8, v0
	;; [unrolled: 2-line block ×4, first 2 shown]
	v_cndmask_b32_e32 v16, v16, v12, vcc
	v_add_u32_e32 v14, 4, v14
	s_waitcnt lgkmcnt(0)
	v_fmac_f32_e32 v13, v16, v15
	s_andn2_b64 exec, exec, s[6:7]
	s_cbranch_execnz .LBB10_247
; %bb.248:
	s_or_b64 exec, exec, s[6:7]
.LBB10_249:
	s_or_b64 exec, exec, s[2:3]
	v_mov_b32_e32 v0, 0
	ds_read_b32 v0, v0 offset:40
	s_waitcnt lgkmcnt(0)
	v_mul_f32_e32 v12, v13, v0
.LBB10_250:
	s_or_b64 exec, exec, s[4:5]
	v_mov_b32_e32 v24, v12
	v_mov_b32_e32 v23, v11
	;; [unrolled: 1-line block ×11, first 2 shown]
.LBB10_251:
	global_store_dword v[26:27], v14, off
	global_store_dword v[28:29], v15, off
	;; [unrolled: 1-line block ×11, first 2 shown]
.LBB10_252:
	s_endpgm
	.section	.rodata,"a",@progbits
	.p2align	6, 0x0
	.amdhsa_kernel _ZN9rocsolver6v33100L18trti2_kernel_smallILi11EfPfEEv13rocblas_fill_17rocblas_diagonal_T1_iil
		.amdhsa_group_segment_fixed_size 92
		.amdhsa_private_segment_fixed_size 0
		.amdhsa_kernarg_size 32
		.amdhsa_user_sgpr_count 6
		.amdhsa_user_sgpr_private_segment_buffer 1
		.amdhsa_user_sgpr_dispatch_ptr 0
		.amdhsa_user_sgpr_queue_ptr 0
		.amdhsa_user_sgpr_kernarg_segment_ptr 1
		.amdhsa_user_sgpr_dispatch_id 0
		.amdhsa_user_sgpr_flat_scratch_init 0
		.amdhsa_user_sgpr_kernarg_preload_length 0
		.amdhsa_user_sgpr_kernarg_preload_offset 0
		.amdhsa_user_sgpr_private_segment_size 0
		.amdhsa_uses_dynamic_stack 0
		.amdhsa_system_sgpr_private_segment_wavefront_offset 0
		.amdhsa_system_sgpr_workgroup_id_x 1
		.amdhsa_system_sgpr_workgroup_id_y 0
		.amdhsa_system_sgpr_workgroup_id_z 0
		.amdhsa_system_sgpr_workgroup_info 0
		.amdhsa_system_vgpr_workitem_id 0
		.amdhsa_next_free_vgpr 64
		.amdhsa_next_free_sgpr 32
		.amdhsa_accum_offset 64
		.amdhsa_reserve_vcc 1
		.amdhsa_reserve_flat_scratch 0
		.amdhsa_float_round_mode_32 0
		.amdhsa_float_round_mode_16_64 0
		.amdhsa_float_denorm_mode_32 3
		.amdhsa_float_denorm_mode_16_64 3
		.amdhsa_dx10_clamp 1
		.amdhsa_ieee_mode 1
		.amdhsa_fp16_overflow 0
		.amdhsa_tg_split 0
		.amdhsa_exception_fp_ieee_invalid_op 0
		.amdhsa_exception_fp_denorm_src 0
		.amdhsa_exception_fp_ieee_div_zero 0
		.amdhsa_exception_fp_ieee_overflow 0
		.amdhsa_exception_fp_ieee_underflow 0
		.amdhsa_exception_fp_ieee_inexact 0
		.amdhsa_exception_int_div_zero 0
	.end_amdhsa_kernel
	.section	.text._ZN9rocsolver6v33100L18trti2_kernel_smallILi11EfPfEEv13rocblas_fill_17rocblas_diagonal_T1_iil,"axG",@progbits,_ZN9rocsolver6v33100L18trti2_kernel_smallILi11EfPfEEv13rocblas_fill_17rocblas_diagonal_T1_iil,comdat
.Lfunc_end10:
	.size	_ZN9rocsolver6v33100L18trti2_kernel_smallILi11EfPfEEv13rocblas_fill_17rocblas_diagonal_T1_iil, .Lfunc_end10-_ZN9rocsolver6v33100L18trti2_kernel_smallILi11EfPfEEv13rocblas_fill_17rocblas_diagonal_T1_iil
                                        ; -- End function
	.section	.AMDGPU.csdata,"",@progbits
; Kernel info:
; codeLenInByte = 10740
; NumSgprs: 36
; NumVgprs: 64
; NumAgprs: 0
; TotalNumVgprs: 64
; ScratchSize: 0
; MemoryBound: 0
; FloatMode: 240
; IeeeMode: 1
; LDSByteSize: 92 bytes/workgroup (compile time only)
; SGPRBlocks: 4
; VGPRBlocks: 7
; NumSGPRsForWavesPerEU: 36
; NumVGPRsForWavesPerEU: 64
; AccumOffset: 64
; Occupancy: 8
; WaveLimiterHint : 0
; COMPUTE_PGM_RSRC2:SCRATCH_EN: 0
; COMPUTE_PGM_RSRC2:USER_SGPR: 6
; COMPUTE_PGM_RSRC2:TRAP_HANDLER: 0
; COMPUTE_PGM_RSRC2:TGID_X_EN: 1
; COMPUTE_PGM_RSRC2:TGID_Y_EN: 0
; COMPUTE_PGM_RSRC2:TGID_Z_EN: 0
; COMPUTE_PGM_RSRC2:TIDIG_COMP_CNT: 0
; COMPUTE_PGM_RSRC3_GFX90A:ACCUM_OFFSET: 15
; COMPUTE_PGM_RSRC3_GFX90A:TG_SPLIT: 0
	.section	.text._ZN9rocsolver6v33100L18trti2_kernel_smallILi12EfPfEEv13rocblas_fill_17rocblas_diagonal_T1_iil,"axG",@progbits,_ZN9rocsolver6v33100L18trti2_kernel_smallILi12EfPfEEv13rocblas_fill_17rocblas_diagonal_T1_iil,comdat
	.globl	_ZN9rocsolver6v33100L18trti2_kernel_smallILi12EfPfEEv13rocblas_fill_17rocblas_diagonal_T1_iil ; -- Begin function _ZN9rocsolver6v33100L18trti2_kernel_smallILi12EfPfEEv13rocblas_fill_17rocblas_diagonal_T1_iil
	.p2align	8
	.type	_ZN9rocsolver6v33100L18trti2_kernel_smallILi12EfPfEEv13rocblas_fill_17rocblas_diagonal_T1_iil,@function
_ZN9rocsolver6v33100L18trti2_kernel_smallILi12EfPfEEv13rocblas_fill_17rocblas_diagonal_T1_iil: ; @_ZN9rocsolver6v33100L18trti2_kernel_smallILi12EfPfEEv13rocblas_fill_17rocblas_diagonal_T1_iil
; %bb.0:
	v_cmp_gt_u32_e32 vcc, 12, v0
	s_and_saveexec_b64 s[0:1], vcc
	s_cbranch_execz .LBB11_278
; %bb.1:
	s_load_dwordx8 s[24:31], s[4:5], 0x0
	s_ashr_i32 s2, s6, 31
	v_lshlrev_b32_e32 v14, 2, v0
	v_mov_b32_e32 v15, -1.0
	s_waitcnt lgkmcnt(0)
	s_mul_i32 s3, s6, s31
	s_mul_hi_u32 s4, s6, s30
	s_add_i32 s3, s4, s3
	s_mul_i32 s2, s2, s30
	s_add_i32 s3, s3, s2
	s_mul_i32 s2, s6, s30
	s_ashr_i32 s1, s28, 31
	s_lshl_b64 s[2:3], s[2:3], 2
	s_mov_b32 s0, s28
	s_add_u32 s2, s26, s2
	s_addc_u32 s3, s27, s3
	s_lshl_b64 s[0:1], s[0:1], 2
	s_add_u32 s0, s2, s0
	s_addc_u32 s1, s3, s1
	v_mov_b32_e32 v1, s1
	v_add_co_u32_e32 v26, vcc, s0, v14
	s_ashr_i32 s3, s29, 31
	s_mov_b32 s2, s29
	v_addc_co_u32_e32 v27, vcc, 0, v1, vcc
	s_lshl_b64 s[2:3], s[2:3], 2
	v_add_co_u32_e32 v28, vcc, s2, v26
	s_add_i32 s2, s29, s29
	v_add_u32_e32 v2, s2, v0
	v_mov_b32_e32 v1, s3
	v_ashrrev_i32_e32 v3, 31, v2
	v_addc_co_u32_e32 v29, vcc, v27, v1, vcc
	v_lshlrev_b64 v[4:5], 2, v[2:3]
	v_add_u32_e32 v2, s29, v2
	v_mov_b32_e32 v1, s1
	v_add_co_u32_e32 v30, vcc, s0, v4
	v_ashrrev_i32_e32 v3, 31, v2
	v_addc_co_u32_e32 v31, vcc, v1, v5, vcc
	v_lshlrev_b64 v[4:5], 2, v[2:3]
	v_add_u32_e32 v2, s29, v2
	v_add_co_u32_e32 v32, vcc, s0, v4
	v_ashrrev_i32_e32 v3, 31, v2
	v_addc_co_u32_e32 v33, vcc, v1, v5, vcc
	v_lshlrev_b64 v[4:5], 2, v[2:3]
	v_add_u32_e32 v2, s29, v2
	;; [unrolled: 5-line block ×6, first 2 shown]
	v_add_co_u32_e32 v42, vcc, s0, v4
	v_ashrrev_i32_e32 v13, 31, v12
	v_addc_co_u32_e32 v43, vcc, v1, v5, vcc
	v_lshlrev_b64 v[16:17], 2, v[12:13]
	global_load_dword v3, v[28:29], off
	global_load_dword v4, v[30:31], off
	;; [unrolled: 1-line block ×8, first 2 shown]
	v_add_co_u32_e32 v44, vcc, s0, v16
	v_add_u32_e32 v16, s29, v12
	v_addc_co_u32_e32 v45, vcc, v1, v17, vcc
	v_ashrrev_i32_e32 v17, 31, v16
	v_lshlrev_b64 v[12:13], 2, v[16:17]
	v_add_u32_e32 v16, s29, v16
	v_add_co_u32_e32 v46, vcc, s0, v12
	v_ashrrev_i32_e32 v17, 31, v16
	v_addc_co_u32_e32 v47, vcc, v1, v13, vcc
	v_lshlrev_b64 v[16:17], 2, v[16:17]
	v_add_co_u32_e32 v48, vcc, s0, v16
	global_load_dword v11, v[44:45], off
	global_load_dword v12, v[46:47], off
	v_addc_co_u32_e32 v49, vcc, v1, v17, vcc
	global_load_dword v2, v14, s[0:1]
	global_load_dword v13, v[48:49], off
	s_cmpk_lg_i32 s25, 0x84
	v_mov_b32_e32 v1, 0
	s_cselect_b64 s[26:27], -1, 0
	s_cmpk_eq_i32 s25, 0x84
	v_cmp_eq_u32_e64 s[0:1], 0, v0
	s_cbranch_scc1 .LBB11_3
; %bb.2:
	v_cmp_eq_u32_e64 s[2:3], 1, v0
	s_waitcnt vmcnt(1)
	v_cndmask_b32_e64 v15, v2, v3, s[2:3]
	v_cmp_eq_u32_e64 s[4:5], 2, v0
	v_cndmask_b32_e64 v15, v15, v4, s[4:5]
	v_cmp_eq_u32_e64 s[6:7], 3, v0
	;; [unrolled: 2-line block ×10, first 2 shown]
	s_waitcnt vmcnt(0)
	v_cndmask_b32_e64 v15, v15, v13, s[22:23]
	v_div_scale_f32 v16, s[28:29], v15, v15, 1.0
	v_rcp_f32_e32 v17, v16
	v_fma_f32 v18, -v16, v17, 1.0
	v_fmac_f32_e32 v17, v18, v17
	v_div_scale_f32 v18, vcc, 1.0, v15, 1.0
	v_mul_f32_e32 v19, v18, v17
	v_fma_f32 v20, -v16, v19, v18
	v_fmac_f32_e32 v19, v20, v17
	v_fma_f32 v16, -v16, v19, v18
	v_div_fmas_f32 v16, v16, v17, v19
	v_div_fixup_f32 v15, v16, v15, 1.0
	v_cndmask_b32_e64 v13, v13, v15, s[22:23]
	v_cndmask_b32_e64 v12, v12, v15, s[20:21]
	;; [unrolled: 1-line block ×12, first 2 shown]
	v_xor_b32_e32 v15, 0x80000000, v15
.LBB11_3:
	s_cmpk_eq_i32 s24, 0x79
	v_add_u32_e32 v53, 48, v14
	ds_write_b32 v14, v15
	s_cbranch_scc1 .LBB11_7
; %bb.4:
	s_waitcnt vmcnt(0)
	v_pk_mov_b32 v[24:25], v[12:13], v[12:13] op_sel:[0,1]
	v_cmp_eq_u32_e64 s[0:1], 11, v0
	v_pk_mov_b32 v[22:23], v[10:11], v[10:11] op_sel:[0,1]
	v_pk_mov_b32 v[20:21], v[8:9], v[8:9] op_sel:[0,1]
	v_pk_mov_b32 v[18:19], v[6:7], v[6:7] op_sel:[0,1]
	v_pk_mov_b32 v[16:17], v[4:5], v[4:5] op_sel:[0,1]
	v_pk_mov_b32 v[14:15], v[2:3], v[2:3] op_sel:[0,1]
	ds_write_b32 v53, v12
	s_waitcnt lgkmcnt(0)
	; wave barrier
	s_waitcnt lgkmcnt(0)
	s_and_saveexec_b64 s[2:3], s[0:1]
	s_cbranch_execz .LBB11_11
; %bb.5:
	s_and_b64 vcc, exec, s[26:27]
	s_cbranch_vccz .LBB11_8
; %bb.6:
	v_cmp_eq_u32_e32 vcc, 1, v0
	v_cndmask_b32_e32 v14, v2, v3, vcc
	v_cmp_eq_u32_e32 vcc, 2, v0
	v_cndmask_b32_e32 v14, v14, v4, vcc
	;; [unrolled: 2-line block ×7, first 2 shown]
	v_cmp_eq_u32_e32 vcc, 8, v0
	ds_read_b32 v15, v53
	v_cndmask_b32_e32 v14, v14, v10, vcc
	v_cmp_eq_u32_e32 vcc, 9, v0
	v_cndmask_b32_e32 v14, v14, v11, vcc
	v_cmp_eq_u32_e32 vcc, 10, v0
	;; [unrolled: 2-line block ×3, first 2 shown]
	v_cndmask_b32_e32 v14, v14, v13, vcc
	s_waitcnt lgkmcnt(0)
	v_mul_f32_e32 v14, v14, v15
	s_cbranch_execz .LBB11_9
	s_branch .LBB11_10
.LBB11_7:
                                        ; implicit-def: $vgpr14_vgpr15_vgpr16_vgpr17_vgpr18_vgpr19_vgpr20_vgpr21_vgpr22_vgpr23_vgpr24_vgpr25
	s_cbranch_execnz .LBB11_162
	s_branch .LBB11_277
.LBB11_8:
                                        ; implicit-def: $vgpr14
.LBB11_9:
	ds_read_b32 v14, v53
.LBB11_10:
	v_mov_b32_e32 v15, 0
	ds_read_b32 v15, v15 offset:40
	s_waitcnt lgkmcnt(0)
	v_mul_f32_e32 v50, v14, v15
	v_pk_mov_b32 v[24:25], v[12:13], v[12:13] op_sel:[0,1]
	v_pk_mov_b32 v[22:23], v[10:11], v[10:11] op_sel:[0,1]
	;; [unrolled: 1-line block ×6, first 2 shown]
	v_mov_b32_e32 v24, v50
.LBB11_11:
	s_or_b64 exec, exec, s[2:3]
	v_cmp_lt_u32_e64 s[2:3], 9, v0
	ds_write_b32 v53, v23
	s_waitcnt lgkmcnt(0)
	; wave barrier
	s_waitcnt lgkmcnt(0)
	s_and_saveexec_b64 s[4:5], s[2:3]
	s_cbranch_execz .LBB11_17
; %bb.12:
	s_andn2_b64 vcc, exec, s[26:27]
	s_cbranch_vccnz .LBB11_14
; %bb.13:
	v_cmp_eq_u32_e32 vcc, 1, v0
	v_cndmask_b32_e32 v50, v14, v15, vcc
	v_cmp_eq_u32_e32 vcc, 2, v0
	v_cndmask_b32_e32 v50, v50, v16, vcc
	;; [unrolled: 2-line block ×9, first 2 shown]
	ds_read_b32 v50, v53
	v_cmp_eq_u32_e32 vcc, 10, v0
	v_cndmask_b32_e32 v23, v23, v24, vcc
	v_cmp_eq_u32_e32 vcc, 11, v0
	v_cndmask_b32_e32 v23, v23, v25, vcc
	s_waitcnt lgkmcnt(0)
	v_mul_f32_e32 v23, v23, v50
	s_cbranch_execz .LBB11_15
	s_branch .LBB11_16
.LBB11_14:
                                        ; implicit-def: $vgpr23
.LBB11_15:
	ds_read_b32 v23, v53
.LBB11_16:
	v_mov_b32_e32 v50, 0
	ds_read2_b32 v[50:51], v50 offset0:9 offset1:22
	s_waitcnt lgkmcnt(0)
	v_fma_f32 v51, v24, v51, v23
	v_cndmask_b32_e64 v23, v23, v51, s[0:1]
	v_mul_f32_e32 v23, v23, v50
.LBB11_17:
	s_or_b64 exec, exec, s[4:5]
	v_cmp_lt_u32_e64 s[0:1], 8, v0
	ds_write_b32 v53, v22
	s_waitcnt lgkmcnt(0)
	; wave barrier
	s_waitcnt lgkmcnt(0)
	s_and_saveexec_b64 s[4:5], s[0:1]
	s_cbranch_execz .LBB11_33
; %bb.18:
	s_andn2_b64 vcc, exec, s[26:27]
	s_cbranch_vccnz .LBB11_20
; %bb.19:
	v_cmp_eq_u32_e32 vcc, 1, v0
	v_cndmask_b32_e32 v50, v14, v15, vcc
	v_cmp_eq_u32_e32 vcc, 2, v0
	v_cndmask_b32_e32 v50, v50, v16, vcc
	v_cmp_eq_u32_e32 vcc, 3, v0
	v_cndmask_b32_e32 v50, v50, v17, vcc
	v_cmp_eq_u32_e32 vcc, 4, v0
	v_cndmask_b32_e32 v50, v50, v18, vcc
	v_cmp_eq_u32_e32 vcc, 5, v0
	v_cndmask_b32_e32 v50, v50, v19, vcc
	v_cmp_eq_u32_e32 vcc, 6, v0
	v_cndmask_b32_e32 v50, v50, v20, vcc
	v_cmp_eq_u32_e32 vcc, 7, v0
	v_cndmask_b32_e32 v50, v50, v21, vcc
	v_cmp_eq_u32_e32 vcc, 8, v0
	ds_read_b32 v51, v53
	v_cndmask_b32_e32 v50, v50, v22, vcc
	v_cmp_eq_u32_e32 vcc, 9, v0
	v_cndmask_b32_e32 v50, v50, v23, vcc
	v_cmp_eq_u32_e32 vcc, 10, v0
	;; [unrolled: 2-line block ×3, first 2 shown]
	v_cndmask_b32_e32 v50, v50, v25, vcc
	s_waitcnt lgkmcnt(0)
	v_mul_f32_e32 v54, v50, v51
	s_cbranch_execz .LBB11_21
	s_branch .LBB11_22
.LBB11_20:
                                        ; implicit-def: $vgpr54
.LBB11_21:
	ds_read_b32 v54, v53
.LBB11_22:
	s_and_saveexec_b64 s[6:7], s[2:3]
	s_cbranch_execz .LBB11_32
; %bb.23:
	v_add_u32_e32 v50, -10, v0
	v_add_u32_e32 v51, -9, v0
	v_cmp_lt_u32_e32 vcc, 6, v50
	v_mov_b32_e32 v50, 9
	s_and_saveexec_b64 s[2:3], vcc
	s_cbranch_execz .LBB11_27
; %bb.24:
	v_and_b32_e32 v50, -8, v51
	v_sub_u32_e32 v52, 0, v50
	s_mov_b64 s[8:9], 16
	s_movk_i32 s12, 0x54
	s_mov_b64 s[10:11], 0
.LBB11_25:                              ; =>This Inner Loop Header: Depth=1
	s_add_i32 s13, s8, -7
	v_mov_b32_e32 v55, s12
	s_set_gpr_idx_on s13, gpr_idx(SRC0)
	v_mov_b32_e32 v50, v14
	s_set_gpr_idx_off
	ds_read2_b32 v[56:57], v55 offset1:1
	s_add_i32 s13, s8, -6
	s_waitcnt lgkmcnt(0)
	v_fmac_f32_e32 v54, v50, v56
	s_set_gpr_idx_on s13, gpr_idx(SRC0)
	v_mov_b32_e32 v50, v14
	s_set_gpr_idx_off
	s_add_i32 s13, s8, -5
	v_fmac_f32_e32 v54, v50, v57
	s_set_gpr_idx_on s13, gpr_idx(SRC0)
	v_mov_b32_e32 v50, v14
	s_set_gpr_idx_off
	ds_read2_b32 v[56:57], v55 offset0:2 offset1:3
	s_add_i32 s13, s8, -4
	s_waitcnt lgkmcnt(0)
	v_fmac_f32_e32 v54, v50, v56
	s_set_gpr_idx_on s13, gpr_idx(SRC0)
	v_mov_b32_e32 v50, v14
	s_set_gpr_idx_off
	s_add_i32 s13, s8, -3
	v_fmac_f32_e32 v54, v50, v57
	s_set_gpr_idx_on s13, gpr_idx(SRC0)
	v_mov_b32_e32 v50, v14
	s_set_gpr_idx_off
	ds_read2_b32 v[56:57], v55 offset0:4 offset1:5
	;; [unrolled: 12-line block ×3, first 2 shown]
	s_waitcnt lgkmcnt(0)
	v_fmac_f32_e32 v54, v50, v56
	s_set_gpr_idx_on s8, gpr_idx(SRC0)
	v_mov_b32_e32 v50, v14
	s_set_gpr_idx_off
	s_add_u32 s8, s8, 8
	v_fmac_f32_e32 v54, v50, v57
	v_add_u32_e32 v50, s8, v52
	s_addc_u32 s9, s9, 0
	s_add_i32 s12, s12, 32
	v_cmp_eq_u32_e32 vcc, 16, v50
	s_add_i32 s13, s8, -7
	s_or_b64 s[10:11], vcc, s[10:11]
	v_mov_b32_e32 v50, s13
	s_andn2_b64 exec, exec, s[10:11]
	s_cbranch_execnz .LBB11_25
; %bb.26:
	s_or_b64 exec, exec, s[10:11]
.LBB11_27:
	s_or_b64 exec, exec, s[2:3]
	v_and_b32_e32 v52, 7, v51
	v_cmp_ne_u32_e32 vcc, 0, v52
	s_and_saveexec_b64 s[8:9], vcc
	s_cbranch_execz .LBB11_31
; %bb.28:
	v_lshl_add_u32 v55, v50, 2, 48
	v_mov_b32_e32 v51, 0
	s_mov_b64 s[10:11], 0
.LBB11_29:                              ; =>This Inner Loop Header: Depth=1
	v_cmp_eq_u32_e32 vcc, 1, v50
	v_cndmask_b32_e32 v56, v14, v15, vcc
	v_add_u32_e32 v52, -1, v52
	v_cmp_eq_u32_e32 vcc, 2, v50
	v_cndmask_b32_e32 v56, v56, v16, vcc
	v_cmp_eq_u32_e32 vcc, 0, v52
	v_cmp_eq_u32_e64 s[2:3], 3, v50
	v_cndmask_b32_e64 v56, v56, v17, s[2:3]
	s_or_b64 s[10:11], vcc, s[10:11]
	v_cmp_eq_u32_e32 vcc, 4, v50
	v_cndmask_b32_e32 v56, v56, v18, vcc
	v_cmp_eq_u32_e32 vcc, 5, v50
	v_cndmask_b32_e32 v56, v56, v19, vcc
	;; [unrolled: 2-line block ×3, first 2 shown]
	v_cmp_eq_u32_e32 vcc, 7, v50
	ds_read_b32 v57, v55
	v_cndmask_b32_e32 v56, v56, v21, vcc
	v_cmp_eq_u32_e32 vcc, 8, v50
	v_cndmask_b32_e32 v56, v56, v22, vcc
	v_cmp_eq_u32_e32 vcc, 9, v50
	v_cndmask_b32_e32 v56, v56, v23, vcc
	v_cmp_eq_u32_e32 vcc, 10, v50
	v_cndmask_b32_e32 v56, v56, v24, vcc
	v_cmp_eq_u32_e32 vcc, 11, v50
	v_add_co_u32_e64 v50, s[2:3], 1, v50
	v_cndmask_b32_e32 v56, v56, v25, vcc
	v_add_u32_e32 v55, 4, v55
	v_addc_co_u32_e64 v51, s[2:3], 0, v51, s[2:3]
	s_waitcnt lgkmcnt(0)
	v_fmac_f32_e32 v54, v56, v57
	s_andn2_b64 exec, exec, s[10:11]
	s_cbranch_execnz .LBB11_29
; %bb.30:
	s_or_b64 exec, exec, s[10:11]
.LBB11_31:
	s_or_b64 exec, exec, s[8:9]
.LBB11_32:
	s_or_b64 exec, exec, s[6:7]
	v_mov_b32_e32 v22, 0
	ds_read_b32 v22, v22 offset:32
	s_waitcnt lgkmcnt(0)
	v_mul_f32_e32 v22, v54, v22
.LBB11_33:
	s_or_b64 exec, exec, s[4:5]
	v_cmp_lt_u32_e64 s[2:3], 7, v0
	ds_write_b32 v53, v21
	s_waitcnt lgkmcnt(0)
	; wave barrier
	s_waitcnt lgkmcnt(0)
	s_and_saveexec_b64 s[4:5], s[2:3]
	s_cbranch_execz .LBB11_49
; %bb.34:
	s_andn2_b64 vcc, exec, s[26:27]
	s_cbranch_vccnz .LBB11_36
; %bb.35:
	v_cmp_eq_u32_e32 vcc, 1, v0
	v_cndmask_b32_e32 v50, v14, v15, vcc
	v_cmp_eq_u32_e32 vcc, 2, v0
	v_cndmask_b32_e32 v50, v50, v16, vcc
	;; [unrolled: 2-line block ×7, first 2 shown]
	v_cmp_eq_u32_e32 vcc, 8, v0
	ds_read_b32 v51, v53
	v_cndmask_b32_e32 v50, v50, v22, vcc
	v_cmp_eq_u32_e32 vcc, 9, v0
	v_cndmask_b32_e32 v50, v50, v23, vcc
	v_cmp_eq_u32_e32 vcc, 10, v0
	;; [unrolled: 2-line block ×3, first 2 shown]
	v_cndmask_b32_e32 v50, v50, v25, vcc
	s_waitcnt lgkmcnt(0)
	v_mul_f32_e32 v54, v50, v51
	s_cbranch_execz .LBB11_37
	s_branch .LBB11_38
.LBB11_36:
                                        ; implicit-def: $vgpr54
.LBB11_37:
	ds_read_b32 v54, v53
.LBB11_38:
	s_and_saveexec_b64 s[6:7], s[0:1]
	s_cbranch_execz .LBB11_48
; %bb.39:
	v_add_u32_e32 v50, -9, v0
	v_cmp_lt_u32_e32 vcc, 6, v50
	v_mov_b32_e32 v50, 8
	s_and_saveexec_b64 s[0:1], vcc
	s_cbranch_execz .LBB11_43
; %bb.40:
	v_and_b32_e32 v50, 8, v0
	v_sub_u32_e32 v52, 0, v50
	s_mov_b64 s[8:9], 15
	s_movk_i32 s12, 0x50
	s_mov_b64 s[10:11], 0
.LBB11_41:                              ; =>This Inner Loop Header: Depth=1
	s_add_i32 s13, s8, -7
	v_mov_b32_e32 v51, s12
	s_set_gpr_idx_on s13, gpr_idx(SRC0)
	v_mov_b32_e32 v50, v14
	s_set_gpr_idx_off
	ds_read_b128 v[56:59], v51
	ds_read_b128 v[60:63], v51 offset:16
	s_add_i32 s13, s8, -6
	s_waitcnt lgkmcnt(1)
	v_fmac_f32_e32 v54, v50, v56
	s_set_gpr_idx_on s13, gpr_idx(SRC0)
	v_mov_b32_e32 v50, v14
	s_set_gpr_idx_off
	s_add_i32 s13, s8, -5
	v_fmac_f32_e32 v54, v50, v57
	s_set_gpr_idx_on s13, gpr_idx(SRC0)
	v_mov_b32_e32 v50, v14
	s_set_gpr_idx_off
	s_add_i32 s13, s8, -4
	;; [unrolled: 5-line block ×4, first 2 shown]
	s_waitcnt lgkmcnt(0)
	v_fmac_f32_e32 v54, v50, v60
	s_set_gpr_idx_on s13, gpr_idx(SRC0)
	v_mov_b32_e32 v50, v14
	s_set_gpr_idx_off
	s_add_i32 s13, s8, -1
	v_fmac_f32_e32 v54, v50, v61
	s_set_gpr_idx_on s13, gpr_idx(SRC0)
	v_mov_b32_e32 v50, v14
	s_set_gpr_idx_off
	v_fmac_f32_e32 v54, v50, v62
	s_set_gpr_idx_on s8, gpr_idx(SRC0)
	v_mov_b32_e32 v50, v14
	s_set_gpr_idx_off
	s_add_u32 s8, s8, 8
	v_fmac_f32_e32 v54, v50, v63
	v_add_u32_e32 v50, s8, v52
	s_addc_u32 s9, s9, 0
	s_add_i32 s12, s12, 32
	v_cmp_eq_u32_e32 vcc, 7, v50
	s_add_i32 s13, s8, -7
	s_or_b64 s[10:11], vcc, s[10:11]
	v_mov_b32_e32 v50, s13
	s_andn2_b64 exec, exec, s[10:11]
	s_cbranch_execnz .LBB11_41
; %bb.42:
	s_or_b64 exec, exec, s[10:11]
.LBB11_43:
	s_or_b64 exec, exec, s[0:1]
	v_and_b32_e32 v52, 7, v0
	v_cmp_ne_u32_e32 vcc, 0, v52
	s_and_saveexec_b64 s[8:9], vcc
	s_cbranch_execz .LBB11_47
; %bb.44:
	v_lshl_add_u32 v55, v50, 2, 48
	v_mov_b32_e32 v51, 0
	s_mov_b64 s[10:11], 0
.LBB11_45:                              ; =>This Inner Loop Header: Depth=1
	v_cmp_eq_u32_e32 vcc, 1, v50
	v_cndmask_b32_e32 v56, v14, v15, vcc
	v_add_u32_e32 v52, -1, v52
	v_cmp_eq_u32_e32 vcc, 2, v50
	v_cndmask_b32_e32 v56, v56, v16, vcc
	v_cmp_eq_u32_e32 vcc, 0, v52
	v_cmp_eq_u32_e64 s[0:1], 3, v50
	v_cndmask_b32_e64 v56, v56, v17, s[0:1]
	s_or_b64 s[10:11], vcc, s[10:11]
	v_cmp_eq_u32_e32 vcc, 4, v50
	v_cndmask_b32_e32 v56, v56, v18, vcc
	v_cmp_eq_u32_e32 vcc, 5, v50
	v_cndmask_b32_e32 v56, v56, v19, vcc
	;; [unrolled: 2-line block ×3, first 2 shown]
	v_cmp_eq_u32_e32 vcc, 7, v50
	ds_read_b32 v57, v55
	v_cndmask_b32_e32 v56, v56, v21, vcc
	v_cmp_eq_u32_e32 vcc, 8, v50
	v_cndmask_b32_e32 v56, v56, v22, vcc
	v_cmp_eq_u32_e32 vcc, 9, v50
	;; [unrolled: 2-line block ×4, first 2 shown]
	v_add_co_u32_e64 v50, s[0:1], 1, v50
	v_cndmask_b32_e32 v56, v56, v25, vcc
	v_add_u32_e32 v55, 4, v55
	v_addc_co_u32_e64 v51, s[0:1], 0, v51, s[0:1]
	s_waitcnt lgkmcnt(0)
	v_fmac_f32_e32 v54, v56, v57
	s_andn2_b64 exec, exec, s[10:11]
	s_cbranch_execnz .LBB11_45
; %bb.46:
	s_or_b64 exec, exec, s[10:11]
.LBB11_47:
	s_or_b64 exec, exec, s[8:9]
.LBB11_48:
	s_or_b64 exec, exec, s[6:7]
	v_mov_b32_e32 v21, 0
	ds_read_b32 v21, v21 offset:28
	s_waitcnt lgkmcnt(0)
	v_mul_f32_e32 v21, v54, v21
.LBB11_49:
	s_or_b64 exec, exec, s[4:5]
	v_cmp_lt_u32_e64 s[0:1], 6, v0
	ds_write_b32 v53, v20
	s_waitcnt lgkmcnt(0)
	; wave barrier
	s_waitcnt lgkmcnt(0)
	s_and_saveexec_b64 s[4:5], s[0:1]
	s_cbranch_execz .LBB11_65
; %bb.50:
	s_andn2_b64 vcc, exec, s[26:27]
	s_cbranch_vccnz .LBB11_52
; %bb.51:
	v_cmp_eq_u32_e32 vcc, 1, v0
	v_cndmask_b32_e32 v50, v14, v15, vcc
	v_cmp_eq_u32_e32 vcc, 2, v0
	v_cndmask_b32_e32 v50, v50, v16, vcc
	;; [unrolled: 2-line block ×7, first 2 shown]
	v_cmp_eq_u32_e32 vcc, 8, v0
	ds_read_b32 v51, v53
	v_cndmask_b32_e32 v50, v50, v22, vcc
	v_cmp_eq_u32_e32 vcc, 9, v0
	v_cndmask_b32_e32 v50, v50, v23, vcc
	v_cmp_eq_u32_e32 vcc, 10, v0
	;; [unrolled: 2-line block ×3, first 2 shown]
	v_cndmask_b32_e32 v50, v50, v25, vcc
	s_waitcnt lgkmcnt(0)
	v_mul_f32_e32 v54, v50, v51
	s_cbranch_execz .LBB11_53
	s_branch .LBB11_54
.LBB11_52:
                                        ; implicit-def: $vgpr54
.LBB11_53:
	ds_read_b32 v54, v53
.LBB11_54:
	s_and_saveexec_b64 s[6:7], s[2:3]
	s_cbranch_execz .LBB11_64
; %bb.55:
	v_add_u32_e32 v50, -8, v0
	v_add_u32_e32 v51, -7, v0
	v_cmp_lt_u32_e32 vcc, 6, v50
	v_mov_b32_e32 v50, 7
	s_and_saveexec_b64 s[2:3], vcc
	s_cbranch_execz .LBB11_59
; %bb.56:
	v_and_b32_e32 v50, -8, v51
	v_sub_u32_e32 v52, 0, v50
	s_mov_b64 s[8:9], 14
	s_movk_i32 s12, 0x4c
	s_mov_b64 s[10:11], 0
.LBB11_57:                              ; =>This Inner Loop Header: Depth=1
	s_add_i32 s13, s8, -7
	v_mov_b32_e32 v55, s12
	s_set_gpr_idx_on s13, gpr_idx(SRC0)
	v_mov_b32_e32 v50, v14
	s_set_gpr_idx_off
	ds_read2_b32 v[56:57], v55 offset1:1
	s_add_i32 s13, s8, -6
	s_waitcnt lgkmcnt(0)
	v_fmac_f32_e32 v54, v50, v56
	s_set_gpr_idx_on s13, gpr_idx(SRC0)
	v_mov_b32_e32 v50, v14
	s_set_gpr_idx_off
	s_add_i32 s13, s8, -5
	v_fmac_f32_e32 v54, v50, v57
	s_set_gpr_idx_on s13, gpr_idx(SRC0)
	v_mov_b32_e32 v50, v14
	s_set_gpr_idx_off
	ds_read2_b32 v[56:57], v55 offset0:2 offset1:3
	s_add_i32 s13, s8, -4
	s_waitcnt lgkmcnt(0)
	v_fmac_f32_e32 v54, v50, v56
	s_set_gpr_idx_on s13, gpr_idx(SRC0)
	v_mov_b32_e32 v50, v14
	s_set_gpr_idx_off
	s_add_i32 s13, s8, -3
	v_fmac_f32_e32 v54, v50, v57
	s_set_gpr_idx_on s13, gpr_idx(SRC0)
	v_mov_b32_e32 v50, v14
	s_set_gpr_idx_off
	ds_read2_b32 v[56:57], v55 offset0:4 offset1:5
	;; [unrolled: 12-line block ×3, first 2 shown]
	s_waitcnt lgkmcnt(0)
	v_fmac_f32_e32 v54, v50, v56
	s_set_gpr_idx_on s8, gpr_idx(SRC0)
	v_mov_b32_e32 v50, v14
	s_set_gpr_idx_off
	s_add_u32 s8, s8, 8
	v_fmac_f32_e32 v54, v50, v57
	v_add_u32_e32 v50, s8, v52
	s_addc_u32 s9, s9, 0
	s_add_i32 s12, s12, 32
	v_cmp_eq_u32_e32 vcc, 14, v50
	s_add_i32 s13, s8, -7
	s_or_b64 s[10:11], vcc, s[10:11]
	v_mov_b32_e32 v50, s13
	s_andn2_b64 exec, exec, s[10:11]
	s_cbranch_execnz .LBB11_57
; %bb.58:
	s_or_b64 exec, exec, s[10:11]
.LBB11_59:
	s_or_b64 exec, exec, s[2:3]
	v_and_b32_e32 v52, 7, v51
	v_cmp_ne_u32_e32 vcc, 0, v52
	s_and_saveexec_b64 s[8:9], vcc
	s_cbranch_execz .LBB11_63
; %bb.60:
	v_lshl_add_u32 v55, v50, 2, 48
	v_mov_b32_e32 v51, 0
	s_mov_b64 s[10:11], 0
.LBB11_61:                              ; =>This Inner Loop Header: Depth=1
	v_cmp_eq_u32_e32 vcc, 1, v50
	v_cndmask_b32_e32 v56, v14, v15, vcc
	v_add_u32_e32 v52, -1, v52
	v_cmp_eq_u32_e32 vcc, 2, v50
	v_cndmask_b32_e32 v56, v56, v16, vcc
	v_cmp_eq_u32_e32 vcc, 0, v52
	v_cmp_eq_u32_e64 s[2:3], 3, v50
	v_cndmask_b32_e64 v56, v56, v17, s[2:3]
	s_or_b64 s[10:11], vcc, s[10:11]
	v_cmp_eq_u32_e32 vcc, 4, v50
	v_cndmask_b32_e32 v56, v56, v18, vcc
	v_cmp_eq_u32_e32 vcc, 5, v50
	v_cndmask_b32_e32 v56, v56, v19, vcc
	;; [unrolled: 2-line block ×3, first 2 shown]
	v_cmp_eq_u32_e32 vcc, 7, v50
	ds_read_b32 v57, v55
	v_cndmask_b32_e32 v56, v56, v21, vcc
	v_cmp_eq_u32_e32 vcc, 8, v50
	v_cndmask_b32_e32 v56, v56, v22, vcc
	v_cmp_eq_u32_e32 vcc, 9, v50
	;; [unrolled: 2-line block ×4, first 2 shown]
	v_add_co_u32_e64 v50, s[2:3], 1, v50
	v_cndmask_b32_e32 v56, v56, v25, vcc
	v_add_u32_e32 v55, 4, v55
	v_addc_co_u32_e64 v51, s[2:3], 0, v51, s[2:3]
	s_waitcnt lgkmcnt(0)
	v_fmac_f32_e32 v54, v56, v57
	s_andn2_b64 exec, exec, s[10:11]
	s_cbranch_execnz .LBB11_61
; %bb.62:
	s_or_b64 exec, exec, s[10:11]
.LBB11_63:
	s_or_b64 exec, exec, s[8:9]
.LBB11_64:
	s_or_b64 exec, exec, s[6:7]
	v_mov_b32_e32 v20, 0
	ds_read_b32 v20, v20 offset:24
	s_waitcnt lgkmcnt(0)
	v_mul_f32_e32 v20, v54, v20
.LBB11_65:
	s_or_b64 exec, exec, s[4:5]
	v_cmp_lt_u32_e64 s[2:3], 5, v0
	ds_write_b32 v53, v19
	s_waitcnt lgkmcnt(0)
	; wave barrier
	s_waitcnt lgkmcnt(0)
	s_and_saveexec_b64 s[4:5], s[2:3]
	s_cbranch_execz .LBB11_81
; %bb.66:
	s_andn2_b64 vcc, exec, s[26:27]
	s_cbranch_vccnz .LBB11_68
; %bb.67:
	v_cmp_eq_u32_e32 vcc, 1, v0
	v_cndmask_b32_e32 v50, v14, v15, vcc
	v_cmp_eq_u32_e32 vcc, 2, v0
	v_cndmask_b32_e32 v50, v50, v16, vcc
	;; [unrolled: 2-line block ×7, first 2 shown]
	v_cmp_eq_u32_e32 vcc, 8, v0
	ds_read_b32 v51, v53
	v_cndmask_b32_e32 v50, v50, v22, vcc
	v_cmp_eq_u32_e32 vcc, 9, v0
	v_cndmask_b32_e32 v50, v50, v23, vcc
	v_cmp_eq_u32_e32 vcc, 10, v0
	;; [unrolled: 2-line block ×3, first 2 shown]
	v_cndmask_b32_e32 v50, v50, v25, vcc
	s_waitcnt lgkmcnt(0)
	v_mul_f32_e32 v54, v50, v51
	s_cbranch_execz .LBB11_69
	s_branch .LBB11_70
.LBB11_68:
                                        ; implicit-def: $vgpr54
.LBB11_69:
	ds_read_b32 v54, v53
.LBB11_70:
	s_and_saveexec_b64 s[6:7], s[0:1]
	s_cbranch_execz .LBB11_80
; %bb.71:
	v_add_u32_e32 v50, -7, v0
	v_add_u32_e32 v51, -6, v0
	v_cmp_lt_u32_e32 vcc, 6, v50
	v_mov_b32_e32 v50, 6
	s_and_saveexec_b64 s[0:1], vcc
	s_cbranch_execz .LBB11_75
; %bb.72:
	v_and_b32_e32 v50, -8, v51
	v_sub_u32_e32 v52, 0, v50
	s_mov_b64 s[8:9], 13
	s_movk_i32 s12, 0x48
	s_mov_b64 s[10:11], 0
.LBB11_73:                              ; =>This Inner Loop Header: Depth=1
	s_add_i32 s13, s8, -7
	v_mov_b32_e32 v55, s12
	s_set_gpr_idx_on s13, gpr_idx(SRC0)
	v_mov_b32_e32 v50, v14
	s_set_gpr_idx_off
	ds_read2_b64 v[56:59], v55 offset1:1
	s_add_i32 s13, s8, -6
	s_waitcnt lgkmcnt(0)
	v_fmac_f32_e32 v54, v50, v56
	s_set_gpr_idx_on s13, gpr_idx(SRC0)
	v_mov_b32_e32 v50, v14
	s_set_gpr_idx_off
	s_add_i32 s13, s8, -5
	v_fmac_f32_e32 v54, v50, v57
	s_set_gpr_idx_on s13, gpr_idx(SRC0)
	v_mov_b32_e32 v50, v14
	s_set_gpr_idx_off
	s_add_i32 s13, s8, -4
	;; [unrolled: 5-line block ×3, first 2 shown]
	v_fmac_f32_e32 v54, v50, v59
	s_set_gpr_idx_on s13, gpr_idx(SRC0)
	v_mov_b32_e32 v50, v14
	s_set_gpr_idx_off
	ds_read2_b64 v[56:59], v55 offset0:2 offset1:3
	s_add_i32 s13, s8, -2
	s_waitcnt lgkmcnt(0)
	v_fmac_f32_e32 v54, v50, v56
	s_set_gpr_idx_on s13, gpr_idx(SRC0)
	v_mov_b32_e32 v50, v14
	s_set_gpr_idx_off
	s_add_i32 s13, s8, -1
	v_fmac_f32_e32 v54, v50, v57
	s_set_gpr_idx_on s13, gpr_idx(SRC0)
	v_mov_b32_e32 v50, v14
	s_set_gpr_idx_off
	v_fmac_f32_e32 v54, v50, v58
	s_set_gpr_idx_on s8, gpr_idx(SRC0)
	v_mov_b32_e32 v50, v14
	s_set_gpr_idx_off
	s_add_u32 s8, s8, 8
	v_fmac_f32_e32 v54, v50, v59
	v_add_u32_e32 v50, s8, v52
	s_addc_u32 s9, s9, 0
	s_add_i32 s12, s12, 32
	v_cmp_eq_u32_e32 vcc, 13, v50
	s_add_i32 s13, s8, -7
	s_or_b64 s[10:11], vcc, s[10:11]
	v_mov_b32_e32 v50, s13
	s_andn2_b64 exec, exec, s[10:11]
	s_cbranch_execnz .LBB11_73
; %bb.74:
	s_or_b64 exec, exec, s[10:11]
.LBB11_75:
	s_or_b64 exec, exec, s[0:1]
	v_and_b32_e32 v52, 7, v51
	v_cmp_ne_u32_e32 vcc, 0, v52
	s_and_saveexec_b64 s[8:9], vcc
	s_cbranch_execz .LBB11_79
; %bb.76:
	v_lshl_add_u32 v55, v50, 2, 48
	v_mov_b32_e32 v51, 0
	s_mov_b64 s[10:11], 0
.LBB11_77:                              ; =>This Inner Loop Header: Depth=1
	v_cmp_eq_u32_e32 vcc, 1, v50
	v_cndmask_b32_e32 v56, v14, v15, vcc
	v_add_u32_e32 v52, -1, v52
	v_cmp_eq_u32_e32 vcc, 2, v50
	v_cndmask_b32_e32 v56, v56, v16, vcc
	v_cmp_eq_u32_e32 vcc, 0, v52
	v_cmp_eq_u32_e64 s[0:1], 3, v50
	v_cndmask_b32_e64 v56, v56, v17, s[0:1]
	s_or_b64 s[10:11], vcc, s[10:11]
	v_cmp_eq_u32_e32 vcc, 4, v50
	v_cndmask_b32_e32 v56, v56, v18, vcc
	v_cmp_eq_u32_e32 vcc, 5, v50
	v_cndmask_b32_e32 v56, v56, v19, vcc
	;; [unrolled: 2-line block ×3, first 2 shown]
	v_cmp_eq_u32_e32 vcc, 7, v50
	ds_read_b32 v57, v55
	v_cndmask_b32_e32 v56, v56, v21, vcc
	v_cmp_eq_u32_e32 vcc, 8, v50
	v_cndmask_b32_e32 v56, v56, v22, vcc
	v_cmp_eq_u32_e32 vcc, 9, v50
	;; [unrolled: 2-line block ×4, first 2 shown]
	v_add_co_u32_e64 v50, s[0:1], 1, v50
	v_cndmask_b32_e32 v56, v56, v25, vcc
	v_add_u32_e32 v55, 4, v55
	v_addc_co_u32_e64 v51, s[0:1], 0, v51, s[0:1]
	s_waitcnt lgkmcnt(0)
	v_fmac_f32_e32 v54, v56, v57
	s_andn2_b64 exec, exec, s[10:11]
	s_cbranch_execnz .LBB11_77
; %bb.78:
	s_or_b64 exec, exec, s[10:11]
.LBB11_79:
	s_or_b64 exec, exec, s[8:9]
.LBB11_80:
	s_or_b64 exec, exec, s[6:7]
	v_mov_b32_e32 v19, 0
	ds_read_b32 v19, v19 offset:20
	s_waitcnt lgkmcnt(0)
	v_mul_f32_e32 v19, v54, v19
.LBB11_81:
	s_or_b64 exec, exec, s[4:5]
	v_cmp_lt_u32_e64 s[0:1], 4, v0
	ds_write_b32 v53, v18
	s_waitcnt lgkmcnt(0)
	; wave barrier
	s_waitcnt lgkmcnt(0)
	s_and_saveexec_b64 s[4:5], s[0:1]
	s_cbranch_execz .LBB11_97
; %bb.82:
	s_andn2_b64 vcc, exec, s[26:27]
	s_cbranch_vccnz .LBB11_84
; %bb.83:
	v_cmp_eq_u32_e32 vcc, 1, v0
	v_cndmask_b32_e32 v50, v14, v15, vcc
	v_cmp_eq_u32_e32 vcc, 2, v0
	v_cndmask_b32_e32 v50, v50, v16, vcc
	;; [unrolled: 2-line block ×7, first 2 shown]
	v_cmp_eq_u32_e32 vcc, 8, v0
	ds_read_b32 v51, v53
	v_cndmask_b32_e32 v50, v50, v22, vcc
	v_cmp_eq_u32_e32 vcc, 9, v0
	v_cndmask_b32_e32 v50, v50, v23, vcc
	v_cmp_eq_u32_e32 vcc, 10, v0
	;; [unrolled: 2-line block ×3, first 2 shown]
	v_cndmask_b32_e32 v50, v50, v25, vcc
	s_waitcnt lgkmcnt(0)
	v_mul_f32_e32 v54, v50, v51
	s_cbranch_execz .LBB11_85
	s_branch .LBB11_86
.LBB11_84:
                                        ; implicit-def: $vgpr54
.LBB11_85:
	ds_read_b32 v54, v53
.LBB11_86:
	s_and_saveexec_b64 s[6:7], s[2:3]
	s_cbranch_execz .LBB11_96
; %bb.87:
	v_add_u32_e32 v50, -6, v0
	v_add_u32_e32 v51, -5, v0
	v_cmp_lt_u32_e32 vcc, 6, v50
	v_mov_b32_e32 v50, 5
	s_and_saveexec_b64 s[2:3], vcc
	s_cbranch_execz .LBB11_91
; %bb.88:
	v_and_b32_e32 v50, -8, v51
	v_sub_u32_e32 v52, 0, v50
	s_mov_b64 s[8:9], 12
	s_movk_i32 s12, 0x44
	s_mov_b64 s[10:11], 0
.LBB11_89:                              ; =>This Inner Loop Header: Depth=1
	s_add_i32 s13, s8, -7
	v_mov_b32_e32 v55, s12
	s_set_gpr_idx_on s13, gpr_idx(SRC0)
	v_mov_b32_e32 v50, v14
	s_set_gpr_idx_off
	ds_read2_b32 v[56:57], v55 offset1:1
	s_add_i32 s13, s8, -6
	s_waitcnt lgkmcnt(0)
	v_fmac_f32_e32 v54, v50, v56
	s_set_gpr_idx_on s13, gpr_idx(SRC0)
	v_mov_b32_e32 v50, v14
	s_set_gpr_idx_off
	s_add_i32 s13, s8, -5
	v_fmac_f32_e32 v54, v50, v57
	s_set_gpr_idx_on s13, gpr_idx(SRC0)
	v_mov_b32_e32 v50, v14
	s_set_gpr_idx_off
	ds_read2_b32 v[56:57], v55 offset0:2 offset1:3
	s_add_i32 s13, s8, -4
	s_waitcnt lgkmcnt(0)
	v_fmac_f32_e32 v54, v50, v56
	s_set_gpr_idx_on s13, gpr_idx(SRC0)
	v_mov_b32_e32 v50, v14
	s_set_gpr_idx_off
	s_add_i32 s13, s8, -3
	v_fmac_f32_e32 v54, v50, v57
	s_set_gpr_idx_on s13, gpr_idx(SRC0)
	v_mov_b32_e32 v50, v14
	s_set_gpr_idx_off
	ds_read2_b32 v[56:57], v55 offset0:4 offset1:5
	;; [unrolled: 12-line block ×3, first 2 shown]
	s_waitcnt lgkmcnt(0)
	v_fmac_f32_e32 v54, v50, v56
	s_set_gpr_idx_on s8, gpr_idx(SRC0)
	v_mov_b32_e32 v50, v14
	s_set_gpr_idx_off
	s_add_u32 s8, s8, 8
	v_fmac_f32_e32 v54, v50, v57
	v_add_u32_e32 v50, s8, v52
	s_addc_u32 s9, s9, 0
	s_add_i32 s12, s12, 32
	v_cmp_eq_u32_e32 vcc, 12, v50
	s_add_i32 s13, s8, -7
	s_or_b64 s[10:11], vcc, s[10:11]
	v_mov_b32_e32 v50, s13
	s_andn2_b64 exec, exec, s[10:11]
	s_cbranch_execnz .LBB11_89
; %bb.90:
	s_or_b64 exec, exec, s[10:11]
.LBB11_91:
	s_or_b64 exec, exec, s[2:3]
	v_and_b32_e32 v52, 7, v51
	v_cmp_ne_u32_e32 vcc, 0, v52
	s_and_saveexec_b64 s[8:9], vcc
	s_cbranch_execz .LBB11_95
; %bb.92:
	v_lshl_add_u32 v55, v50, 2, 48
	v_mov_b32_e32 v51, 0
	s_mov_b64 s[10:11], 0
.LBB11_93:                              ; =>This Inner Loop Header: Depth=1
	v_cmp_eq_u32_e32 vcc, 1, v50
	v_cndmask_b32_e32 v56, v14, v15, vcc
	v_add_u32_e32 v52, -1, v52
	v_cmp_eq_u32_e32 vcc, 2, v50
	v_cndmask_b32_e32 v56, v56, v16, vcc
	v_cmp_eq_u32_e32 vcc, 0, v52
	v_cmp_eq_u32_e64 s[2:3], 3, v50
	v_cndmask_b32_e64 v56, v56, v17, s[2:3]
	s_or_b64 s[10:11], vcc, s[10:11]
	v_cmp_eq_u32_e32 vcc, 4, v50
	v_cndmask_b32_e32 v56, v56, v18, vcc
	v_cmp_eq_u32_e32 vcc, 5, v50
	v_cndmask_b32_e32 v56, v56, v19, vcc
	;; [unrolled: 2-line block ×3, first 2 shown]
	v_cmp_eq_u32_e32 vcc, 7, v50
	ds_read_b32 v57, v55
	v_cndmask_b32_e32 v56, v56, v21, vcc
	v_cmp_eq_u32_e32 vcc, 8, v50
	v_cndmask_b32_e32 v56, v56, v22, vcc
	v_cmp_eq_u32_e32 vcc, 9, v50
	;; [unrolled: 2-line block ×4, first 2 shown]
	v_add_co_u32_e64 v50, s[2:3], 1, v50
	v_cndmask_b32_e32 v56, v56, v25, vcc
	v_add_u32_e32 v55, 4, v55
	v_addc_co_u32_e64 v51, s[2:3], 0, v51, s[2:3]
	s_waitcnt lgkmcnt(0)
	v_fmac_f32_e32 v54, v56, v57
	s_andn2_b64 exec, exec, s[10:11]
	s_cbranch_execnz .LBB11_93
; %bb.94:
	s_or_b64 exec, exec, s[10:11]
.LBB11_95:
	s_or_b64 exec, exec, s[8:9]
.LBB11_96:
	s_or_b64 exec, exec, s[6:7]
	v_mov_b32_e32 v18, 0
	ds_read_b32 v18, v18 offset:16
	s_waitcnt lgkmcnt(0)
	v_mul_f32_e32 v18, v54, v18
.LBB11_97:
	s_or_b64 exec, exec, s[4:5]
	v_cmp_lt_u32_e64 s[2:3], 3, v0
	ds_write_b32 v53, v17
	s_waitcnt lgkmcnt(0)
	; wave barrier
	s_waitcnt lgkmcnt(0)
	s_and_saveexec_b64 s[4:5], s[2:3]
	s_cbranch_execz .LBB11_113
; %bb.98:
	s_andn2_b64 vcc, exec, s[26:27]
	s_cbranch_vccnz .LBB11_100
; %bb.99:
	v_cmp_eq_u32_e32 vcc, 1, v0
	v_cndmask_b32_e32 v50, v14, v15, vcc
	v_cmp_eq_u32_e32 vcc, 2, v0
	v_cndmask_b32_e32 v50, v50, v16, vcc
	;; [unrolled: 2-line block ×7, first 2 shown]
	v_cmp_eq_u32_e32 vcc, 8, v0
	ds_read_b32 v51, v53
	v_cndmask_b32_e32 v50, v50, v22, vcc
	v_cmp_eq_u32_e32 vcc, 9, v0
	v_cndmask_b32_e32 v50, v50, v23, vcc
	v_cmp_eq_u32_e32 vcc, 10, v0
	;; [unrolled: 2-line block ×3, first 2 shown]
	v_cndmask_b32_e32 v50, v50, v25, vcc
	s_waitcnt lgkmcnt(0)
	v_mul_f32_e32 v54, v50, v51
	s_cbranch_execz .LBB11_101
	s_branch .LBB11_102
.LBB11_100:
                                        ; implicit-def: $vgpr54
.LBB11_101:
	ds_read_b32 v54, v53
.LBB11_102:
	s_and_saveexec_b64 s[6:7], s[0:1]
	s_cbranch_execz .LBB11_112
; %bb.103:
	v_add_u32_e32 v50, -5, v0
	v_add_u32_e32 v51, -4, v0
	v_cmp_lt_u32_e32 vcc, 6, v50
	v_mov_b32_e32 v50, 4
	s_and_saveexec_b64 s[0:1], vcc
	s_cbranch_execz .LBB11_107
; %bb.104:
	v_and_b32_e32 v50, -8, v51
	v_sub_u32_e32 v52, 0, v50
	s_mov_b64 s[8:9], 5
	s_mov_b32 s12, 64
	s_mov_b64 s[10:11], 0
.LBB11_105:                             ; =>This Inner Loop Header: Depth=1
	s_add_i32 s13, s8, -1
	v_mov_b32_e32 v55, s12
	s_set_gpr_idx_on s13, gpr_idx(SRC0)
	v_mov_b32_e32 v50, v14
	s_set_gpr_idx_off
	ds_read_b128 v[56:59], v55
	ds_read_b128 v[60:63], v55 offset:16
	s_add_i32 s13, s8, 1
	s_waitcnt lgkmcnt(1)
	v_fmac_f32_e32 v54, v50, v56
	s_set_gpr_idx_on s8, gpr_idx(SRC0)
	v_mov_b32_e32 v50, v14
	s_set_gpr_idx_off
	v_fmac_f32_e32 v54, v50, v57
	s_set_gpr_idx_on s13, gpr_idx(SRC0)
	v_mov_b32_e32 v50, v14
	s_set_gpr_idx_off
	s_add_i32 s13, s8, 2
	v_fmac_f32_e32 v54, v50, v58
	s_set_gpr_idx_on s13, gpr_idx(SRC0)
	v_mov_b32_e32 v50, v14
	s_set_gpr_idx_off
	s_add_i32 s13, s8, 3
	;; [unrolled: 5-line block ×3, first 2 shown]
	s_waitcnt lgkmcnt(0)
	v_fmac_f32_e32 v54, v50, v60
	s_set_gpr_idx_on s13, gpr_idx(SRC0)
	v_mov_b32_e32 v50, v14
	s_set_gpr_idx_off
	s_add_i32 s13, s8, 5
	v_fmac_f32_e32 v54, v50, v61
	s_set_gpr_idx_on s13, gpr_idx(SRC0)
	v_mov_b32_e32 v50, v14
	s_set_gpr_idx_off
	s_add_i32 s13, s8, 6
	v_fmac_f32_e32 v54, v50, v62
	s_set_gpr_idx_on s13, gpr_idx(SRC0)
	v_mov_b32_e32 v50, v14
	s_set_gpr_idx_off
	s_add_u32 s8, s8, 8
	v_fmac_f32_e32 v54, v50, v63
	v_add_u32_e32 v50, s8, v52
	s_addc_u32 s9, s9, 0
	s_add_i32 s12, s12, 32
	v_cmp_eq_u32_e32 vcc, 5, v50
	s_add_i32 s13, s8, -1
	s_or_b64 s[10:11], vcc, s[10:11]
	v_mov_b32_e32 v50, s13
	s_andn2_b64 exec, exec, s[10:11]
	s_cbranch_execnz .LBB11_105
; %bb.106:
	s_or_b64 exec, exec, s[10:11]
.LBB11_107:
	s_or_b64 exec, exec, s[0:1]
	v_and_b32_e32 v52, 7, v51
	v_cmp_ne_u32_e32 vcc, 0, v52
	s_and_saveexec_b64 s[8:9], vcc
	s_cbranch_execz .LBB11_111
; %bb.108:
	v_lshl_add_u32 v55, v50, 2, 48
	v_mov_b32_e32 v51, 0
	s_mov_b64 s[10:11], 0
.LBB11_109:                             ; =>This Inner Loop Header: Depth=1
	v_cmp_eq_u32_e32 vcc, 1, v50
	v_cndmask_b32_e32 v56, v14, v15, vcc
	v_add_u32_e32 v52, -1, v52
	v_cmp_eq_u32_e32 vcc, 2, v50
	v_cndmask_b32_e32 v56, v56, v16, vcc
	v_cmp_eq_u32_e32 vcc, 0, v52
	v_cmp_eq_u32_e64 s[0:1], 3, v50
	v_cndmask_b32_e64 v56, v56, v17, s[0:1]
	s_or_b64 s[10:11], vcc, s[10:11]
	v_cmp_eq_u32_e32 vcc, 4, v50
	v_cndmask_b32_e32 v56, v56, v18, vcc
	v_cmp_eq_u32_e32 vcc, 5, v50
	v_cndmask_b32_e32 v56, v56, v19, vcc
	;; [unrolled: 2-line block ×3, first 2 shown]
	v_cmp_eq_u32_e32 vcc, 7, v50
	ds_read_b32 v57, v55
	v_cndmask_b32_e32 v56, v56, v21, vcc
	v_cmp_eq_u32_e32 vcc, 8, v50
	v_cndmask_b32_e32 v56, v56, v22, vcc
	v_cmp_eq_u32_e32 vcc, 9, v50
	;; [unrolled: 2-line block ×4, first 2 shown]
	v_add_co_u32_e64 v50, s[0:1], 1, v50
	v_cndmask_b32_e32 v56, v56, v25, vcc
	v_add_u32_e32 v55, 4, v55
	v_addc_co_u32_e64 v51, s[0:1], 0, v51, s[0:1]
	s_waitcnt lgkmcnt(0)
	v_fmac_f32_e32 v54, v56, v57
	s_andn2_b64 exec, exec, s[10:11]
	s_cbranch_execnz .LBB11_109
; %bb.110:
	s_or_b64 exec, exec, s[10:11]
.LBB11_111:
	s_or_b64 exec, exec, s[8:9]
.LBB11_112:
	s_or_b64 exec, exec, s[6:7]
	v_mov_b32_e32 v17, 0
	ds_read_b32 v17, v17 offset:12
	s_waitcnt lgkmcnt(0)
	v_mul_f32_e32 v17, v54, v17
.LBB11_113:
	s_or_b64 exec, exec, s[4:5]
	v_cmp_lt_u32_e64 s[0:1], 2, v0
	ds_write_b32 v53, v16
	s_waitcnt lgkmcnt(0)
	; wave barrier
	s_waitcnt lgkmcnt(0)
	s_and_saveexec_b64 s[4:5], s[0:1]
	s_cbranch_execz .LBB11_129
; %bb.114:
	s_andn2_b64 vcc, exec, s[26:27]
	s_cbranch_vccnz .LBB11_116
; %bb.115:
	v_cmp_eq_u32_e32 vcc, 1, v0
	v_cndmask_b32_e32 v50, v14, v15, vcc
	v_cmp_eq_u32_e32 vcc, 2, v0
	v_cndmask_b32_e32 v50, v50, v16, vcc
	;; [unrolled: 2-line block ×7, first 2 shown]
	v_cmp_eq_u32_e32 vcc, 8, v0
	ds_read_b32 v51, v53
	v_cndmask_b32_e32 v50, v50, v22, vcc
	v_cmp_eq_u32_e32 vcc, 9, v0
	v_cndmask_b32_e32 v50, v50, v23, vcc
	v_cmp_eq_u32_e32 vcc, 10, v0
	;; [unrolled: 2-line block ×3, first 2 shown]
	v_cndmask_b32_e32 v50, v50, v25, vcc
	s_waitcnt lgkmcnt(0)
	v_mul_f32_e32 v54, v50, v51
	s_cbranch_execz .LBB11_117
	s_branch .LBB11_118
.LBB11_116:
                                        ; implicit-def: $vgpr54
.LBB11_117:
	ds_read_b32 v54, v53
.LBB11_118:
	s_and_saveexec_b64 s[6:7], s[2:3]
	s_cbranch_execz .LBB11_128
; %bb.119:
	v_add_u32_e32 v50, -4, v0
	v_add_u32_e32 v51, -3, v0
	v_cmp_lt_u32_e32 vcc, 6, v50
	v_mov_b32_e32 v50, 3
	s_and_saveexec_b64 s[2:3], vcc
	s_cbranch_execz .LBB11_123
; %bb.120:
	v_and_b32_e32 v50, -8, v51
	v_sub_u32_e32 v52, 0, v50
	s_mov_b64 s[8:9], 10
	s_mov_b32 s12, 60
	s_mov_b64 s[10:11], 0
.LBB11_121:                             ; =>This Inner Loop Header: Depth=1
	s_add_i32 s13, s8, -7
	v_mov_b32_e32 v55, s12
	s_set_gpr_idx_on s13, gpr_idx(SRC0)
	v_mov_b32_e32 v50, v14
	s_set_gpr_idx_off
	ds_read2_b32 v[56:57], v55 offset1:1
	s_add_i32 s13, s8, -6
	s_waitcnt lgkmcnt(0)
	v_fmac_f32_e32 v54, v50, v56
	s_set_gpr_idx_on s13, gpr_idx(SRC0)
	v_mov_b32_e32 v50, v14
	s_set_gpr_idx_off
	s_add_i32 s13, s8, -5
	v_fmac_f32_e32 v54, v50, v57
	s_set_gpr_idx_on s13, gpr_idx(SRC0)
	v_mov_b32_e32 v50, v14
	s_set_gpr_idx_off
	ds_read2_b32 v[56:57], v55 offset0:2 offset1:3
	s_add_i32 s13, s8, -4
	s_waitcnt lgkmcnt(0)
	v_fmac_f32_e32 v54, v50, v56
	s_set_gpr_idx_on s13, gpr_idx(SRC0)
	v_mov_b32_e32 v50, v14
	s_set_gpr_idx_off
	s_add_i32 s13, s8, -3
	v_fmac_f32_e32 v54, v50, v57
	s_set_gpr_idx_on s13, gpr_idx(SRC0)
	v_mov_b32_e32 v50, v14
	s_set_gpr_idx_off
	ds_read2_b32 v[56:57], v55 offset0:4 offset1:5
	s_add_i32 s13, s8, -2
	s_waitcnt lgkmcnt(0)
	v_fmac_f32_e32 v54, v50, v56
	s_set_gpr_idx_on s13, gpr_idx(SRC0)
	v_mov_b32_e32 v50, v14
	s_set_gpr_idx_off
	s_add_i32 s13, s8, -1
	v_fmac_f32_e32 v54, v50, v57
	s_set_gpr_idx_on s13, gpr_idx(SRC0)
	v_mov_b32_e32 v50, v14
	s_set_gpr_idx_off
	ds_read2_b32 v[56:57], v55 offset0:6 offset1:7
	s_waitcnt lgkmcnt(0)
	v_fmac_f32_e32 v54, v50, v56
	s_set_gpr_idx_on s8, gpr_idx(SRC0)
	v_mov_b32_e32 v50, v14
	s_set_gpr_idx_off
	s_add_u32 s8, s8, 8
	v_fmac_f32_e32 v54, v50, v57
	v_add_u32_e32 v50, s8, v52
	s_addc_u32 s9, s9, 0
	s_add_i32 s12, s12, 32
	v_cmp_eq_u32_e32 vcc, 10, v50
	s_add_i32 s13, s8, -7
	s_or_b64 s[10:11], vcc, s[10:11]
	v_mov_b32_e32 v50, s13
	s_andn2_b64 exec, exec, s[10:11]
	s_cbranch_execnz .LBB11_121
; %bb.122:
	s_or_b64 exec, exec, s[10:11]
.LBB11_123:
	s_or_b64 exec, exec, s[2:3]
	v_and_b32_e32 v52, 7, v51
	v_cmp_ne_u32_e32 vcc, 0, v52
	s_and_saveexec_b64 s[8:9], vcc
	s_cbranch_execz .LBB11_127
; %bb.124:
	v_lshl_add_u32 v55, v50, 2, 48
	v_mov_b32_e32 v51, 0
	s_mov_b64 s[10:11], 0
.LBB11_125:                             ; =>This Inner Loop Header: Depth=1
	v_cmp_eq_u32_e32 vcc, 1, v50
	v_cndmask_b32_e32 v56, v14, v15, vcc
	v_add_u32_e32 v52, -1, v52
	v_cmp_eq_u32_e32 vcc, 2, v50
	v_cndmask_b32_e32 v56, v56, v16, vcc
	v_cmp_eq_u32_e32 vcc, 0, v52
	v_cmp_eq_u32_e64 s[2:3], 3, v50
	v_cndmask_b32_e64 v56, v56, v17, s[2:3]
	s_or_b64 s[10:11], vcc, s[10:11]
	v_cmp_eq_u32_e32 vcc, 4, v50
	v_cndmask_b32_e32 v56, v56, v18, vcc
	v_cmp_eq_u32_e32 vcc, 5, v50
	v_cndmask_b32_e32 v56, v56, v19, vcc
	v_cmp_eq_u32_e32 vcc, 6, v50
	v_cndmask_b32_e32 v56, v56, v20, vcc
	v_cmp_eq_u32_e32 vcc, 7, v50
	ds_read_b32 v57, v55
	v_cndmask_b32_e32 v56, v56, v21, vcc
	v_cmp_eq_u32_e32 vcc, 8, v50
	v_cndmask_b32_e32 v56, v56, v22, vcc
	v_cmp_eq_u32_e32 vcc, 9, v50
	;; [unrolled: 2-line block ×4, first 2 shown]
	v_add_co_u32_e64 v50, s[2:3], 1, v50
	v_cndmask_b32_e32 v56, v56, v25, vcc
	v_add_u32_e32 v55, 4, v55
	v_addc_co_u32_e64 v51, s[2:3], 0, v51, s[2:3]
	s_waitcnt lgkmcnt(0)
	v_fmac_f32_e32 v54, v56, v57
	s_andn2_b64 exec, exec, s[10:11]
	s_cbranch_execnz .LBB11_125
; %bb.126:
	s_or_b64 exec, exec, s[10:11]
.LBB11_127:
	s_or_b64 exec, exec, s[8:9]
.LBB11_128:
	s_or_b64 exec, exec, s[6:7]
	v_mov_b32_e32 v16, 0
	ds_read_b32 v16, v16 offset:8
	s_waitcnt lgkmcnt(0)
	v_mul_f32_e32 v16, v54, v16
.LBB11_129:
	s_or_b64 exec, exec, s[4:5]
	v_cmp_lt_u32_e64 s[2:3], 1, v0
	ds_write_b32 v53, v15
	s_waitcnt lgkmcnt(0)
	; wave barrier
	s_waitcnt lgkmcnt(0)
	s_and_saveexec_b64 s[4:5], s[2:3]
	s_cbranch_execz .LBB11_145
; %bb.130:
	s_andn2_b64 vcc, exec, s[26:27]
	s_cbranch_vccnz .LBB11_132
; %bb.131:
	v_cmp_eq_u32_e32 vcc, 1, v0
	v_cndmask_b32_e32 v50, v14, v15, vcc
	v_cmp_eq_u32_e32 vcc, 2, v0
	v_cndmask_b32_e32 v50, v50, v16, vcc
	;; [unrolled: 2-line block ×7, first 2 shown]
	v_cmp_eq_u32_e32 vcc, 8, v0
	ds_read_b32 v51, v53
	v_cndmask_b32_e32 v50, v50, v22, vcc
	v_cmp_eq_u32_e32 vcc, 9, v0
	v_cndmask_b32_e32 v50, v50, v23, vcc
	v_cmp_eq_u32_e32 vcc, 10, v0
	;; [unrolled: 2-line block ×3, first 2 shown]
	v_cndmask_b32_e32 v50, v50, v25, vcc
	s_waitcnt lgkmcnt(0)
	v_mul_f32_e32 v54, v50, v51
	s_cbranch_execz .LBB11_133
	s_branch .LBB11_134
.LBB11_132:
                                        ; implicit-def: $vgpr54
.LBB11_133:
	ds_read_b32 v54, v53
.LBB11_134:
	s_and_saveexec_b64 s[6:7], s[0:1]
	s_cbranch_execz .LBB11_144
; %bb.135:
	v_add_u32_e32 v50, -3, v0
	v_add_u32_e32 v51, -2, v0
	v_cmp_lt_u32_e32 vcc, 6, v50
	v_mov_b32_e32 v50, 2
	s_and_saveexec_b64 s[0:1], vcc
	s_cbranch_execz .LBB11_139
; %bb.136:
	v_and_b32_e32 v50, -8, v51
	v_sub_u32_e32 v52, 0, v50
	s_mov_b64 s[8:9], 9
	s_mov_b32 s12, 56
	s_mov_b64 s[10:11], 0
.LBB11_137:                             ; =>This Inner Loop Header: Depth=1
	s_add_i32 s13, s8, -7
	v_mov_b32_e32 v55, s12
	s_set_gpr_idx_on s13, gpr_idx(SRC0)
	v_mov_b32_e32 v50, v14
	s_set_gpr_idx_off
	ds_read2_b64 v[56:59], v55 offset1:1
	s_add_i32 s13, s8, -6
	s_waitcnt lgkmcnt(0)
	v_fmac_f32_e32 v54, v50, v56
	s_set_gpr_idx_on s13, gpr_idx(SRC0)
	v_mov_b32_e32 v50, v14
	s_set_gpr_idx_off
	s_add_i32 s13, s8, -5
	v_fmac_f32_e32 v54, v50, v57
	s_set_gpr_idx_on s13, gpr_idx(SRC0)
	v_mov_b32_e32 v50, v14
	s_set_gpr_idx_off
	s_add_i32 s13, s8, -4
	;; [unrolled: 5-line block ×3, first 2 shown]
	v_fmac_f32_e32 v54, v50, v59
	s_set_gpr_idx_on s13, gpr_idx(SRC0)
	v_mov_b32_e32 v50, v14
	s_set_gpr_idx_off
	ds_read2_b64 v[56:59], v55 offset0:2 offset1:3
	s_add_i32 s13, s8, -2
	s_waitcnt lgkmcnt(0)
	v_fmac_f32_e32 v54, v50, v56
	s_set_gpr_idx_on s13, gpr_idx(SRC0)
	v_mov_b32_e32 v50, v14
	s_set_gpr_idx_off
	s_add_i32 s13, s8, -1
	v_fmac_f32_e32 v54, v50, v57
	s_set_gpr_idx_on s13, gpr_idx(SRC0)
	v_mov_b32_e32 v50, v14
	s_set_gpr_idx_off
	v_fmac_f32_e32 v54, v50, v58
	s_set_gpr_idx_on s8, gpr_idx(SRC0)
	v_mov_b32_e32 v50, v14
	s_set_gpr_idx_off
	s_add_u32 s8, s8, 8
	v_fmac_f32_e32 v54, v50, v59
	v_add_u32_e32 v50, s8, v52
	s_addc_u32 s9, s9, 0
	s_add_i32 s12, s12, 32
	v_cmp_eq_u32_e32 vcc, 9, v50
	s_add_i32 s13, s8, -7
	s_or_b64 s[10:11], vcc, s[10:11]
	v_mov_b32_e32 v50, s13
	s_andn2_b64 exec, exec, s[10:11]
	s_cbranch_execnz .LBB11_137
; %bb.138:
	s_or_b64 exec, exec, s[10:11]
.LBB11_139:
	s_or_b64 exec, exec, s[0:1]
	v_and_b32_e32 v52, 7, v51
	v_cmp_ne_u32_e32 vcc, 0, v52
	s_and_saveexec_b64 s[8:9], vcc
	s_cbranch_execz .LBB11_143
; %bb.140:
	v_lshl_add_u32 v55, v50, 2, 48
	v_mov_b32_e32 v51, 0
	s_mov_b64 s[10:11], 0
.LBB11_141:                             ; =>This Inner Loop Header: Depth=1
	v_cmp_eq_u32_e32 vcc, 1, v50
	v_cndmask_b32_e32 v56, v14, v15, vcc
	v_add_u32_e32 v52, -1, v52
	v_cmp_eq_u32_e32 vcc, 2, v50
	v_cndmask_b32_e32 v56, v56, v16, vcc
	v_cmp_eq_u32_e32 vcc, 0, v52
	v_cmp_eq_u32_e64 s[0:1], 3, v50
	v_cndmask_b32_e64 v56, v56, v17, s[0:1]
	s_or_b64 s[10:11], vcc, s[10:11]
	v_cmp_eq_u32_e32 vcc, 4, v50
	v_cndmask_b32_e32 v56, v56, v18, vcc
	v_cmp_eq_u32_e32 vcc, 5, v50
	v_cndmask_b32_e32 v56, v56, v19, vcc
	;; [unrolled: 2-line block ×3, first 2 shown]
	v_cmp_eq_u32_e32 vcc, 7, v50
	ds_read_b32 v57, v55
	v_cndmask_b32_e32 v56, v56, v21, vcc
	v_cmp_eq_u32_e32 vcc, 8, v50
	v_cndmask_b32_e32 v56, v56, v22, vcc
	v_cmp_eq_u32_e32 vcc, 9, v50
	;; [unrolled: 2-line block ×4, first 2 shown]
	v_add_co_u32_e64 v50, s[0:1], 1, v50
	v_cndmask_b32_e32 v56, v56, v25, vcc
	v_add_u32_e32 v55, 4, v55
	v_addc_co_u32_e64 v51, s[0:1], 0, v51, s[0:1]
	s_waitcnt lgkmcnt(0)
	v_fmac_f32_e32 v54, v56, v57
	s_andn2_b64 exec, exec, s[10:11]
	s_cbranch_execnz .LBB11_141
; %bb.142:
	s_or_b64 exec, exec, s[10:11]
.LBB11_143:
	s_or_b64 exec, exec, s[8:9]
.LBB11_144:
	s_or_b64 exec, exec, s[6:7]
	v_mov_b32_e32 v15, 0
	ds_read_b32 v15, v15 offset:4
	s_waitcnt lgkmcnt(0)
	v_mul_f32_e32 v15, v54, v15
.LBB11_145:
	s_or_b64 exec, exec, s[4:5]
	v_cmp_ne_u32_e32 vcc, 0, v0
	ds_write_b32 v53, v14
	s_waitcnt lgkmcnt(0)
	; wave barrier
	s_waitcnt lgkmcnt(0)
	s_and_saveexec_b64 s[4:5], vcc
	s_cbranch_execz .LBB11_161
; %bb.146:
	s_andn2_b64 vcc, exec, s[26:27]
	s_cbranch_vccnz .LBB11_148
; %bb.147:
	v_cmp_eq_u32_e32 vcc, 1, v0
	v_cndmask_b32_e32 v50, v14, v15, vcc
	v_cmp_eq_u32_e32 vcc, 2, v0
	v_cndmask_b32_e32 v50, v50, v16, vcc
	;; [unrolled: 2-line block ×7, first 2 shown]
	v_cmp_eq_u32_e32 vcc, 8, v0
	ds_read_b32 v51, v53
	v_cndmask_b32_e32 v50, v50, v22, vcc
	v_cmp_eq_u32_e32 vcc, 9, v0
	v_cndmask_b32_e32 v50, v50, v23, vcc
	v_cmp_eq_u32_e32 vcc, 10, v0
	;; [unrolled: 2-line block ×3, first 2 shown]
	v_cndmask_b32_e32 v50, v50, v25, vcc
	s_waitcnt lgkmcnt(0)
	v_mul_f32_e32 v54, v50, v51
	s_cbranch_execz .LBB11_149
	s_branch .LBB11_150
.LBB11_148:
                                        ; implicit-def: $vgpr54
.LBB11_149:
	ds_read_b32 v54, v53
.LBB11_150:
	s_and_saveexec_b64 s[6:7], s[2:3]
	s_cbranch_execz .LBB11_160
; %bb.151:
	v_add_u32_e32 v50, -2, v0
	v_add_u32_e32 v51, -1, v0
	v_cmp_lt_u32_e32 vcc, 6, v50
	v_mov_b32_e32 v50, 1
	s_and_saveexec_b64 s[0:1], vcc
	s_cbranch_execz .LBB11_155
; %bb.152:
	v_and_b32_e32 v50, -8, v51
	v_sub_u32_e32 v52, 0, v50
	s_mov_b64 s[2:3], 8
	s_mov_b32 s10, 52
	s_mov_b64 s[8:9], 0
.LBB11_153:                             ; =>This Inner Loop Header: Depth=1
	s_add_i32 s11, s2, -7
	v_mov_b32_e32 v55, s10
	s_set_gpr_idx_on s11, gpr_idx(SRC0)
	v_mov_b32_e32 v50, v14
	s_set_gpr_idx_off
	ds_read2_b32 v[56:57], v55 offset1:1
	s_add_i32 s11, s2, -6
	s_waitcnt lgkmcnt(0)
	v_fmac_f32_e32 v54, v50, v56
	s_set_gpr_idx_on s11, gpr_idx(SRC0)
	v_mov_b32_e32 v50, v14
	s_set_gpr_idx_off
	s_add_i32 s11, s2, -5
	v_fmac_f32_e32 v54, v50, v57
	s_set_gpr_idx_on s11, gpr_idx(SRC0)
	v_mov_b32_e32 v50, v14
	s_set_gpr_idx_off
	ds_read2_b32 v[56:57], v55 offset0:2 offset1:3
	s_add_i32 s11, s2, -4
	s_waitcnt lgkmcnt(0)
	v_fmac_f32_e32 v54, v50, v56
	s_set_gpr_idx_on s11, gpr_idx(SRC0)
	v_mov_b32_e32 v50, v14
	s_set_gpr_idx_off
	s_add_i32 s11, s2, -3
	v_fmac_f32_e32 v54, v50, v57
	s_set_gpr_idx_on s11, gpr_idx(SRC0)
	v_mov_b32_e32 v50, v14
	s_set_gpr_idx_off
	ds_read2_b32 v[56:57], v55 offset0:4 offset1:5
	;; [unrolled: 12-line block ×3, first 2 shown]
	s_waitcnt lgkmcnt(0)
	v_fmac_f32_e32 v54, v50, v56
	s_set_gpr_idx_on s2, gpr_idx(SRC0)
	v_mov_b32_e32 v50, v14
	s_set_gpr_idx_off
	s_add_u32 s2, s2, 8
	v_fmac_f32_e32 v54, v50, v57
	v_add_u32_e32 v50, s2, v52
	s_addc_u32 s3, s3, 0
	s_add_i32 s10, s10, 32
	v_cmp_eq_u32_e32 vcc, 8, v50
	s_add_i32 s11, s2, -7
	s_or_b64 s[8:9], vcc, s[8:9]
	v_mov_b32_e32 v50, s11
	s_andn2_b64 exec, exec, s[8:9]
	s_cbranch_execnz .LBB11_153
; %bb.154:
	s_or_b64 exec, exec, s[8:9]
.LBB11_155:
	s_or_b64 exec, exec, s[0:1]
	v_and_b32_e32 v52, 7, v51
	v_cmp_ne_u32_e32 vcc, 0, v52
	s_and_saveexec_b64 s[2:3], vcc
	s_cbranch_execz .LBB11_159
; %bb.156:
	v_lshl_add_u32 v55, v50, 2, 48
	v_mov_b32_e32 v51, 0
	s_mov_b64 s[8:9], 0
.LBB11_157:                             ; =>This Inner Loop Header: Depth=1
	v_cmp_eq_u32_e32 vcc, 1, v50
	v_cndmask_b32_e32 v56, v14, v15, vcc
	v_add_u32_e32 v52, -1, v52
	v_cmp_eq_u32_e32 vcc, 2, v50
	v_cndmask_b32_e32 v56, v56, v16, vcc
	v_cmp_eq_u32_e32 vcc, 0, v52
	v_cmp_eq_u32_e64 s[0:1], 3, v50
	v_cndmask_b32_e64 v56, v56, v17, s[0:1]
	s_or_b64 s[8:9], vcc, s[8:9]
	v_cmp_eq_u32_e32 vcc, 4, v50
	v_cndmask_b32_e32 v56, v56, v18, vcc
	v_cmp_eq_u32_e32 vcc, 5, v50
	v_cndmask_b32_e32 v56, v56, v19, vcc
	;; [unrolled: 2-line block ×3, first 2 shown]
	v_cmp_eq_u32_e32 vcc, 7, v50
	ds_read_b32 v57, v55
	v_cndmask_b32_e32 v56, v56, v21, vcc
	v_cmp_eq_u32_e32 vcc, 8, v50
	v_cndmask_b32_e32 v56, v56, v22, vcc
	v_cmp_eq_u32_e32 vcc, 9, v50
	;; [unrolled: 2-line block ×4, first 2 shown]
	v_add_co_u32_e64 v50, s[0:1], 1, v50
	v_cndmask_b32_e32 v56, v56, v25, vcc
	v_add_u32_e32 v55, 4, v55
	v_addc_co_u32_e64 v51, s[0:1], 0, v51, s[0:1]
	s_waitcnt lgkmcnt(0)
	v_fmac_f32_e32 v54, v56, v57
	s_andn2_b64 exec, exec, s[8:9]
	s_cbranch_execnz .LBB11_157
; %bb.158:
	s_or_b64 exec, exec, s[8:9]
.LBB11_159:
	s_or_b64 exec, exec, s[2:3]
.LBB11_160:
	s_or_b64 exec, exec, s[6:7]
	v_mov_b32_e32 v14, 0
	ds_read_b32 v14, v14
	s_waitcnt lgkmcnt(0)
	v_mul_f32_e32 v14, v54, v14
.LBB11_161:
	s_or_b64 exec, exec, s[4:5]
	s_branch .LBB11_277
.LBB11_162:
	v_cmp_eq_u32_e64 s[2:3], 0, v0
	s_waitcnt vmcnt(11)
	ds_write_b32 v53, v3
	s_waitcnt lgkmcnt(0)
	; wave barrier
	s_waitcnt lgkmcnt(0)
	s_and_saveexec_b64 s[0:1], s[2:3]
	s_cbranch_execz .LBB11_168
; %bb.163:
	s_and_b64 vcc, exec, s[26:27]
	s_cbranch_vccz .LBB11_165
; %bb.164:
	v_cmp_eq_u32_e32 vcc, 1, v0
	s_waitcnt vmcnt(1)
	v_cndmask_b32_e32 v3, v2, v3, vcc
	v_cmp_eq_u32_e32 vcc, 2, v0
	v_cndmask_b32_e32 v3, v3, v4, vcc
	v_cmp_eq_u32_e32 vcc, 3, v0
	;; [unrolled: 2-line block ×7, first 2 shown]
	ds_read_b32 v14, v53
	v_cndmask_b32_e32 v3, v3, v10, vcc
	v_cmp_eq_u32_e32 vcc, 9, v0
	v_cndmask_b32_e32 v3, v3, v11, vcc
	v_cmp_eq_u32_e32 vcc, 10, v0
	;; [unrolled: 2-line block ×3, first 2 shown]
	s_waitcnt vmcnt(0)
	v_cndmask_b32_e32 v3, v3, v13, vcc
	s_waitcnt lgkmcnt(0)
	v_mul_f32_e32 v3, v3, v14
	s_cbranch_execz .LBB11_166
	s_branch .LBB11_167
.LBB11_165:
                                        ; implicit-def: $vgpr3
.LBB11_166:
	ds_read_b32 v3, v53
.LBB11_167:
	v_mov_b32_e32 v14, 0
	ds_read_b32 v14, v14 offset:4
	s_waitcnt lgkmcnt(0)
	v_mul_f32_e32 v3, v3, v14
.LBB11_168:
	s_or_b64 exec, exec, s[0:1]
	v_cndmask_b32_e64 v14, 0, 1, s[26:27]
	v_add_u32_e32 v16, 1, v0
	v_cmp_gt_u32_e32 vcc, 2, v0
	v_cmp_ne_u32_e64 s[0:1], 1, v14
	s_waitcnt vmcnt(10)
	ds_write_b32 v53, v4
	s_waitcnt lgkmcnt(0)
	; wave barrier
	s_waitcnt lgkmcnt(0)
	s_and_saveexec_b64 s[4:5], vcc
	s_cbranch_execz .LBB11_176
; %bb.169:
	s_and_b64 vcc, exec, s[0:1]
	s_cbranch_vccnz .LBB11_171
; %bb.170:
	v_cmp_eq_u32_e32 vcc, 1, v0
	s_waitcnt vmcnt(1)
	v_cndmask_b32_e32 v14, v2, v3, vcc
	v_cmp_eq_u32_e32 vcc, 2, v0
	v_cndmask_b32_e32 v14, v14, v4, vcc
	v_cmp_eq_u32_e32 vcc, 3, v0
	;; [unrolled: 2-line block ×7, first 2 shown]
	ds_read_b32 v15, v53
	v_cndmask_b32_e32 v14, v14, v10, vcc
	v_cmp_eq_u32_e32 vcc, 9, v0
	v_cndmask_b32_e32 v14, v14, v11, vcc
	v_cmp_eq_u32_e32 vcc, 10, v0
	;; [unrolled: 2-line block ×3, first 2 shown]
	s_waitcnt vmcnt(0)
	v_cndmask_b32_e32 v14, v14, v13, vcc
	s_waitcnt lgkmcnt(0)
	v_mul_f32_e32 v14, v14, v15
	s_cbranch_execz .LBB11_172
	s_branch .LBB11_173
.LBB11_171:
                                        ; implicit-def: $vgpr14
.LBB11_172:
	ds_read_b32 v14, v53
.LBB11_173:
	s_and_saveexec_b64 s[6:7], s[2:3]
	s_cbranch_execz .LBB11_175
; %bb.174:
	v_cmp_eq_u32_e32 vcc, 1, v16
	s_waitcnt vmcnt(1)
	v_cndmask_b32_e32 v15, v2, v3, vcc
	v_cmp_eq_u32_e32 vcc, 2, v16
	v_cndmask_b32_e32 v4, v15, v4, vcc
	v_cmp_eq_u32_e32 vcc, 3, v16
	;; [unrolled: 2-line block ×7, first 2 shown]
	ds_read_b32 v15, v53 offset:4
	v_cndmask_b32_e32 v4, v4, v10, vcc
	v_cmp_eq_u32_e32 vcc, 9, v16
	v_cndmask_b32_e32 v4, v4, v11, vcc
	v_cmp_eq_u32_e32 vcc, 10, v16
	;; [unrolled: 2-line block ×3, first 2 shown]
	s_waitcnt vmcnt(0)
	v_cndmask_b32_e32 v4, v4, v13, vcc
	s_waitcnt lgkmcnt(0)
	v_fmac_f32_e32 v14, v4, v15
.LBB11_175:
	s_or_b64 exec, exec, s[6:7]
	v_mov_b32_e32 v4, 0
	ds_read_b32 v4, v4 offset:8
	s_waitcnt lgkmcnt(0)
	v_mul_f32_e32 v4, v14, v4
.LBB11_176:
	s_or_b64 exec, exec, s[4:5]
	v_cmp_gt_u32_e64 s[4:5], 3, v0
	s_waitcnt vmcnt(9)
	ds_write_b32 v53, v5
	s_waitcnt lgkmcnt(0)
	; wave barrier
	s_waitcnt lgkmcnt(0)
	s_and_saveexec_b64 s[6:7], s[4:5]
	s_cbranch_execz .LBB11_184
; %bb.177:
	s_and_b64 vcc, exec, s[0:1]
	s_cbranch_vccnz .LBB11_179
; %bb.178:
	v_cmp_eq_u32_e32 vcc, 1, v0
	s_waitcnt vmcnt(1)
	v_cndmask_b32_e32 v14, v2, v3, vcc
	v_cmp_eq_u32_e32 vcc, 2, v0
	v_cndmask_b32_e32 v14, v14, v4, vcc
	v_cmp_eq_u32_e32 vcc, 3, v0
	v_cndmask_b32_e32 v14, v14, v5, vcc
	v_cmp_eq_u32_e32 vcc, 4, v0
	v_cndmask_b32_e32 v14, v14, v6, vcc
	v_cmp_eq_u32_e32 vcc, 5, v0
	v_cndmask_b32_e32 v14, v14, v7, vcc
	v_cmp_eq_u32_e32 vcc, 6, v0
	v_cndmask_b32_e32 v14, v14, v8, vcc
	v_cmp_eq_u32_e32 vcc, 7, v0
	v_cndmask_b32_e32 v14, v14, v9, vcc
	v_cmp_eq_u32_e32 vcc, 8, v0
	ds_read_b32 v15, v53
	v_cndmask_b32_e32 v14, v14, v10, vcc
	v_cmp_eq_u32_e32 vcc, 9, v0
	v_cndmask_b32_e32 v14, v14, v11, vcc
	v_cmp_eq_u32_e32 vcc, 10, v0
	;; [unrolled: 2-line block ×3, first 2 shown]
	s_waitcnt vmcnt(0)
	v_cndmask_b32_e32 v14, v14, v13, vcc
	s_waitcnt lgkmcnt(0)
	v_mul_f32_e32 v14, v14, v15
	s_cbranch_execz .LBB11_180
	s_branch .LBB11_181
.LBB11_179:
                                        ; implicit-def: $vgpr14
.LBB11_180:
	ds_read_b32 v14, v53
.LBB11_181:
	v_cmp_ne_u32_e32 vcc, 2, v0
	s_and_saveexec_b64 s[8:9], vcc
	s_cbranch_execz .LBB11_183
; %bb.182:
	v_cmp_eq_u32_e32 vcc, 1, v16
	s_waitcnt vmcnt(1)
	v_cndmask_b32_e32 v15, v2, v3, vcc
	v_cmp_eq_u32_e32 vcc, 2, v16
	v_cndmask_b32_e32 v15, v15, v4, vcc
	v_cmp_eq_u32_e32 vcc, 3, v16
	;; [unrolled: 2-line block ×7, first 2 shown]
	v_mov_b32_e32 v15, 0
	v_cndmask_b32_e32 v5, v5, v10, vcc
	v_cmp_eq_u32_e32 vcc, 9, v16
	ds_read_b32 v17, v53 offset:4
	ds_read_b32 v15, v15 offset:56
	v_cndmask_b32_e32 v5, v5, v11, vcc
	v_cmp_eq_u32_e32 vcc, 10, v16
	v_cndmask_b32_e32 v5, v5, v12, vcc
	v_cmp_eq_u32_e32 vcc, 11, v16
	s_waitcnt vmcnt(0)
	v_cndmask_b32_e32 v5, v5, v13, vcc
	s_waitcnt lgkmcnt(1)
	v_fmac_f32_e32 v14, v5, v17
	s_waitcnt lgkmcnt(0)
	v_fma_f32 v5, v4, v15, v14
	v_cndmask_b32_e64 v14, v14, v5, s[2:3]
.LBB11_183:
	s_or_b64 exec, exec, s[8:9]
	v_mov_b32_e32 v5, 0
	ds_read_b32 v5, v5 offset:12
	s_waitcnt lgkmcnt(0)
	v_mul_f32_e32 v5, v14, v5
.LBB11_184:
	s_or_b64 exec, exec, s[6:7]
	v_cmp_gt_u32_e32 vcc, 4, v0
	s_waitcnt vmcnt(8)
	ds_write_b32 v53, v6
	s_waitcnt lgkmcnt(0)
	; wave barrier
	s_waitcnt lgkmcnt(0)
	s_and_saveexec_b64 s[8:9], vcc
	s_cbranch_execz .LBB11_194
; %bb.185:
	s_and_b64 vcc, exec, s[0:1]
	s_cbranch_vccnz .LBB11_187
; %bb.186:
	v_cmp_eq_u32_e32 vcc, 1, v0
	s_waitcnt vmcnt(1)
	v_cndmask_b32_e32 v14, v2, v3, vcc
	v_cmp_eq_u32_e32 vcc, 2, v0
	v_cndmask_b32_e32 v14, v14, v4, vcc
	v_cmp_eq_u32_e32 vcc, 3, v0
	;; [unrolled: 2-line block ×7, first 2 shown]
	ds_read_b32 v15, v53
	v_cndmask_b32_e32 v14, v14, v10, vcc
	v_cmp_eq_u32_e32 vcc, 9, v0
	v_cndmask_b32_e32 v14, v14, v11, vcc
	v_cmp_eq_u32_e32 vcc, 10, v0
	;; [unrolled: 2-line block ×3, first 2 shown]
	s_waitcnt vmcnt(0)
	v_cndmask_b32_e32 v14, v14, v13, vcc
	s_waitcnt lgkmcnt(0)
	v_mul_f32_e32 v17, v14, v15
	s_cbranch_execz .LBB11_188
	s_branch .LBB11_189
.LBB11_187:
                                        ; implicit-def: $vgpr17
.LBB11_188:
	ds_read_b32 v17, v53
.LBB11_189:
	v_cmp_ne_u32_e32 vcc, 3, v0
	s_and_saveexec_b64 s[10:11], vcc
	s_cbranch_execz .LBB11_193
; %bb.190:
	v_lshl_add_u32 v18, v0, 2, 52
	s_mov_b64 s[12:13], 0
	v_pk_mov_b32 v[14:15], v[0:1], v[0:1] op_sel:[0,1]
.LBB11_191:                             ; =>This Inner Loop Header: Depth=1
	v_add_co_u32_e32 v14, vcc, 1, v14
	v_addc_co_u32_e32 v15, vcc, 0, v15, vcc
	v_cmp_eq_u32_e32 vcc, 1, v14
	s_waitcnt vmcnt(1)
	v_cndmask_b32_e32 v20, v2, v3, vcc
	v_cmp_lt_u32_e32 vcc, 2, v14
	v_cmp_eq_u32_e64 s[6:7], 2, v14
	v_cndmask_b32_e64 v20, v20, v4, s[6:7]
	s_or_b64 s[12:13], vcc, s[12:13]
	v_cmp_eq_u32_e32 vcc, 3, v14
	v_cndmask_b32_e32 v20, v20, v5, vcc
	v_cmp_eq_u32_e32 vcc, 4, v14
	v_cndmask_b32_e32 v20, v20, v6, vcc
	;; [unrolled: 2-line block ×4, first 2 shown]
	v_cmp_eq_u32_e32 vcc, 7, v14
	ds_read_b32 v19, v18
	v_cndmask_b32_e32 v20, v20, v9, vcc
	v_cmp_eq_u32_e32 vcc, 8, v14
	v_cndmask_b32_e32 v20, v20, v10, vcc
	v_cmp_eq_u32_e32 vcc, 9, v14
	;; [unrolled: 2-line block ×4, first 2 shown]
	s_waitcnt vmcnt(0)
	v_cndmask_b32_e32 v20, v20, v13, vcc
	v_add_u32_e32 v18, 4, v18
	s_waitcnt lgkmcnt(0)
	v_fmac_f32_e32 v17, v20, v19
	s_andn2_b64 exec, exec, s[12:13]
	s_cbranch_execnz .LBB11_191
; %bb.192:
	s_or_b64 exec, exec, s[12:13]
.LBB11_193:
	s_or_b64 exec, exec, s[10:11]
	v_mov_b32_e32 v6, 0
	ds_read_b32 v6, v6 offset:16
	s_waitcnt lgkmcnt(0)
	v_mul_f32_e32 v6, v17, v6
.LBB11_194:
	s_or_b64 exec, exec, s[8:9]
	v_cmp_gt_u32_e64 s[6:7], 5, v0
	s_waitcnt vmcnt(7)
	ds_write_b32 v53, v7
	s_waitcnt lgkmcnt(0)
	; wave barrier
	s_waitcnt lgkmcnt(0)
	s_and_saveexec_b64 s[10:11], s[6:7]
	s_cbranch_execz .LBB11_204
; %bb.195:
	s_and_b64 vcc, exec, s[0:1]
	s_cbranch_vccnz .LBB11_197
; %bb.196:
	v_cmp_eq_u32_e32 vcc, 1, v0
	s_waitcnt vmcnt(1)
	v_cndmask_b32_e32 v14, v2, v3, vcc
	v_cmp_eq_u32_e32 vcc, 2, v0
	v_cndmask_b32_e32 v14, v14, v4, vcc
	v_cmp_eq_u32_e32 vcc, 3, v0
	;; [unrolled: 2-line block ×7, first 2 shown]
	ds_read_b32 v15, v53
	v_cndmask_b32_e32 v14, v14, v10, vcc
	v_cmp_eq_u32_e32 vcc, 9, v0
	v_cndmask_b32_e32 v14, v14, v11, vcc
	v_cmp_eq_u32_e32 vcc, 10, v0
	;; [unrolled: 2-line block ×3, first 2 shown]
	s_waitcnt vmcnt(0)
	v_cndmask_b32_e32 v14, v14, v13, vcc
	s_waitcnt lgkmcnt(0)
	v_mul_f32_e32 v17, v14, v15
	s_cbranch_execz .LBB11_198
	s_branch .LBB11_199
.LBB11_197:
                                        ; implicit-def: $vgpr17
.LBB11_198:
	ds_read_b32 v17, v53
.LBB11_199:
	v_cmp_ne_u32_e32 vcc, 4, v0
	s_and_saveexec_b64 s[12:13], vcc
	s_cbranch_execz .LBB11_203
; %bb.200:
	v_lshl_add_u32 v18, v0, 2, 52
	s_mov_b64 s[14:15], 0
	v_pk_mov_b32 v[14:15], v[0:1], v[0:1] op_sel:[0,1]
.LBB11_201:                             ; =>This Inner Loop Header: Depth=1
	v_add_co_u32_e32 v14, vcc, 1, v14
	v_addc_co_u32_e32 v15, vcc, 0, v15, vcc
	v_cmp_eq_u32_e32 vcc, 1, v14
	s_waitcnt vmcnt(1)
	v_cndmask_b32_e32 v20, v2, v3, vcc
	v_cmp_lt_u32_e32 vcc, 3, v14
	v_cmp_eq_u32_e64 s[8:9], 2, v14
	v_cndmask_b32_e64 v20, v20, v4, s[8:9]
	s_or_b64 s[14:15], vcc, s[14:15]
	v_cmp_eq_u32_e32 vcc, 3, v14
	v_cndmask_b32_e32 v20, v20, v5, vcc
	v_cmp_eq_u32_e32 vcc, 4, v14
	v_cndmask_b32_e32 v20, v20, v6, vcc
	;; [unrolled: 2-line block ×4, first 2 shown]
	v_cmp_eq_u32_e32 vcc, 7, v14
	ds_read_b32 v19, v18
	v_cndmask_b32_e32 v20, v20, v9, vcc
	v_cmp_eq_u32_e32 vcc, 8, v14
	v_cndmask_b32_e32 v20, v20, v10, vcc
	v_cmp_eq_u32_e32 vcc, 9, v14
	v_cndmask_b32_e32 v20, v20, v11, vcc
	v_cmp_eq_u32_e32 vcc, 10, v14
	v_cndmask_b32_e32 v20, v20, v12, vcc
	v_cmp_eq_u32_e32 vcc, 11, v14
	s_waitcnt vmcnt(0)
	v_cndmask_b32_e32 v20, v20, v13, vcc
	v_add_u32_e32 v18, 4, v18
	s_waitcnt lgkmcnt(0)
	v_fmac_f32_e32 v17, v20, v19
	s_andn2_b64 exec, exec, s[14:15]
	s_cbranch_execnz .LBB11_201
; %bb.202:
	s_or_b64 exec, exec, s[14:15]
.LBB11_203:
	s_or_b64 exec, exec, s[12:13]
	v_mov_b32_e32 v7, 0
	ds_read_b32 v7, v7 offset:20
	s_waitcnt lgkmcnt(0)
	v_mul_f32_e32 v7, v17, v7
.LBB11_204:
	s_or_b64 exec, exec, s[10:11]
	v_cmp_gt_u32_e32 vcc, 6, v0
	s_waitcnt vmcnt(6)
	ds_write_b32 v53, v8
	s_waitcnt lgkmcnt(0)
	; wave barrier
	s_waitcnt lgkmcnt(0)
	s_and_saveexec_b64 s[10:11], vcc
	s_cbranch_execz .LBB11_214
; %bb.205:
	s_and_b64 vcc, exec, s[0:1]
	s_cbranch_vccnz .LBB11_207
; %bb.206:
	v_cmp_eq_u32_e32 vcc, 1, v0
	s_waitcnt vmcnt(1)
	v_cndmask_b32_e32 v14, v2, v3, vcc
	v_cmp_eq_u32_e32 vcc, 2, v0
	v_cndmask_b32_e32 v14, v14, v4, vcc
	v_cmp_eq_u32_e32 vcc, 3, v0
	;; [unrolled: 2-line block ×7, first 2 shown]
	ds_read_b32 v15, v53
	v_cndmask_b32_e32 v14, v14, v10, vcc
	v_cmp_eq_u32_e32 vcc, 9, v0
	v_cndmask_b32_e32 v14, v14, v11, vcc
	v_cmp_eq_u32_e32 vcc, 10, v0
	;; [unrolled: 2-line block ×3, first 2 shown]
	s_waitcnt vmcnt(0)
	v_cndmask_b32_e32 v14, v14, v13, vcc
	s_waitcnt lgkmcnt(0)
	v_mul_f32_e32 v17, v14, v15
	s_cbranch_execz .LBB11_208
	s_branch .LBB11_209
.LBB11_207:
                                        ; implicit-def: $vgpr17
.LBB11_208:
	ds_read_b32 v17, v53
.LBB11_209:
	v_cmp_ne_u32_e32 vcc, 5, v0
	s_and_saveexec_b64 s[12:13], vcc
	s_cbranch_execz .LBB11_213
; %bb.210:
	v_lshl_add_u32 v18, v0, 2, 52
	s_mov_b64 s[14:15], 0
	v_pk_mov_b32 v[14:15], v[0:1], v[0:1] op_sel:[0,1]
.LBB11_211:                             ; =>This Inner Loop Header: Depth=1
	v_add_co_u32_e32 v14, vcc, 1, v14
	v_addc_co_u32_e32 v15, vcc, 0, v15, vcc
	v_cmp_eq_u32_e32 vcc, 1, v14
	s_waitcnt vmcnt(1)
	v_cndmask_b32_e32 v20, v2, v3, vcc
	v_cmp_lt_u32_e32 vcc, 4, v14
	v_cmp_eq_u32_e64 s[8:9], 2, v14
	v_cndmask_b32_e64 v20, v20, v4, s[8:9]
	s_or_b64 s[14:15], vcc, s[14:15]
	v_cmp_eq_u32_e32 vcc, 3, v14
	v_cndmask_b32_e32 v20, v20, v5, vcc
	v_cmp_eq_u32_e32 vcc, 4, v14
	v_cndmask_b32_e32 v20, v20, v6, vcc
	;; [unrolled: 2-line block ×4, first 2 shown]
	v_cmp_eq_u32_e32 vcc, 7, v14
	ds_read_b32 v19, v18
	v_cndmask_b32_e32 v20, v20, v9, vcc
	v_cmp_eq_u32_e32 vcc, 8, v14
	v_cndmask_b32_e32 v20, v20, v10, vcc
	v_cmp_eq_u32_e32 vcc, 9, v14
	;; [unrolled: 2-line block ×4, first 2 shown]
	s_waitcnt vmcnt(0)
	v_cndmask_b32_e32 v20, v20, v13, vcc
	v_add_u32_e32 v18, 4, v18
	s_waitcnt lgkmcnt(0)
	v_fmac_f32_e32 v17, v20, v19
	s_andn2_b64 exec, exec, s[14:15]
	s_cbranch_execnz .LBB11_211
; %bb.212:
	s_or_b64 exec, exec, s[14:15]
.LBB11_213:
	s_or_b64 exec, exec, s[12:13]
	v_mov_b32_e32 v8, 0
	ds_read_b32 v8, v8 offset:24
	s_waitcnt lgkmcnt(0)
	v_mul_f32_e32 v8, v17, v8
.LBB11_214:
	s_or_b64 exec, exec, s[10:11]
	v_cmp_gt_u32_e64 s[8:9], 7, v0
	s_waitcnt vmcnt(5)
	ds_write_b32 v53, v9
	s_waitcnt lgkmcnt(0)
	; wave barrier
	s_waitcnt lgkmcnt(0)
	s_and_saveexec_b64 s[12:13], s[8:9]
	s_cbranch_execz .LBB11_224
; %bb.215:
	s_and_b64 vcc, exec, s[0:1]
	s_cbranch_vccnz .LBB11_217
; %bb.216:
	v_cmp_eq_u32_e32 vcc, 1, v0
	s_waitcnt vmcnt(1)
	v_cndmask_b32_e32 v14, v2, v3, vcc
	v_cmp_eq_u32_e32 vcc, 2, v0
	v_cndmask_b32_e32 v14, v14, v4, vcc
	v_cmp_eq_u32_e32 vcc, 3, v0
	;; [unrolled: 2-line block ×7, first 2 shown]
	ds_read_b32 v15, v53
	v_cndmask_b32_e32 v14, v14, v10, vcc
	v_cmp_eq_u32_e32 vcc, 9, v0
	v_cndmask_b32_e32 v14, v14, v11, vcc
	v_cmp_eq_u32_e32 vcc, 10, v0
	;; [unrolled: 2-line block ×3, first 2 shown]
	s_waitcnt vmcnt(0)
	v_cndmask_b32_e32 v14, v14, v13, vcc
	s_waitcnt lgkmcnt(0)
	v_mul_f32_e32 v17, v14, v15
	s_cbranch_execz .LBB11_218
	s_branch .LBB11_219
.LBB11_217:
                                        ; implicit-def: $vgpr17
.LBB11_218:
	ds_read_b32 v17, v53
.LBB11_219:
	v_cmp_ne_u32_e32 vcc, 6, v0
	s_and_saveexec_b64 s[14:15], vcc
	s_cbranch_execz .LBB11_223
; %bb.220:
	v_lshl_add_u32 v18, v0, 2, 52
	s_mov_b64 s[16:17], 0
	v_pk_mov_b32 v[14:15], v[0:1], v[0:1] op_sel:[0,1]
.LBB11_221:                             ; =>This Inner Loop Header: Depth=1
	v_add_co_u32_e32 v14, vcc, 1, v14
	v_addc_co_u32_e32 v15, vcc, 0, v15, vcc
	v_cmp_eq_u32_e32 vcc, 1, v14
	s_waitcnt vmcnt(1)
	v_cndmask_b32_e32 v20, v2, v3, vcc
	v_cmp_lt_u32_e32 vcc, 5, v14
	v_cmp_eq_u32_e64 s[10:11], 2, v14
	v_cndmask_b32_e64 v20, v20, v4, s[10:11]
	s_or_b64 s[16:17], vcc, s[16:17]
	v_cmp_eq_u32_e32 vcc, 3, v14
	v_cndmask_b32_e32 v20, v20, v5, vcc
	v_cmp_eq_u32_e32 vcc, 4, v14
	v_cndmask_b32_e32 v20, v20, v6, vcc
	;; [unrolled: 2-line block ×4, first 2 shown]
	v_cmp_eq_u32_e32 vcc, 7, v14
	ds_read_b32 v19, v18
	v_cndmask_b32_e32 v20, v20, v9, vcc
	v_cmp_eq_u32_e32 vcc, 8, v14
	v_cndmask_b32_e32 v20, v20, v10, vcc
	v_cmp_eq_u32_e32 vcc, 9, v14
	;; [unrolled: 2-line block ×4, first 2 shown]
	s_waitcnt vmcnt(0)
	v_cndmask_b32_e32 v20, v20, v13, vcc
	v_add_u32_e32 v18, 4, v18
	s_waitcnt lgkmcnt(0)
	v_fmac_f32_e32 v17, v20, v19
	s_andn2_b64 exec, exec, s[16:17]
	s_cbranch_execnz .LBB11_221
; %bb.222:
	s_or_b64 exec, exec, s[16:17]
.LBB11_223:
	s_or_b64 exec, exec, s[14:15]
	v_mov_b32_e32 v9, 0
	ds_read_b32 v9, v9 offset:28
	s_waitcnt lgkmcnt(0)
	v_mul_f32_e32 v9, v17, v9
.LBB11_224:
	s_or_b64 exec, exec, s[12:13]
	v_cmp_gt_u32_e32 vcc, 8, v0
	s_waitcnt vmcnt(4)
	ds_write_b32 v53, v10
	s_waitcnt lgkmcnt(0)
	; wave barrier
	s_waitcnt lgkmcnt(0)
	s_and_saveexec_b64 s[12:13], vcc
	s_cbranch_execz .LBB11_234
; %bb.225:
	s_and_b64 vcc, exec, s[0:1]
	s_cbranch_vccnz .LBB11_227
; %bb.226:
	v_cmp_eq_u32_e32 vcc, 1, v0
	s_waitcnt vmcnt(1)
	v_cndmask_b32_e32 v14, v2, v3, vcc
	v_cmp_eq_u32_e32 vcc, 2, v0
	v_cndmask_b32_e32 v14, v14, v4, vcc
	v_cmp_eq_u32_e32 vcc, 3, v0
	;; [unrolled: 2-line block ×7, first 2 shown]
	ds_read_b32 v15, v53
	v_cndmask_b32_e32 v14, v14, v10, vcc
	v_cmp_eq_u32_e32 vcc, 9, v0
	v_cndmask_b32_e32 v14, v14, v11, vcc
	v_cmp_eq_u32_e32 vcc, 10, v0
	;; [unrolled: 2-line block ×3, first 2 shown]
	s_waitcnt vmcnt(0)
	v_cndmask_b32_e32 v14, v14, v13, vcc
	s_waitcnt lgkmcnt(0)
	v_mul_f32_e32 v17, v14, v15
	s_cbranch_execz .LBB11_228
	s_branch .LBB11_229
.LBB11_227:
                                        ; implicit-def: $vgpr17
.LBB11_228:
	ds_read_b32 v17, v53
.LBB11_229:
	v_cmp_ne_u32_e32 vcc, 7, v0
	s_and_saveexec_b64 s[14:15], vcc
	s_cbranch_execz .LBB11_233
; %bb.230:
	v_lshl_add_u32 v18, v0, 2, 52
	s_mov_b64 s[16:17], 0
	v_pk_mov_b32 v[14:15], v[0:1], v[0:1] op_sel:[0,1]
.LBB11_231:                             ; =>This Inner Loop Header: Depth=1
	v_add_co_u32_e32 v14, vcc, 1, v14
	v_addc_co_u32_e32 v15, vcc, 0, v15, vcc
	v_cmp_eq_u32_e32 vcc, 1, v14
	s_waitcnt vmcnt(1)
	v_cndmask_b32_e32 v20, v2, v3, vcc
	v_cmp_lt_u32_e32 vcc, 6, v14
	v_cmp_eq_u32_e64 s[10:11], 2, v14
	v_cndmask_b32_e64 v20, v20, v4, s[10:11]
	s_or_b64 s[16:17], vcc, s[16:17]
	v_cmp_eq_u32_e32 vcc, 3, v14
	v_cndmask_b32_e32 v20, v20, v5, vcc
	v_cmp_eq_u32_e32 vcc, 4, v14
	v_cndmask_b32_e32 v20, v20, v6, vcc
	;; [unrolled: 2-line block ×4, first 2 shown]
	v_cmp_eq_u32_e32 vcc, 7, v14
	ds_read_b32 v19, v18
	v_cndmask_b32_e32 v20, v20, v9, vcc
	v_cmp_eq_u32_e32 vcc, 8, v14
	v_cndmask_b32_e32 v20, v20, v10, vcc
	v_cmp_eq_u32_e32 vcc, 9, v14
	v_cndmask_b32_e32 v20, v20, v11, vcc
	v_cmp_eq_u32_e32 vcc, 10, v14
	v_cndmask_b32_e32 v20, v20, v12, vcc
	v_cmp_eq_u32_e32 vcc, 11, v14
	s_waitcnt vmcnt(0)
	v_cndmask_b32_e32 v20, v20, v13, vcc
	v_add_u32_e32 v18, 4, v18
	s_waitcnt lgkmcnt(0)
	v_fmac_f32_e32 v17, v20, v19
	s_andn2_b64 exec, exec, s[16:17]
	s_cbranch_execnz .LBB11_231
; %bb.232:
	s_or_b64 exec, exec, s[16:17]
.LBB11_233:
	s_or_b64 exec, exec, s[14:15]
	v_mov_b32_e32 v10, 0
	ds_read_b32 v10, v10 offset:32
	s_waitcnt lgkmcnt(0)
	v_mul_f32_e32 v10, v17, v10
.LBB11_234:
	s_or_b64 exec, exec, s[12:13]
	v_cmp_gt_u32_e32 vcc, 9, v0
	s_waitcnt vmcnt(3)
	ds_write_b32 v53, v11
	s_waitcnt lgkmcnt(0)
	; wave barrier
	s_waitcnt lgkmcnt(0)
	s_and_saveexec_b64 s[10:11], vcc
	s_cbranch_execz .LBB11_256
; %bb.235:
	s_and_b64 vcc, exec, s[0:1]
	s_cbranch_vccnz .LBB11_237
; %bb.236:
	v_cmp_eq_u32_e32 vcc, 1, v0
	s_waitcnt vmcnt(1)
	v_cndmask_b32_e32 v14, v2, v3, vcc
	v_cmp_eq_u32_e32 vcc, 2, v0
	v_cndmask_b32_e32 v14, v14, v4, vcc
	v_cmp_eq_u32_e32 vcc, 3, v0
	;; [unrolled: 2-line block ×7, first 2 shown]
	ds_read_b32 v15, v53
	v_cndmask_b32_e32 v14, v14, v10, vcc
	v_cmp_eq_u32_e32 vcc, 9, v0
	v_cndmask_b32_e32 v14, v14, v11, vcc
	v_cmp_eq_u32_e32 vcc, 10, v0
	v_cndmask_b32_e32 v14, v14, v12, vcc
	v_cmp_eq_u32_e32 vcc, 11, v0
	s_waitcnt vmcnt(0)
	v_cndmask_b32_e32 v14, v14, v13, vcc
	s_waitcnt lgkmcnt(0)
	v_mul_f32_e32 v14, v14, v15
	s_cbranch_execz .LBB11_238
	s_branch .LBB11_239
.LBB11_237:
                                        ; implicit-def: $vgpr14
.LBB11_238:
	ds_read_b32 v14, v53
.LBB11_239:
	v_cmp_ne_u32_e32 vcc, 8, v0
	s_and_saveexec_b64 s[12:13], vcc
	s_cbranch_execz .LBB11_255
; %bb.240:
	v_cmp_eq_u32_e32 vcc, 1, v16
	s_waitcnt vmcnt(1)
	v_cndmask_b32_e32 v15, v2, v3, vcc
	v_cmp_eq_u32_e32 vcc, 2, v16
	v_cndmask_b32_e32 v15, v15, v4, vcc
	v_cmp_eq_u32_e32 vcc, 3, v16
	;; [unrolled: 2-line block ×7, first 2 shown]
	ds_read_b32 v17, v53 offset:4
	v_cndmask_b32_e32 v15, v15, v10, vcc
	v_cmp_eq_u32_e32 vcc, 9, v16
	v_cndmask_b32_e32 v15, v15, v11, vcc
	v_cmp_eq_u32_e32 vcc, 10, v16
	;; [unrolled: 2-line block ×3, first 2 shown]
	s_waitcnt vmcnt(0)
	v_cndmask_b32_e32 v15, v15, v13, vcc
	s_waitcnt lgkmcnt(0)
	v_fmac_f32_e32 v14, v15, v17
	s_and_saveexec_b64 s[14:15], s[8:9]
	s_cbranch_execz .LBB11_254
; %bb.241:
	v_add_u32_e32 v15, 2, v0
	v_cmp_eq_u32_e32 vcc, 1, v15
	v_cndmask_b32_e32 v16, v2, v3, vcc
	v_cmp_eq_u32_e32 vcc, 2, v15
	v_cndmask_b32_e32 v16, v16, v4, vcc
	;; [unrolled: 2-line block ×7, first 2 shown]
	v_cmp_eq_u32_e32 vcc, 8, v15
	ds_read_b32 v17, v53 offset:8
	v_cndmask_b32_e32 v16, v16, v10, vcc
	v_cmp_eq_u32_e32 vcc, 9, v15
	v_cndmask_b32_e32 v16, v16, v11, vcc
	v_cmp_eq_u32_e32 vcc, 10, v15
	;; [unrolled: 2-line block ×3, first 2 shown]
	v_cndmask_b32_e32 v15, v16, v13, vcc
	s_waitcnt lgkmcnt(0)
	v_fmac_f32_e32 v14, v15, v17
	v_cmp_ne_u32_e32 vcc, 6, v0
	s_and_saveexec_b64 s[8:9], vcc
	s_cbranch_execz .LBB11_253
; %bb.242:
	v_add_u32_e32 v15, 3, v0
	v_cmp_eq_u32_e32 vcc, 1, v15
	v_cndmask_b32_e32 v16, v2, v3, vcc
	v_cmp_eq_u32_e32 vcc, 2, v15
	v_cndmask_b32_e32 v16, v16, v4, vcc
	;; [unrolled: 2-line block ×7, first 2 shown]
	v_cmp_eq_u32_e32 vcc, 8, v15
	ds_read_b32 v17, v53 offset:12
	v_cndmask_b32_e32 v16, v16, v10, vcc
	v_cmp_eq_u32_e32 vcc, 9, v15
	v_cndmask_b32_e32 v16, v16, v11, vcc
	v_cmp_eq_u32_e32 vcc, 10, v15
	;; [unrolled: 2-line block ×3, first 2 shown]
	v_cndmask_b32_e32 v15, v16, v13, vcc
	s_waitcnt lgkmcnt(0)
	v_fmac_f32_e32 v14, v15, v17
	s_and_saveexec_b64 s[16:17], s[6:7]
	s_cbranch_execz .LBB11_252
; %bb.243:
	v_add_u32_e32 v15, 4, v0
	v_cmp_eq_u32_e32 vcc, 1, v15
	v_cndmask_b32_e32 v16, v2, v3, vcc
	v_cmp_eq_u32_e32 vcc, 2, v15
	v_cndmask_b32_e32 v16, v16, v4, vcc
	;; [unrolled: 2-line block ×7, first 2 shown]
	v_cmp_eq_u32_e32 vcc, 8, v15
	ds_read_b32 v17, v53 offset:16
	v_cndmask_b32_e32 v16, v16, v10, vcc
	v_cmp_eq_u32_e32 vcc, 9, v15
	v_cndmask_b32_e32 v16, v16, v11, vcc
	v_cmp_eq_u32_e32 vcc, 10, v15
	v_cndmask_b32_e32 v16, v16, v12, vcc
	v_cmp_eq_u32_e32 vcc, 11, v15
	v_cndmask_b32_e32 v15, v16, v13, vcc
	s_waitcnt lgkmcnt(0)
	v_fmac_f32_e32 v14, v15, v17
	v_cmp_ne_u32_e32 vcc, 4, v0
	s_and_saveexec_b64 s[6:7], vcc
	s_cbranch_execz .LBB11_251
; %bb.244:
	v_add_u32_e32 v15, 5, v0
	v_cmp_eq_u32_e32 vcc, 1, v15
	v_cndmask_b32_e32 v16, v2, v3, vcc
	v_cmp_eq_u32_e32 vcc, 2, v15
	v_cndmask_b32_e32 v16, v16, v4, vcc
	;; [unrolled: 2-line block ×7, first 2 shown]
	v_cmp_eq_u32_e32 vcc, 8, v15
	ds_read_b32 v17, v53 offset:20
	v_cndmask_b32_e32 v16, v16, v10, vcc
	v_cmp_eq_u32_e32 vcc, 9, v15
	v_cndmask_b32_e32 v16, v16, v11, vcc
	v_cmp_eq_u32_e32 vcc, 10, v15
	;; [unrolled: 2-line block ×3, first 2 shown]
	v_cndmask_b32_e32 v15, v16, v13, vcc
	s_waitcnt lgkmcnt(0)
	v_fmac_f32_e32 v14, v15, v17
	s_and_saveexec_b64 s[18:19], s[4:5]
	s_cbranch_execz .LBB11_250
; %bb.245:
	v_add_u32_e32 v15, 6, v0
	v_cmp_eq_u32_e32 vcc, 1, v15
	v_cndmask_b32_e32 v16, v2, v3, vcc
	v_cmp_eq_u32_e32 vcc, 2, v15
	v_cndmask_b32_e32 v16, v16, v4, vcc
	;; [unrolled: 2-line block ×7, first 2 shown]
	v_cmp_eq_u32_e32 vcc, 8, v15
	ds_read_b32 v17, v53 offset:24
	v_cndmask_b32_e32 v16, v16, v10, vcc
	v_cmp_eq_u32_e32 vcc, 9, v15
	v_cndmask_b32_e32 v16, v16, v11, vcc
	v_cmp_eq_u32_e32 vcc, 10, v15
	;; [unrolled: 2-line block ×3, first 2 shown]
	v_cndmask_b32_e32 v15, v16, v13, vcc
	s_waitcnt lgkmcnt(0)
	v_fmac_f32_e32 v14, v15, v17
	v_cmp_ne_u32_e32 vcc, 2, v0
	s_and_saveexec_b64 s[4:5], vcc
	s_cbranch_execz .LBB11_249
; %bb.246:
	v_add_u32_e32 v15, 7, v0
	v_cmp_eq_u32_e32 vcc, 1, v15
	v_cndmask_b32_e32 v16, v2, v3, vcc
	v_cmp_eq_u32_e32 vcc, 2, v15
	v_cndmask_b32_e32 v16, v16, v4, vcc
	;; [unrolled: 2-line block ×9, first 2 shown]
	ds_read_b32 v16, v53 offset:28
	v_cmp_eq_u32_e32 vcc, 10, v15
	v_cndmask_b32_e32 v11, v11, v12, vcc
	v_cmp_eq_u32_e32 vcc, 11, v15
	v_cndmask_b32_e32 v11, v11, v13, vcc
	s_waitcnt lgkmcnt(0)
	v_fmac_f32_e32 v14, v11, v16
	s_and_saveexec_b64 s[20:21], s[2:3]
	s_cbranch_execz .LBB11_248
; %bb.247:
	ds_read_b32 v11, v53 offset:32
	s_waitcnt lgkmcnt(0)
	v_fmac_f32_e32 v14, v10, v11
.LBB11_248:
	s_or_b64 exec, exec, s[20:21]
.LBB11_249:
	s_or_b64 exec, exec, s[4:5]
.LBB11_250:
	s_or_b64 exec, exec, s[18:19]
.LBB11_251:
	s_or_b64 exec, exec, s[6:7]
.LBB11_252:
	s_or_b64 exec, exec, s[16:17]
.LBB11_253:
	s_or_b64 exec, exec, s[8:9]
.LBB11_254:
	s_or_b64 exec, exec, s[14:15]
.LBB11_255:
	s_or_b64 exec, exec, s[12:13]
	v_mov_b32_e32 v11, 0
	ds_read_b32 v11, v11 offset:36
	s_waitcnt lgkmcnt(0)
	v_mul_f32_e32 v11, v14, v11
.LBB11_256:
	s_or_b64 exec, exec, s[10:11]
	v_cmp_gt_u32_e64 s[2:3], 10, v0
	s_waitcnt vmcnt(2)
	ds_write_b32 v53, v12
	s_waitcnt lgkmcnt(0)
	; wave barrier
	s_waitcnt lgkmcnt(0)
	s_and_saveexec_b64 s[6:7], s[2:3]
	s_cbranch_execz .LBB11_266
; %bb.257:
	s_and_b64 vcc, exec, s[0:1]
	s_cbranch_vccnz .LBB11_259
; %bb.258:
	v_cmp_eq_u32_e32 vcc, 1, v0
	s_waitcnt vmcnt(1)
	v_cndmask_b32_e32 v14, v2, v3, vcc
	v_cmp_eq_u32_e32 vcc, 2, v0
	v_cndmask_b32_e32 v14, v14, v4, vcc
	v_cmp_eq_u32_e32 vcc, 3, v0
	;; [unrolled: 2-line block ×7, first 2 shown]
	ds_read_b32 v15, v53
	v_cndmask_b32_e32 v14, v14, v10, vcc
	v_cmp_eq_u32_e32 vcc, 9, v0
	v_cndmask_b32_e32 v14, v14, v11, vcc
	v_cmp_eq_u32_e32 vcc, 10, v0
	;; [unrolled: 2-line block ×3, first 2 shown]
	s_waitcnt vmcnt(0)
	v_cndmask_b32_e32 v14, v14, v13, vcc
	s_waitcnt lgkmcnt(0)
	v_mul_f32_e32 v16, v14, v15
	s_cbranch_execz .LBB11_260
	s_branch .LBB11_261
.LBB11_259:
                                        ; implicit-def: $vgpr16
.LBB11_260:
	ds_read_b32 v16, v53
.LBB11_261:
	v_cmp_ne_u32_e32 vcc, 9, v0
	s_and_saveexec_b64 s[8:9], vcc
	s_cbranch_execz .LBB11_265
; %bb.262:
	v_lshl_add_u32 v17, v0, 2, 52
	s_mov_b64 s[10:11], 0
	v_pk_mov_b32 v[14:15], v[0:1], v[0:1] op_sel:[0,1]
.LBB11_263:                             ; =>This Inner Loop Header: Depth=1
	v_add_co_u32_e32 v14, vcc, 1, v14
	v_addc_co_u32_e32 v15, vcc, 0, v15, vcc
	v_cmp_eq_u32_e32 vcc, 1, v14
	s_waitcnt vmcnt(1)
	v_cndmask_b32_e32 v19, v2, v3, vcc
	v_cmp_lt_u32_e32 vcc, 8, v14
	v_cmp_eq_u32_e64 s[4:5], 2, v14
	v_cndmask_b32_e64 v19, v19, v4, s[4:5]
	s_or_b64 s[10:11], vcc, s[10:11]
	v_cmp_eq_u32_e32 vcc, 3, v14
	v_cndmask_b32_e32 v19, v19, v5, vcc
	v_cmp_eq_u32_e32 vcc, 4, v14
	v_cndmask_b32_e32 v19, v19, v6, vcc
	v_cmp_eq_u32_e32 vcc, 5, v14
	v_cndmask_b32_e32 v19, v19, v7, vcc
	v_cmp_eq_u32_e32 vcc, 6, v14
	v_cndmask_b32_e32 v19, v19, v8, vcc
	v_cmp_eq_u32_e32 vcc, 7, v14
	ds_read_b32 v18, v17
	v_cndmask_b32_e32 v19, v19, v9, vcc
	v_cmp_eq_u32_e32 vcc, 8, v14
	v_cndmask_b32_e32 v19, v19, v10, vcc
	v_cmp_eq_u32_e32 vcc, 9, v14
	;; [unrolled: 2-line block ×4, first 2 shown]
	s_waitcnt vmcnt(0)
	v_cndmask_b32_e32 v19, v19, v13, vcc
	v_add_u32_e32 v17, 4, v17
	s_waitcnt lgkmcnt(0)
	v_fmac_f32_e32 v16, v19, v18
	s_andn2_b64 exec, exec, s[10:11]
	s_cbranch_execnz .LBB11_263
; %bb.264:
	s_or_b64 exec, exec, s[10:11]
.LBB11_265:
	s_or_b64 exec, exec, s[8:9]
	v_mov_b32_e32 v12, 0
	ds_read_b32 v12, v12 offset:40
	s_waitcnt lgkmcnt(0)
	v_mul_f32_e32 v12, v16, v12
.LBB11_266:
	s_or_b64 exec, exec, s[6:7]
	v_cmp_ne_u32_e32 vcc, 11, v0
	s_waitcnt vmcnt(0)
	ds_write_b32 v53, v13
	s_waitcnt lgkmcnt(0)
	; wave barrier
	s_waitcnt lgkmcnt(0)
	s_and_saveexec_b64 s[4:5], vcc
	s_cbranch_execz .LBB11_276
; %bb.267:
	s_and_b64 vcc, exec, s[0:1]
	s_cbranch_vccnz .LBB11_269
; %bb.268:
	v_cmp_eq_u32_e32 vcc, 1, v0
	v_cndmask_b32_e32 v14, v2, v3, vcc
	v_cmp_eq_u32_e32 vcc, 2, v0
	v_cndmask_b32_e32 v14, v14, v4, vcc
	;; [unrolled: 2-line block ×7, first 2 shown]
	v_cmp_eq_u32_e32 vcc, 8, v0
	ds_read_b32 v15, v53
	v_cndmask_b32_e32 v14, v14, v10, vcc
	v_cmp_eq_u32_e32 vcc, 9, v0
	v_cndmask_b32_e32 v14, v14, v11, vcc
	v_cmp_eq_u32_e32 vcc, 10, v0
	;; [unrolled: 2-line block ×3, first 2 shown]
	v_cndmask_b32_e32 v14, v14, v13, vcc
	s_waitcnt lgkmcnt(0)
	v_mul_f32_e32 v14, v14, v15
	s_cbranch_execz .LBB11_270
	s_branch .LBB11_271
.LBB11_269:
                                        ; implicit-def: $vgpr14
.LBB11_270:
	ds_read_b32 v14, v53
.LBB11_271:
	s_and_saveexec_b64 s[6:7], s[2:3]
	s_cbranch_execz .LBB11_275
; %bb.272:
	v_lshl_add_u32 v15, v0, 2, 52
	s_mov_b64 s[2:3], 0
.LBB11_273:                             ; =>This Inner Loop Header: Depth=1
	v_add_co_u32_e32 v0, vcc, 1, v0
	v_addc_co_u32_e32 v1, vcc, 0, v1, vcc
	v_cmp_eq_u32_e32 vcc, 1, v0
	v_cndmask_b32_e32 v17, v2, v3, vcc
	v_cmp_lt_u32_e32 vcc, 9, v0
	v_cmp_eq_u32_e64 s[0:1], 2, v0
	v_cndmask_b32_e64 v17, v17, v4, s[0:1]
	s_or_b64 s[2:3], vcc, s[2:3]
	v_cmp_eq_u32_e32 vcc, 3, v0
	v_cndmask_b32_e32 v17, v17, v5, vcc
	v_cmp_eq_u32_e32 vcc, 4, v0
	v_cndmask_b32_e32 v17, v17, v6, vcc
	;; [unrolled: 2-line block ×4, first 2 shown]
	v_cmp_eq_u32_e32 vcc, 7, v0
	ds_read_b32 v16, v15
	v_cndmask_b32_e32 v17, v17, v9, vcc
	v_cmp_eq_u32_e32 vcc, 8, v0
	v_cndmask_b32_e32 v17, v17, v10, vcc
	v_cmp_eq_u32_e32 vcc, 9, v0
	;; [unrolled: 2-line block ×4, first 2 shown]
	v_cndmask_b32_e32 v17, v17, v13, vcc
	v_add_u32_e32 v15, 4, v15
	s_waitcnt lgkmcnt(0)
	v_fmac_f32_e32 v14, v17, v16
	s_andn2_b64 exec, exec, s[2:3]
	s_cbranch_execnz .LBB11_273
; %bb.274:
	s_or_b64 exec, exec, s[2:3]
.LBB11_275:
	s_or_b64 exec, exec, s[6:7]
	v_mov_b32_e32 v0, 0
	ds_read_b32 v0, v0 offset:44
	s_waitcnt lgkmcnt(0)
	v_mul_f32_e32 v13, v14, v0
.LBB11_276:
	s_or_b64 exec, exec, s[4:5]
	v_pk_mov_b32 v[24:25], v[12:13], v[12:13] op_sel:[0,1]
	v_pk_mov_b32 v[22:23], v[10:11], v[10:11] op_sel:[0,1]
	;; [unrolled: 1-line block ×6, first 2 shown]
.LBB11_277:
	global_store_dword v[26:27], v14, off
	global_store_dword v[28:29], v15, off
	global_store_dword v[30:31], v16, off
	global_store_dword v[32:33], v17, off
	global_store_dword v[34:35], v18, off
	global_store_dword v[36:37], v19, off
	global_store_dword v[38:39], v20, off
	global_store_dword v[40:41], v21, off
	global_store_dword v[42:43], v22, off
	global_store_dword v[44:45], v23, off
	global_store_dword v[46:47], v24, off
	global_store_dword v[48:49], v25, off
.LBB11_278:
	s_endpgm
	.section	.rodata,"a",@progbits
	.p2align	6, 0x0
	.amdhsa_kernel _ZN9rocsolver6v33100L18trti2_kernel_smallILi12EfPfEEv13rocblas_fill_17rocblas_diagonal_T1_iil
		.amdhsa_group_segment_fixed_size 96
		.amdhsa_private_segment_fixed_size 0
		.amdhsa_kernarg_size 32
		.amdhsa_user_sgpr_count 6
		.amdhsa_user_sgpr_private_segment_buffer 1
		.amdhsa_user_sgpr_dispatch_ptr 0
		.amdhsa_user_sgpr_queue_ptr 0
		.amdhsa_user_sgpr_kernarg_segment_ptr 1
		.amdhsa_user_sgpr_dispatch_id 0
		.amdhsa_user_sgpr_flat_scratch_init 0
		.amdhsa_user_sgpr_kernarg_preload_length 0
		.amdhsa_user_sgpr_kernarg_preload_offset 0
		.amdhsa_user_sgpr_private_segment_size 0
		.amdhsa_uses_dynamic_stack 0
		.amdhsa_system_sgpr_private_segment_wavefront_offset 0
		.amdhsa_system_sgpr_workgroup_id_x 1
		.amdhsa_system_sgpr_workgroup_id_y 0
		.amdhsa_system_sgpr_workgroup_id_z 0
		.amdhsa_system_sgpr_workgroup_info 0
		.amdhsa_system_vgpr_workitem_id 0
		.amdhsa_next_free_vgpr 64
		.amdhsa_next_free_sgpr 32
		.amdhsa_accum_offset 64
		.amdhsa_reserve_vcc 1
		.amdhsa_reserve_flat_scratch 0
		.amdhsa_float_round_mode_32 0
		.amdhsa_float_round_mode_16_64 0
		.amdhsa_float_denorm_mode_32 3
		.amdhsa_float_denorm_mode_16_64 3
		.amdhsa_dx10_clamp 1
		.amdhsa_ieee_mode 1
		.amdhsa_fp16_overflow 0
		.amdhsa_tg_split 0
		.amdhsa_exception_fp_ieee_invalid_op 0
		.amdhsa_exception_fp_denorm_src 0
		.amdhsa_exception_fp_ieee_div_zero 0
		.amdhsa_exception_fp_ieee_overflow 0
		.amdhsa_exception_fp_ieee_underflow 0
		.amdhsa_exception_fp_ieee_inexact 0
		.amdhsa_exception_int_div_zero 0
	.end_amdhsa_kernel
	.section	.text._ZN9rocsolver6v33100L18trti2_kernel_smallILi12EfPfEEv13rocblas_fill_17rocblas_diagonal_T1_iil,"axG",@progbits,_ZN9rocsolver6v33100L18trti2_kernel_smallILi12EfPfEEv13rocblas_fill_17rocblas_diagonal_T1_iil,comdat
.Lfunc_end11:
	.size	_ZN9rocsolver6v33100L18trti2_kernel_smallILi12EfPfEEv13rocblas_fill_17rocblas_diagonal_T1_iil, .Lfunc_end11-_ZN9rocsolver6v33100L18trti2_kernel_smallILi12EfPfEEv13rocblas_fill_17rocblas_diagonal_T1_iil
                                        ; -- End function
	.section	.AMDGPU.csdata,"",@progbits
; Kernel info:
; codeLenInByte = 12228
; NumSgprs: 36
; NumVgprs: 64
; NumAgprs: 0
; TotalNumVgprs: 64
; ScratchSize: 0
; MemoryBound: 0
; FloatMode: 240
; IeeeMode: 1
; LDSByteSize: 96 bytes/workgroup (compile time only)
; SGPRBlocks: 4
; VGPRBlocks: 7
; NumSGPRsForWavesPerEU: 36
; NumVGPRsForWavesPerEU: 64
; AccumOffset: 64
; Occupancy: 8
; WaveLimiterHint : 0
; COMPUTE_PGM_RSRC2:SCRATCH_EN: 0
; COMPUTE_PGM_RSRC2:USER_SGPR: 6
; COMPUTE_PGM_RSRC2:TRAP_HANDLER: 0
; COMPUTE_PGM_RSRC2:TGID_X_EN: 1
; COMPUTE_PGM_RSRC2:TGID_Y_EN: 0
; COMPUTE_PGM_RSRC2:TGID_Z_EN: 0
; COMPUTE_PGM_RSRC2:TIDIG_COMP_CNT: 0
; COMPUTE_PGM_RSRC3_GFX90A:ACCUM_OFFSET: 15
; COMPUTE_PGM_RSRC3_GFX90A:TG_SPLIT: 0
	.section	.text._ZN9rocsolver6v33100L18trti2_kernel_smallILi13EfPfEEv13rocblas_fill_17rocblas_diagonal_T1_iil,"axG",@progbits,_ZN9rocsolver6v33100L18trti2_kernel_smallILi13EfPfEEv13rocblas_fill_17rocblas_diagonal_T1_iil,comdat
	.globl	_ZN9rocsolver6v33100L18trti2_kernel_smallILi13EfPfEEv13rocblas_fill_17rocblas_diagonal_T1_iil ; -- Begin function _ZN9rocsolver6v33100L18trti2_kernel_smallILi13EfPfEEv13rocblas_fill_17rocblas_diagonal_T1_iil
	.p2align	8
	.type	_ZN9rocsolver6v33100L18trti2_kernel_smallILi13EfPfEEv13rocblas_fill_17rocblas_diagonal_T1_iil,@function
_ZN9rocsolver6v33100L18trti2_kernel_smallILi13EfPfEEv13rocblas_fill_17rocblas_diagonal_T1_iil: ; @_ZN9rocsolver6v33100L18trti2_kernel_smallILi13EfPfEEv13rocblas_fill_17rocblas_diagonal_T1_iil
; %bb.0:
	v_cmp_gt_u32_e32 vcc, 13, v0
	s_and_saveexec_b64 s[0:1], vcc
	s_cbranch_execz .LBB12_304
; %bb.1:
	s_load_dwordx8 s[36:43], s[4:5], 0x0
	s_ashr_i32 s2, s6, 31
	v_lshlrev_b32_e32 v15, 2, v0
	s_waitcnt lgkmcnt(0)
	s_mul_i32 s3, s6, s43
	s_mul_hi_u32 s4, s6, s42
	s_add_i32 s3, s4, s3
	s_mul_i32 s2, s2, s42
	s_add_i32 s3, s3, s2
	s_mul_i32 s2, s6, s42
	s_ashr_i32 s1, s40, 31
	s_lshl_b64 s[2:3], s[2:3], 2
	s_mov_b32 s0, s40
	s_add_u32 s2, s38, s2
	s_addc_u32 s3, s39, s3
	s_lshl_b64 s[0:1], s[0:1], 2
	s_add_u32 s0, s2, s0
	s_addc_u32 s1, s3, s1
	v_mov_b32_e32 v1, s1
	v_add_co_u32_e32 v32, vcc, s0, v15
	s_ashr_i32 s3, s41, 31
	s_mov_b32 s2, s41
	v_addc_co_u32_e32 v33, vcc, 0, v1, vcc
	s_lshl_b64 s[2:3], s[2:3], 2
	v_add_co_u32_e32 v34, vcc, s2, v32
	s_add_i32 s2, s41, s41
	v_add_u32_e32 v2, s2, v0
	v_mov_b32_e32 v1, s3
	v_ashrrev_i32_e32 v3, 31, v2
	v_addc_co_u32_e32 v35, vcc, v33, v1, vcc
	v_lshlrev_b64 v[4:5], 2, v[2:3]
	v_add_u32_e32 v2, s41, v2
	v_mov_b32_e32 v1, s1
	v_add_co_u32_e32 v36, vcc, s0, v4
	v_ashrrev_i32_e32 v3, 31, v2
	v_addc_co_u32_e32 v37, vcc, v1, v5, vcc
	v_lshlrev_b64 v[4:5], 2, v[2:3]
	v_add_u32_e32 v2, s41, v2
	v_add_co_u32_e32 v38, vcc, s0, v4
	v_ashrrev_i32_e32 v3, 31, v2
	v_addc_co_u32_e32 v39, vcc, v1, v5, vcc
	v_lshlrev_b64 v[4:5], 2, v[2:3]
	v_add_u32_e32 v2, s41, v2
	;; [unrolled: 5-line block ×7, first 2 shown]
	v_add_co_u32_e32 v50, vcc, s0, v16
	v_ashrrev_i32_e32 v13, 31, v12
	v_addc_co_u32_e32 v51, vcc, v1, v17, vcc
	v_lshlrev_b64 v[16:17], 2, v[12:13]
	global_load_dword v3, v[34:35], off
	global_load_dword v4, v[36:37], off
	;; [unrolled: 1-line block ×8, first 2 shown]
	v_add_co_u32_e32 v52, vcc, s0, v16
	v_add_u32_e32 v16, s41, v12
	v_addc_co_u32_e32 v53, vcc, v1, v17, vcc
	v_ashrrev_i32_e32 v17, 31, v16
	v_lshlrev_b64 v[12:13], 2, v[16:17]
	v_add_u32_e32 v16, s41, v16
	v_add_co_u32_e32 v54, vcc, s0, v12
	v_ashrrev_i32_e32 v17, 31, v16
	v_addc_co_u32_e32 v55, vcc, v1, v13, vcc
	v_lshlrev_b64 v[16:17], 2, v[16:17]
	global_load_dword v11, v[50:51], off
	global_load_dword v12, v[52:53], off
	;; [unrolled: 1-line block ×3, first 2 shown]
	v_add_co_u32_e32 v56, vcc, s0, v16
	v_addc_co_u32_e32 v57, vcc, v1, v17, vcc
	global_load_dword v2, v15, s[0:1]
	global_load_dword v14, v[56:57], off
	s_cmpk_lg_i32 s37, 0x84
	v_mov_b32_e32 v1, 0
	s_cselect_b64 s[26:27], -1, 0
	s_cmpk_eq_i32 s37, 0x84
	v_mov_b32_e32 v16, -1.0
	v_cmp_eq_u32_e64 s[0:1], 0, v0
	s_cbranch_scc1 .LBB12_3
; %bb.2:
	v_cmp_eq_u32_e64 s[2:3], 1, v0
	s_waitcnt vmcnt(1)
	v_cndmask_b32_e64 v16, v2, v3, s[2:3]
	v_cmp_eq_u32_e64 s[4:5], 2, v0
	v_cndmask_b32_e64 v16, v16, v4, s[4:5]
	v_cmp_eq_u32_e64 s[6:7], 3, v0
	;; [unrolled: 2-line block ×11, first 2 shown]
	s_waitcnt vmcnt(0)
	v_cndmask_b32_e64 v16, v16, v14, s[24:25]
	v_div_scale_f32 v17, s[28:29], v16, v16, 1.0
	v_rcp_f32_e32 v18, v17
	v_fma_f32 v19, -v17, v18, 1.0
	v_fmac_f32_e32 v18, v19, v18
	v_div_scale_f32 v19, vcc, 1.0, v16, 1.0
	v_mul_f32_e32 v20, v19, v18
	v_fma_f32 v21, -v17, v20, v19
	v_fmac_f32_e32 v20, v21, v18
	v_fma_f32 v17, -v17, v20, v19
	v_div_fmas_f32 v17, v17, v18, v20
	v_div_fixup_f32 v16, v17, v16, 1.0
	v_cndmask_b32_e64 v14, v14, v16, s[24:25]
	v_cndmask_b32_e64 v13, v13, v16, s[22:23]
	;; [unrolled: 1-line block ×13, first 2 shown]
	v_xor_b32_e32 v16, 0x80000000, v16
.LBB12_3:
	s_cmpk_eq_i32 s36, 0x79
	v_add_u32_e32 v59, 64, v15
	ds_write_b32 v15, v16
	s_cbranch_scc1 .LBB12_7
; %bb.4:
	s_waitcnt vmcnt(0)
	v_pk_mov_b32 v[30:31], v[16:17], v[16:17] op_sel:[0,1]
	v_cmp_eq_u32_e64 s[2:3], 12, v0
	v_pk_mov_b32 v[28:29], v[14:15], v[14:15] op_sel:[0,1]
	v_pk_mov_b32 v[26:27], v[12:13], v[12:13] op_sel:[0,1]
	;; [unrolled: 1-line block ×7, first 2 shown]
	ds_write_b32 v59, v13
	s_waitcnt lgkmcnt(0)
	; wave barrier
	s_waitcnt lgkmcnt(0)
	s_and_saveexec_b64 s[0:1], s[2:3]
	s_cbranch_execz .LBB12_11
; %bb.5:
	s_and_b64 vcc, exec, s[26:27]
	s_cbranch_vccz .LBB12_8
; %bb.6:
	v_cmp_eq_u32_e32 vcc, 1, v0
	v_cndmask_b32_e32 v15, v2, v3, vcc
	v_cmp_eq_u32_e32 vcc, 2, v0
	v_cndmask_b32_e32 v15, v15, v4, vcc
	;; [unrolled: 2-line block ×8, first 2 shown]
	v_cmp_eq_u32_e32 vcc, 9, v0
	ds_read_b32 v16, v59
	v_cndmask_b32_e32 v15, v15, v11, vcc
	v_cmp_eq_u32_e32 vcc, 10, v0
	v_cndmask_b32_e32 v15, v15, v12, vcc
	v_cmp_eq_u32_e32 vcc, 11, v0
	;; [unrolled: 2-line block ×3, first 2 shown]
	v_cndmask_b32_e32 v15, v15, v14, vcc
	s_waitcnt lgkmcnt(0)
	v_mul_f32_e32 v15, v15, v16
	s_cbranch_execz .LBB12_9
	s_branch .LBB12_10
.LBB12_7:
                                        ; implicit-def: $vgpr16_vgpr17_vgpr18_vgpr19_vgpr20_vgpr21_vgpr22_vgpr23_vgpr24_vgpr25_vgpr26_vgpr27_vgpr28_vgpr29_vgpr30_vgpr31
	s_cbranch_execnz .LBB12_178
	s_branch .LBB12_303
.LBB12_8:
                                        ; implicit-def: $vgpr15
.LBB12_9:
	ds_read_b32 v15, v59
.LBB12_10:
	v_mov_b32_e32 v16, 0
	ds_read_b32 v20, v16 offset:44
	v_mov_b32_e32 v16, v2
	v_mov_b32_e32 v17, v3
	;; [unrolled: 1-line block ×4, first 2 shown]
	s_waitcnt lgkmcnt(0)
	v_mul_f32_e32 v27, v15, v20
	v_mov_b32_e32 v20, v6
	v_mov_b32_e32 v21, v7
	;; [unrolled: 1-line block ×8, first 2 shown]
.LBB12_11:
	s_or_b64 exec, exec, s[0:1]
	v_cmp_lt_u32_e64 s[0:1], 10, v0
	ds_write_b32 v59, v26
	s_waitcnt lgkmcnt(0)
	; wave barrier
	s_waitcnt lgkmcnt(0)
	s_and_saveexec_b64 s[4:5], s[0:1]
	s_cbranch_execz .LBB12_17
; %bb.12:
	s_andn2_b64 vcc, exec, s[26:27]
	s_cbranch_vccnz .LBB12_14
; %bb.13:
	v_cmp_eq_u32_e32 vcc, 1, v0
	v_cndmask_b32_e32 v15, v16, v17, vcc
	v_cmp_eq_u32_e32 vcc, 2, v0
	v_cndmask_b32_e32 v15, v15, v18, vcc
	;; [unrolled: 2-line block ×10, first 2 shown]
	ds_read_b32 v26, v59
	v_cmp_eq_u32_e32 vcc, 11, v0
	v_cndmask_b32_e32 v15, v15, v27, vcc
	v_cmp_eq_u32_e32 vcc, 12, v0
	v_cndmask_b32_e32 v15, v15, v28, vcc
	s_waitcnt lgkmcnt(0)
	v_mul_f32_e32 v15, v15, v26
	s_cbranch_execz .LBB12_15
	s_branch .LBB12_16
.LBB12_14:
                                        ; implicit-def: $vgpr15
.LBB12_15:
	ds_read_b32 v15, v59
.LBB12_16:
	v_mov_b32_e32 v26, 0
	ds_read2_b32 v[30:31], v26 offset0:10 offset1:27
	s_waitcnt lgkmcnt(0)
	v_fma_f32 v26, v27, v31, v15
	v_cndmask_b32_e64 v15, v15, v26, s[2:3]
	v_mul_f32_e32 v26, v15, v30
.LBB12_17:
	s_or_b64 exec, exec, s[4:5]
	v_cmp_lt_u32_e64 s[2:3], 9, v0
	ds_write_b32 v59, v25
	s_waitcnt lgkmcnt(0)
	; wave barrier
	s_waitcnt lgkmcnt(0)
	s_and_saveexec_b64 s[4:5], s[2:3]
	s_cbranch_execz .LBB12_33
; %bb.18:
	s_andn2_b64 vcc, exec, s[26:27]
	s_cbranch_vccnz .LBB12_20
; %bb.19:
	v_cmp_eq_u32_e32 vcc, 1, v0
	v_cndmask_b32_e32 v15, v16, v17, vcc
	v_cmp_eq_u32_e32 vcc, 2, v0
	v_cndmask_b32_e32 v15, v15, v18, vcc
	;; [unrolled: 2-line block ×8, first 2 shown]
	v_cmp_eq_u32_e32 vcc, 9, v0
	ds_read_b32 v58, v59
	v_cndmask_b32_e32 v15, v15, v25, vcc
	v_cmp_eq_u32_e32 vcc, 10, v0
	v_cndmask_b32_e32 v15, v15, v26, vcc
	v_cmp_eq_u32_e32 vcc, 11, v0
	;; [unrolled: 2-line block ×3, first 2 shown]
	v_cndmask_b32_e32 v15, v15, v28, vcc
	s_waitcnt lgkmcnt(0)
	v_mul_f32_e32 v61, v15, v58
	s_cbranch_execz .LBB12_21
	s_branch .LBB12_22
.LBB12_20:
                                        ; implicit-def: $vgpr61
.LBB12_21:
	ds_read_b32 v61, v59
.LBB12_22:
	s_and_saveexec_b64 s[6:7], s[0:1]
	s_cbranch_execz .LBB12_32
; %bb.23:
	v_add_u32_e32 v58, -11, v0
	v_add_u32_e32 v15, -10, v0
	v_cmp_lt_u32_e32 vcc, 6, v58
	v_mov_b32_e32 v58, 10
	s_and_saveexec_b64 s[0:1], vcc
	s_cbranch_execz .LBB12_27
; %bb.24:
	v_and_b32_e32 v58, -8, v15
	v_sub_u32_e32 v60, 0, v58
	s_mov_b64 s[8:9], 17
	s_movk_i32 s12, 0x68
	s_mov_b64 s[10:11], 0
.LBB12_25:                              ; =>This Inner Loop Header: Depth=1
	s_add_i32 s13, s8, -7
	v_mov_b32_e32 v66, s12
	s_set_gpr_idx_on s13, gpr_idx(SRC0)
	v_mov_b32_e32 v58, v16
	s_set_gpr_idx_off
	ds_read2_b64 v[62:65], v66 offset1:1
	s_add_i32 s13, s8, -6
	s_waitcnt lgkmcnt(0)
	v_fmac_f32_e32 v61, v58, v62
	s_set_gpr_idx_on s13, gpr_idx(SRC0)
	v_mov_b32_e32 v58, v16
	s_set_gpr_idx_off
	s_add_i32 s13, s8, -5
	v_fmac_f32_e32 v61, v58, v63
	s_set_gpr_idx_on s13, gpr_idx(SRC0)
	v_mov_b32_e32 v58, v16
	s_set_gpr_idx_off
	s_add_i32 s13, s8, -4
	;; [unrolled: 5-line block ×3, first 2 shown]
	v_fmac_f32_e32 v61, v58, v65
	s_set_gpr_idx_on s13, gpr_idx(SRC0)
	v_mov_b32_e32 v58, v16
	s_set_gpr_idx_off
	ds_read2_b64 v[62:65], v66 offset0:2 offset1:3
	s_add_i32 s13, s8, -2
	s_waitcnt lgkmcnt(0)
	v_fmac_f32_e32 v61, v58, v62
	s_set_gpr_idx_on s13, gpr_idx(SRC0)
	v_mov_b32_e32 v58, v16
	s_set_gpr_idx_off
	s_add_i32 s13, s8, -1
	v_fmac_f32_e32 v61, v58, v63
	s_set_gpr_idx_on s13, gpr_idx(SRC0)
	v_mov_b32_e32 v58, v16
	s_set_gpr_idx_off
	v_fmac_f32_e32 v61, v58, v64
	s_set_gpr_idx_on s8, gpr_idx(SRC0)
	v_mov_b32_e32 v58, v16
	s_set_gpr_idx_off
	s_add_u32 s8, s8, 8
	v_fmac_f32_e32 v61, v58, v65
	v_add_u32_e32 v58, s8, v60
	s_addc_u32 s9, s9, 0
	s_add_i32 s12, s12, 32
	v_cmp_eq_u32_e32 vcc, 17, v58
	s_add_i32 s13, s8, -7
	s_or_b64 s[10:11], vcc, s[10:11]
	v_mov_b32_e32 v58, s13
	s_andn2_b64 exec, exec, s[10:11]
	s_cbranch_execnz .LBB12_25
; %bb.26:
	s_or_b64 exec, exec, s[10:11]
.LBB12_27:
	s_or_b64 exec, exec, s[0:1]
	v_and_b32_e32 v29, 7, v15
	v_cmp_ne_u32_e32 vcc, 0, v29
	s_and_saveexec_b64 s[8:9], vcc
	s_cbranch_execz .LBB12_31
; %bb.28:
	v_lshl_add_u32 v30, v58, 2, 64
	v_mov_b32_e32 v15, 0
	s_mov_b64 s[10:11], 0
.LBB12_29:                              ; =>This Inner Loop Header: Depth=1
	v_cmp_eq_u32_e32 vcc, 1, v58
	v_cndmask_b32_e32 v31, v16, v17, vcc
	v_add_u32_e32 v29, -1, v29
	v_cmp_eq_u32_e32 vcc, 2, v58
	v_cndmask_b32_e32 v31, v31, v18, vcc
	v_cmp_eq_u32_e32 vcc, 0, v29
	v_cmp_eq_u32_e64 s[0:1], 3, v58
	v_cndmask_b32_e64 v31, v31, v19, s[0:1]
	s_or_b64 s[10:11], vcc, s[10:11]
	v_cmp_eq_u32_e32 vcc, 4, v58
	v_cndmask_b32_e32 v31, v31, v20, vcc
	v_cmp_eq_u32_e32 vcc, 5, v58
	v_cndmask_b32_e32 v31, v31, v21, vcc
	;; [unrolled: 2-line block ×4, first 2 shown]
	v_cmp_eq_u32_e32 vcc, 8, v58
	ds_read_b32 v60, v30
	v_cndmask_b32_e32 v31, v31, v24, vcc
	v_cmp_eq_u32_e32 vcc, 9, v58
	v_cndmask_b32_e32 v31, v31, v25, vcc
	v_cmp_eq_u32_e32 vcc, 10, v58
	;; [unrolled: 2-line block ×4, first 2 shown]
	v_add_co_u32_e64 v58, s[0:1], 1, v58
	v_cndmask_b32_e32 v31, v31, v28, vcc
	v_add_u32_e32 v30, 4, v30
	v_addc_co_u32_e64 v15, s[0:1], 0, v15, s[0:1]
	s_waitcnt lgkmcnt(0)
	v_fmac_f32_e32 v61, v31, v60
	s_andn2_b64 exec, exec, s[10:11]
	s_cbranch_execnz .LBB12_29
; %bb.30:
	s_or_b64 exec, exec, s[10:11]
.LBB12_31:
	s_or_b64 exec, exec, s[8:9]
.LBB12_32:
	s_or_b64 exec, exec, s[6:7]
	v_mov_b32_e32 v15, 0
	ds_read_b32 v15, v15 offset:36
	s_waitcnt lgkmcnt(0)
	v_mul_f32_e32 v25, v61, v15
.LBB12_33:
	s_or_b64 exec, exec, s[4:5]
	v_cmp_lt_u32_e64 s[0:1], 8, v0
	ds_write_b32 v59, v24
	s_waitcnt lgkmcnt(0)
	; wave barrier
	s_waitcnt lgkmcnt(0)
	s_and_saveexec_b64 s[4:5], s[0:1]
	s_cbranch_execz .LBB12_49
; %bb.34:
	s_andn2_b64 vcc, exec, s[26:27]
	s_cbranch_vccnz .LBB12_36
; %bb.35:
	v_cmp_eq_u32_e32 vcc, 1, v0
	v_cndmask_b32_e32 v15, v16, v17, vcc
	v_cmp_eq_u32_e32 vcc, 2, v0
	v_cndmask_b32_e32 v15, v15, v18, vcc
	;; [unrolled: 2-line block ×8, first 2 shown]
	v_cmp_eq_u32_e32 vcc, 9, v0
	ds_read_b32 v58, v59
	v_cndmask_b32_e32 v15, v15, v25, vcc
	v_cmp_eq_u32_e32 vcc, 10, v0
	v_cndmask_b32_e32 v15, v15, v26, vcc
	v_cmp_eq_u32_e32 vcc, 11, v0
	;; [unrolled: 2-line block ×3, first 2 shown]
	v_cndmask_b32_e32 v15, v15, v28, vcc
	s_waitcnt lgkmcnt(0)
	v_mul_f32_e32 v61, v15, v58
	s_cbranch_execz .LBB12_37
	s_branch .LBB12_38
.LBB12_36:
                                        ; implicit-def: $vgpr61
.LBB12_37:
	ds_read_b32 v61, v59
.LBB12_38:
	s_and_saveexec_b64 s[6:7], s[2:3]
	s_cbranch_execz .LBB12_48
; %bb.39:
	v_add_u32_e32 v58, -10, v0
	v_add_u32_e32 v15, -9, v0
	v_cmp_lt_u32_e32 vcc, 6, v58
	v_mov_b32_e32 v58, 9
	s_and_saveexec_b64 s[2:3], vcc
	s_cbranch_execz .LBB12_43
; %bb.40:
	v_and_b32_e32 v58, -8, v15
	v_sub_u32_e32 v60, 0, v58
	s_mov_b64 s[8:9], 16
	s_movk_i32 s12, 0x64
	s_mov_b64 s[10:11], 0
.LBB12_41:                              ; =>This Inner Loop Header: Depth=1
	s_add_i32 s13, s8, -7
	v_mov_b32_e32 v64, s12
	s_set_gpr_idx_on s13, gpr_idx(SRC0)
	v_mov_b32_e32 v58, v16
	s_set_gpr_idx_off
	ds_read2_b32 v[62:63], v64 offset1:1
	s_add_i32 s13, s8, -6
	s_waitcnt lgkmcnt(0)
	v_fmac_f32_e32 v61, v58, v62
	s_set_gpr_idx_on s13, gpr_idx(SRC0)
	v_mov_b32_e32 v58, v16
	s_set_gpr_idx_off
	s_add_i32 s13, s8, -5
	v_fmac_f32_e32 v61, v58, v63
	s_set_gpr_idx_on s13, gpr_idx(SRC0)
	v_mov_b32_e32 v58, v16
	s_set_gpr_idx_off
	ds_read2_b32 v[62:63], v64 offset0:2 offset1:3
	s_add_i32 s13, s8, -4
	s_waitcnt lgkmcnt(0)
	v_fmac_f32_e32 v61, v58, v62
	s_set_gpr_idx_on s13, gpr_idx(SRC0)
	v_mov_b32_e32 v58, v16
	s_set_gpr_idx_off
	s_add_i32 s13, s8, -3
	v_fmac_f32_e32 v61, v58, v63
	s_set_gpr_idx_on s13, gpr_idx(SRC0)
	v_mov_b32_e32 v58, v16
	s_set_gpr_idx_off
	ds_read2_b32 v[62:63], v64 offset0:4 offset1:5
	;; [unrolled: 12-line block ×3, first 2 shown]
	s_waitcnt lgkmcnt(0)
	v_fmac_f32_e32 v61, v58, v62
	s_set_gpr_idx_on s8, gpr_idx(SRC0)
	v_mov_b32_e32 v58, v16
	s_set_gpr_idx_off
	s_add_u32 s8, s8, 8
	v_fmac_f32_e32 v61, v58, v63
	v_add_u32_e32 v58, s8, v60
	s_addc_u32 s9, s9, 0
	s_add_i32 s12, s12, 32
	v_cmp_eq_u32_e32 vcc, 16, v58
	s_add_i32 s13, s8, -7
	s_or_b64 s[10:11], vcc, s[10:11]
	v_mov_b32_e32 v58, s13
	s_andn2_b64 exec, exec, s[10:11]
	s_cbranch_execnz .LBB12_41
; %bb.42:
	s_or_b64 exec, exec, s[10:11]
.LBB12_43:
	s_or_b64 exec, exec, s[2:3]
	v_and_b32_e32 v29, 7, v15
	v_cmp_ne_u32_e32 vcc, 0, v29
	s_and_saveexec_b64 s[8:9], vcc
	s_cbranch_execz .LBB12_47
; %bb.44:
	v_lshl_add_u32 v30, v58, 2, 64
	v_mov_b32_e32 v15, 0
	s_mov_b64 s[10:11], 0
.LBB12_45:                              ; =>This Inner Loop Header: Depth=1
	v_cmp_eq_u32_e32 vcc, 1, v58
	v_cndmask_b32_e32 v31, v16, v17, vcc
	v_add_u32_e32 v29, -1, v29
	v_cmp_eq_u32_e32 vcc, 2, v58
	v_cndmask_b32_e32 v31, v31, v18, vcc
	v_cmp_eq_u32_e32 vcc, 0, v29
	v_cmp_eq_u32_e64 s[2:3], 3, v58
	v_cndmask_b32_e64 v31, v31, v19, s[2:3]
	s_or_b64 s[10:11], vcc, s[10:11]
	v_cmp_eq_u32_e32 vcc, 4, v58
	v_cndmask_b32_e32 v31, v31, v20, vcc
	v_cmp_eq_u32_e32 vcc, 5, v58
	v_cndmask_b32_e32 v31, v31, v21, vcc
	v_cmp_eq_u32_e32 vcc, 6, v58
	v_cndmask_b32_e32 v31, v31, v22, vcc
	v_cmp_eq_u32_e32 vcc, 7, v58
	v_cndmask_b32_e32 v31, v31, v23, vcc
	v_cmp_eq_u32_e32 vcc, 8, v58
	ds_read_b32 v60, v30
	v_cndmask_b32_e32 v31, v31, v24, vcc
	v_cmp_eq_u32_e32 vcc, 9, v58
	v_cndmask_b32_e32 v31, v31, v25, vcc
	v_cmp_eq_u32_e32 vcc, 10, v58
	;; [unrolled: 2-line block ×4, first 2 shown]
	v_add_co_u32_e64 v58, s[2:3], 1, v58
	v_cndmask_b32_e32 v31, v31, v28, vcc
	v_add_u32_e32 v30, 4, v30
	v_addc_co_u32_e64 v15, s[2:3], 0, v15, s[2:3]
	s_waitcnt lgkmcnt(0)
	v_fmac_f32_e32 v61, v31, v60
	s_andn2_b64 exec, exec, s[10:11]
	s_cbranch_execnz .LBB12_45
; %bb.46:
	s_or_b64 exec, exec, s[10:11]
.LBB12_47:
	s_or_b64 exec, exec, s[8:9]
.LBB12_48:
	s_or_b64 exec, exec, s[6:7]
	v_mov_b32_e32 v15, 0
	ds_read_b32 v15, v15 offset:32
	s_waitcnt lgkmcnt(0)
	v_mul_f32_e32 v24, v61, v15
.LBB12_49:
	s_or_b64 exec, exec, s[4:5]
	v_cmp_lt_u32_e64 s[2:3], 7, v0
	ds_write_b32 v59, v23
	s_waitcnt lgkmcnt(0)
	; wave barrier
	s_waitcnt lgkmcnt(0)
	s_and_saveexec_b64 s[4:5], s[2:3]
	s_cbranch_execz .LBB12_65
; %bb.50:
	s_andn2_b64 vcc, exec, s[26:27]
	s_cbranch_vccnz .LBB12_52
; %bb.51:
	v_cmp_eq_u32_e32 vcc, 1, v0
	v_cndmask_b32_e32 v15, v16, v17, vcc
	v_cmp_eq_u32_e32 vcc, 2, v0
	v_cndmask_b32_e32 v15, v15, v18, vcc
	;; [unrolled: 2-line block ×8, first 2 shown]
	v_cmp_eq_u32_e32 vcc, 9, v0
	ds_read_b32 v58, v59
	v_cndmask_b32_e32 v15, v15, v25, vcc
	v_cmp_eq_u32_e32 vcc, 10, v0
	v_cndmask_b32_e32 v15, v15, v26, vcc
	v_cmp_eq_u32_e32 vcc, 11, v0
	;; [unrolled: 2-line block ×3, first 2 shown]
	v_cndmask_b32_e32 v15, v15, v28, vcc
	s_waitcnt lgkmcnt(0)
	v_mul_f32_e32 v61, v15, v58
	s_cbranch_execz .LBB12_53
	s_branch .LBB12_54
.LBB12_52:
                                        ; implicit-def: $vgpr61
.LBB12_53:
	ds_read_b32 v61, v59
.LBB12_54:
	s_and_saveexec_b64 s[6:7], s[0:1]
	s_cbranch_execz .LBB12_64
; %bb.55:
	v_add_u32_e32 v15, -9, v0
	v_cmp_lt_u32_e32 vcc, 6, v15
	v_mov_b32_e32 v58, 8
	s_and_saveexec_b64 s[0:1], vcc
	s_cbranch_execz .LBB12_59
; %bb.56:
	v_and_b32_e32 v15, 8, v0
	v_sub_u32_e32 v60, 0, v15
	s_mov_b64 s[8:9], 15
	s_movk_i32 s12, 0x60
	s_mov_b64 s[10:11], 0
.LBB12_57:                              ; =>This Inner Loop Header: Depth=1
	s_add_i32 s13, s8, -7
	v_mov_b32_e32 v15, s12
	s_add_i32 s14, s8, -6
	s_set_gpr_idx_on s13, gpr_idx(SRC0)
	v_mov_b32_e32 v58, v16
	s_set_gpr_idx_off
	s_add_i32 s15, s8, -5
	ds_read_b128 v[62:65], v15
	ds_read_b128 v[66:69], v15 offset:16
	s_set_gpr_idx_on s14, gpr_idx(SRC0)
	v_mov_b32_e32 v15, v16
	s_set_gpr_idx_off
	s_add_i32 s16, s8, -4
	s_set_gpr_idx_on s15, gpr_idx(SRC0)
	v_mov_b32_e32 v70, v16
	s_set_gpr_idx_off
	s_add_i32 s17, s8, -3
	;; [unrolled: 4-line block ×4, first 2 shown]
	s_waitcnt lgkmcnt(1)
	v_fmac_f32_e32 v61, v58, v62
	s_set_gpr_idx_on s18, gpr_idx(SRC0)
	v_mov_b32_e32 v62, v16
	s_set_gpr_idx_off
	v_fmac_f32_e32 v61, v15, v63
	s_set_gpr_idx_on s19, gpr_idx(SRC0)
	v_mov_b32_e32 v15, v16
	s_set_gpr_idx_off
	;; [unrolled: 4-line block ×3, first 2 shown]
	v_fmac_f32_e32 v61, v71, v65
	s_add_u32 s8, s8, 8
	s_waitcnt lgkmcnt(0)
	v_fmac_f32_e32 v61, v72, v66
	v_add_u32_e32 v58, s8, v60
	v_fmac_f32_e32 v61, v62, v67
	s_addc_u32 s9, s9, 0
	s_add_i32 s12, s12, 32
	s_add_i32 s13, s8, -7
	v_cmp_eq_u32_e32 vcc, 7, v58
	v_fmac_f32_e32 v61, v15, v68
	v_mov_b32_e32 v58, s13
	s_or_b64 s[10:11], vcc, s[10:11]
	v_fmac_f32_e32 v61, v63, v69
	s_andn2_b64 exec, exec, s[10:11]
	s_cbranch_execnz .LBB12_57
; %bb.58:
	s_or_b64 exec, exec, s[10:11]
.LBB12_59:
	s_or_b64 exec, exec, s[0:1]
	v_and_b32_e32 v29, 7, v0
	v_cmp_ne_u32_e32 vcc, 0, v29
	s_and_saveexec_b64 s[8:9], vcc
	s_cbranch_execz .LBB12_63
; %bb.60:
	v_lshl_add_u32 v30, v58, 2, 64
	v_mov_b32_e32 v15, 0
	s_mov_b64 s[10:11], 0
.LBB12_61:                              ; =>This Inner Loop Header: Depth=1
	v_cmp_eq_u32_e32 vcc, 1, v58
	v_cndmask_b32_e32 v31, v16, v17, vcc
	v_add_u32_e32 v29, -1, v29
	v_cmp_eq_u32_e32 vcc, 2, v58
	v_cndmask_b32_e32 v31, v31, v18, vcc
	v_cmp_eq_u32_e32 vcc, 0, v29
	v_cmp_eq_u32_e64 s[0:1], 3, v58
	v_cndmask_b32_e64 v31, v31, v19, s[0:1]
	s_or_b64 s[10:11], vcc, s[10:11]
	v_cmp_eq_u32_e32 vcc, 4, v58
	v_cndmask_b32_e32 v31, v31, v20, vcc
	v_cmp_eq_u32_e32 vcc, 5, v58
	v_cndmask_b32_e32 v31, v31, v21, vcc
	;; [unrolled: 2-line block ×4, first 2 shown]
	v_cmp_eq_u32_e32 vcc, 8, v58
	ds_read_b32 v60, v30
	v_cndmask_b32_e32 v31, v31, v24, vcc
	v_cmp_eq_u32_e32 vcc, 9, v58
	v_cndmask_b32_e32 v31, v31, v25, vcc
	v_cmp_eq_u32_e32 vcc, 10, v58
	;; [unrolled: 2-line block ×4, first 2 shown]
	v_add_co_u32_e64 v58, s[0:1], 1, v58
	v_cndmask_b32_e32 v31, v31, v28, vcc
	v_add_u32_e32 v30, 4, v30
	v_addc_co_u32_e64 v15, s[0:1], 0, v15, s[0:1]
	s_waitcnt lgkmcnt(0)
	v_fmac_f32_e32 v61, v31, v60
	s_andn2_b64 exec, exec, s[10:11]
	s_cbranch_execnz .LBB12_61
; %bb.62:
	s_or_b64 exec, exec, s[10:11]
.LBB12_63:
	s_or_b64 exec, exec, s[8:9]
.LBB12_64:
	s_or_b64 exec, exec, s[6:7]
	v_mov_b32_e32 v15, 0
	ds_read_b32 v15, v15 offset:28
	s_waitcnt lgkmcnt(0)
	v_mul_f32_e32 v23, v61, v15
.LBB12_65:
	s_or_b64 exec, exec, s[4:5]
	v_cmp_lt_u32_e64 s[0:1], 6, v0
	ds_write_b32 v59, v22
	s_waitcnt lgkmcnt(0)
	; wave barrier
	s_waitcnt lgkmcnt(0)
	s_and_saveexec_b64 s[4:5], s[0:1]
	s_cbranch_execz .LBB12_81
; %bb.66:
	s_andn2_b64 vcc, exec, s[26:27]
	s_cbranch_vccnz .LBB12_68
; %bb.67:
	v_cmp_eq_u32_e32 vcc, 1, v0
	v_cndmask_b32_e32 v15, v16, v17, vcc
	v_cmp_eq_u32_e32 vcc, 2, v0
	v_cndmask_b32_e32 v15, v15, v18, vcc
	;; [unrolled: 2-line block ×8, first 2 shown]
	v_cmp_eq_u32_e32 vcc, 9, v0
	ds_read_b32 v58, v59
	v_cndmask_b32_e32 v15, v15, v25, vcc
	v_cmp_eq_u32_e32 vcc, 10, v0
	v_cndmask_b32_e32 v15, v15, v26, vcc
	v_cmp_eq_u32_e32 vcc, 11, v0
	;; [unrolled: 2-line block ×3, first 2 shown]
	v_cndmask_b32_e32 v15, v15, v28, vcc
	s_waitcnt lgkmcnt(0)
	v_mul_f32_e32 v61, v15, v58
	s_cbranch_execz .LBB12_69
	s_branch .LBB12_70
.LBB12_68:
                                        ; implicit-def: $vgpr61
.LBB12_69:
	ds_read_b32 v61, v59
.LBB12_70:
	s_and_saveexec_b64 s[6:7], s[2:3]
	s_cbranch_execz .LBB12_80
; %bb.71:
	v_add_u32_e32 v58, -8, v0
	v_add_u32_e32 v15, -7, v0
	v_cmp_lt_u32_e32 vcc, 6, v58
	v_mov_b32_e32 v58, 7
	s_and_saveexec_b64 s[2:3], vcc
	s_cbranch_execz .LBB12_75
; %bb.72:
	v_and_b32_e32 v58, -8, v15
	v_sub_u32_e32 v60, 0, v58
	s_mov_b64 s[8:9], 14
	s_movk_i32 s12, 0x5c
	s_mov_b64 s[10:11], 0
.LBB12_73:                              ; =>This Inner Loop Header: Depth=1
	s_add_i32 s13, s8, -7
	v_mov_b32_e32 v58, s12
	s_add_i32 s14, s8, -6
	s_set_gpr_idx_on s13, gpr_idx(SRC0)
	v_mov_b32_e32 v68, v16
	s_set_gpr_idx_off
	ds_read2_b32 v[62:63], v58 offset1:1
	s_add_i32 s15, s8, -5
	s_set_gpr_idx_on s14, gpr_idx(SRC0)
	v_mov_b32_e32 v69, v16
	s_set_gpr_idx_off
	s_add_i32 s16, s8, -4
	s_set_gpr_idx_on s15, gpr_idx(SRC0)
	v_mov_b32_e32 v70, v16
	s_set_gpr_idx_off
	ds_read2_b32 v[64:65], v58 offset0:2 offset1:3
	s_add_i32 s17, s8, -3
	s_set_gpr_idx_on s16, gpr_idx(SRC0)
	v_mov_b32_e32 v71, v16
	s_set_gpr_idx_off
	s_add_i32 s18, s8, -2
	s_set_gpr_idx_on s17, gpr_idx(SRC0)
	v_mov_b32_e32 v72, v16
	s_set_gpr_idx_off
	ds_read2_b32 v[66:67], v58 offset0:4 offset1:5
	s_add_i32 s19, s8, -1
	s_waitcnt lgkmcnt(2)
	v_fmac_f32_e32 v61, v68, v62
	s_set_gpr_idx_on s18, gpr_idx(SRC0)
	v_mov_b32_e32 v68, v16
	s_set_gpr_idx_off
	v_fmac_f32_e32 v61, v69, v63
	s_set_gpr_idx_on s19, gpr_idx(SRC0)
	v_mov_b32_e32 v69, v16
	s_set_gpr_idx_off
	ds_read2_b32 v[62:63], v58 offset0:6 offset1:7
	s_waitcnt lgkmcnt(2)
	v_fmac_f32_e32 v61, v70, v64
	s_set_gpr_idx_on s8, gpr_idx(SRC0)
	v_mov_b32_e32 v64, v16
	s_set_gpr_idx_off
	v_fmac_f32_e32 v61, v71, v65
	s_add_u32 s8, s8, 8
	s_waitcnt lgkmcnt(1)
	v_fmac_f32_e32 v61, v72, v66
	v_add_u32_e32 v58, s8, v60
	v_fmac_f32_e32 v61, v68, v67
	s_addc_u32 s9, s9, 0
	s_add_i32 s12, s12, 32
	s_add_i32 s13, s8, -7
	v_cmp_eq_u32_e32 vcc, 14, v58
	s_waitcnt lgkmcnt(0)
	v_fmac_f32_e32 v61, v69, v62
	v_mov_b32_e32 v58, s13
	s_or_b64 s[10:11], vcc, s[10:11]
	v_fmac_f32_e32 v61, v64, v63
	s_andn2_b64 exec, exec, s[10:11]
	s_cbranch_execnz .LBB12_73
; %bb.74:
	s_or_b64 exec, exec, s[10:11]
.LBB12_75:
	s_or_b64 exec, exec, s[2:3]
	v_and_b32_e32 v29, 7, v15
	v_cmp_ne_u32_e32 vcc, 0, v29
	s_and_saveexec_b64 s[8:9], vcc
	s_cbranch_execz .LBB12_79
; %bb.76:
	v_lshl_add_u32 v30, v58, 2, 64
	v_mov_b32_e32 v15, 0
	s_mov_b64 s[10:11], 0
.LBB12_77:                              ; =>This Inner Loop Header: Depth=1
	v_cmp_eq_u32_e32 vcc, 1, v58
	v_cndmask_b32_e32 v31, v16, v17, vcc
	v_add_u32_e32 v29, -1, v29
	v_cmp_eq_u32_e32 vcc, 2, v58
	v_cndmask_b32_e32 v31, v31, v18, vcc
	v_cmp_eq_u32_e32 vcc, 0, v29
	v_cmp_eq_u32_e64 s[2:3], 3, v58
	v_cndmask_b32_e64 v31, v31, v19, s[2:3]
	s_or_b64 s[10:11], vcc, s[10:11]
	v_cmp_eq_u32_e32 vcc, 4, v58
	v_cndmask_b32_e32 v31, v31, v20, vcc
	v_cmp_eq_u32_e32 vcc, 5, v58
	v_cndmask_b32_e32 v31, v31, v21, vcc
	;; [unrolled: 2-line block ×4, first 2 shown]
	v_cmp_eq_u32_e32 vcc, 8, v58
	ds_read_b32 v60, v30
	v_cndmask_b32_e32 v31, v31, v24, vcc
	v_cmp_eq_u32_e32 vcc, 9, v58
	v_cndmask_b32_e32 v31, v31, v25, vcc
	v_cmp_eq_u32_e32 vcc, 10, v58
	;; [unrolled: 2-line block ×4, first 2 shown]
	v_add_co_u32_e64 v58, s[2:3], 1, v58
	v_cndmask_b32_e32 v31, v31, v28, vcc
	v_add_u32_e32 v30, 4, v30
	v_addc_co_u32_e64 v15, s[2:3], 0, v15, s[2:3]
	s_waitcnt lgkmcnt(0)
	v_fmac_f32_e32 v61, v31, v60
	s_andn2_b64 exec, exec, s[10:11]
	s_cbranch_execnz .LBB12_77
; %bb.78:
	s_or_b64 exec, exec, s[10:11]
.LBB12_79:
	s_or_b64 exec, exec, s[8:9]
.LBB12_80:
	s_or_b64 exec, exec, s[6:7]
	v_mov_b32_e32 v15, 0
	ds_read_b32 v15, v15 offset:24
	s_waitcnt lgkmcnt(0)
	v_mul_f32_e32 v22, v61, v15
.LBB12_81:
	s_or_b64 exec, exec, s[4:5]
	v_cmp_lt_u32_e64 s[2:3], 5, v0
	ds_write_b32 v59, v21
	s_waitcnt lgkmcnt(0)
	; wave barrier
	s_waitcnt lgkmcnt(0)
	s_and_saveexec_b64 s[4:5], s[2:3]
	s_cbranch_execz .LBB12_97
; %bb.82:
	s_andn2_b64 vcc, exec, s[26:27]
	s_cbranch_vccnz .LBB12_84
; %bb.83:
	v_cmp_eq_u32_e32 vcc, 1, v0
	v_cndmask_b32_e32 v15, v16, v17, vcc
	v_cmp_eq_u32_e32 vcc, 2, v0
	v_cndmask_b32_e32 v15, v15, v18, vcc
	;; [unrolled: 2-line block ×8, first 2 shown]
	v_cmp_eq_u32_e32 vcc, 9, v0
	ds_read_b32 v58, v59
	v_cndmask_b32_e32 v15, v15, v25, vcc
	v_cmp_eq_u32_e32 vcc, 10, v0
	v_cndmask_b32_e32 v15, v15, v26, vcc
	v_cmp_eq_u32_e32 vcc, 11, v0
	;; [unrolled: 2-line block ×3, first 2 shown]
	v_cndmask_b32_e32 v15, v15, v28, vcc
	s_waitcnt lgkmcnt(0)
	v_mul_f32_e32 v61, v15, v58
	s_cbranch_execz .LBB12_85
	s_branch .LBB12_86
.LBB12_84:
                                        ; implicit-def: $vgpr61
.LBB12_85:
	ds_read_b32 v61, v59
.LBB12_86:
	s_and_saveexec_b64 s[6:7], s[0:1]
	s_cbranch_execz .LBB12_96
; %bb.87:
	v_add_u32_e32 v58, -7, v0
	v_add_u32_e32 v15, -6, v0
	v_cmp_lt_u32_e32 vcc, 6, v58
	v_mov_b32_e32 v58, 6
	s_and_saveexec_b64 s[0:1], vcc
	s_cbranch_execz .LBB12_91
; %bb.88:
	v_and_b32_e32 v58, -8, v15
	v_sub_u32_e32 v60, 0, v58
	s_mov_b64 s[8:9], 13
	s_movk_i32 s12, 0x58
	s_mov_b64 s[10:11], 0
.LBB12_89:                              ; =>This Inner Loop Header: Depth=1
	s_add_i32 s13, s8, -7
	v_mov_b32_e32 v58, s12
	s_add_i32 s14, s8, -6
	s_set_gpr_idx_on s13, gpr_idx(SRC0)
	v_mov_b32_e32 v70, v16
	s_set_gpr_idx_off
	ds_read2_b64 v[62:65], v58 offset1:1
	s_add_i32 s15, s8, -5
	s_set_gpr_idx_on s14, gpr_idx(SRC0)
	v_mov_b32_e32 v71, v16
	s_set_gpr_idx_off
	s_add_i32 s16, s8, -4
	s_set_gpr_idx_on s15, gpr_idx(SRC0)
	v_mov_b32_e32 v72, v16
	s_set_gpr_idx_off
	;; [unrolled: 4-line block ×4, first 2 shown]
	ds_read2_b64 v[66:69], v58 offset0:2 offset1:3
	s_add_i32 s19, s8, -1
	s_waitcnt lgkmcnt(1)
	v_fmac_f32_e32 v61, v70, v62
	s_set_gpr_idx_on s18, gpr_idx(SRC0)
	v_mov_b32_e32 v62, v16
	s_set_gpr_idx_off
	v_fmac_f32_e32 v61, v71, v63
	s_set_gpr_idx_on s19, gpr_idx(SRC0)
	v_mov_b32_e32 v63, v16
	s_set_gpr_idx_off
	;; [unrolled: 4-line block ×3, first 2 shown]
	v_fmac_f32_e32 v61, v73, v65
	s_add_u32 s8, s8, 8
	s_waitcnt lgkmcnt(0)
	v_fmac_f32_e32 v61, v74, v66
	v_add_u32_e32 v58, s8, v60
	v_fmac_f32_e32 v61, v62, v67
	s_addc_u32 s9, s9, 0
	s_add_i32 s12, s12, 32
	s_add_i32 s13, s8, -7
	v_cmp_eq_u32_e32 vcc, 13, v58
	v_fmac_f32_e32 v61, v63, v68
	v_mov_b32_e32 v58, s13
	s_or_b64 s[10:11], vcc, s[10:11]
	v_fmac_f32_e32 v61, v64, v69
	s_andn2_b64 exec, exec, s[10:11]
	s_cbranch_execnz .LBB12_89
; %bb.90:
	s_or_b64 exec, exec, s[10:11]
.LBB12_91:
	s_or_b64 exec, exec, s[0:1]
	v_and_b32_e32 v29, 7, v15
	v_cmp_ne_u32_e32 vcc, 0, v29
	s_and_saveexec_b64 s[8:9], vcc
	s_cbranch_execz .LBB12_95
; %bb.92:
	v_lshl_add_u32 v30, v58, 2, 64
	v_mov_b32_e32 v15, 0
	s_mov_b64 s[10:11], 0
.LBB12_93:                              ; =>This Inner Loop Header: Depth=1
	v_cmp_eq_u32_e32 vcc, 1, v58
	v_cndmask_b32_e32 v31, v16, v17, vcc
	v_add_u32_e32 v29, -1, v29
	v_cmp_eq_u32_e32 vcc, 2, v58
	v_cndmask_b32_e32 v31, v31, v18, vcc
	v_cmp_eq_u32_e32 vcc, 0, v29
	v_cmp_eq_u32_e64 s[0:1], 3, v58
	v_cndmask_b32_e64 v31, v31, v19, s[0:1]
	s_or_b64 s[10:11], vcc, s[10:11]
	v_cmp_eq_u32_e32 vcc, 4, v58
	v_cndmask_b32_e32 v31, v31, v20, vcc
	v_cmp_eq_u32_e32 vcc, 5, v58
	v_cndmask_b32_e32 v31, v31, v21, vcc
	;; [unrolled: 2-line block ×4, first 2 shown]
	v_cmp_eq_u32_e32 vcc, 8, v58
	ds_read_b32 v60, v30
	v_cndmask_b32_e32 v31, v31, v24, vcc
	v_cmp_eq_u32_e32 vcc, 9, v58
	v_cndmask_b32_e32 v31, v31, v25, vcc
	v_cmp_eq_u32_e32 vcc, 10, v58
	v_cndmask_b32_e32 v31, v31, v26, vcc
	v_cmp_eq_u32_e32 vcc, 11, v58
	v_cndmask_b32_e32 v31, v31, v27, vcc
	v_cmp_eq_u32_e32 vcc, 12, v58
	v_add_co_u32_e64 v58, s[0:1], 1, v58
	v_cndmask_b32_e32 v31, v31, v28, vcc
	v_add_u32_e32 v30, 4, v30
	v_addc_co_u32_e64 v15, s[0:1], 0, v15, s[0:1]
	s_waitcnt lgkmcnt(0)
	v_fmac_f32_e32 v61, v31, v60
	s_andn2_b64 exec, exec, s[10:11]
	s_cbranch_execnz .LBB12_93
; %bb.94:
	s_or_b64 exec, exec, s[10:11]
.LBB12_95:
	s_or_b64 exec, exec, s[8:9]
.LBB12_96:
	s_or_b64 exec, exec, s[6:7]
	v_mov_b32_e32 v15, 0
	ds_read_b32 v15, v15 offset:20
	s_waitcnt lgkmcnt(0)
	v_mul_f32_e32 v21, v61, v15
.LBB12_97:
	s_or_b64 exec, exec, s[4:5]
	v_cmp_lt_u32_e64 s[0:1], 4, v0
	ds_write_b32 v59, v20
	s_waitcnt lgkmcnt(0)
	; wave barrier
	s_waitcnt lgkmcnt(0)
	s_and_saveexec_b64 s[4:5], s[0:1]
	s_cbranch_execz .LBB12_113
; %bb.98:
	s_andn2_b64 vcc, exec, s[26:27]
	s_cbranch_vccnz .LBB12_100
; %bb.99:
	v_cmp_eq_u32_e32 vcc, 1, v0
	v_cndmask_b32_e32 v15, v16, v17, vcc
	v_cmp_eq_u32_e32 vcc, 2, v0
	v_cndmask_b32_e32 v15, v15, v18, vcc
	;; [unrolled: 2-line block ×8, first 2 shown]
	v_cmp_eq_u32_e32 vcc, 9, v0
	ds_read_b32 v58, v59
	v_cndmask_b32_e32 v15, v15, v25, vcc
	v_cmp_eq_u32_e32 vcc, 10, v0
	v_cndmask_b32_e32 v15, v15, v26, vcc
	v_cmp_eq_u32_e32 vcc, 11, v0
	v_cndmask_b32_e32 v15, v15, v27, vcc
	v_cmp_eq_u32_e32 vcc, 12, v0
	v_cndmask_b32_e32 v15, v15, v28, vcc
	s_waitcnt lgkmcnt(0)
	v_mul_f32_e32 v61, v15, v58
	s_cbranch_execz .LBB12_101
	s_branch .LBB12_102
.LBB12_100:
                                        ; implicit-def: $vgpr61
.LBB12_101:
	ds_read_b32 v61, v59
.LBB12_102:
	s_and_saveexec_b64 s[6:7], s[2:3]
	s_cbranch_execz .LBB12_112
; %bb.103:
	v_add_u32_e32 v58, -6, v0
	v_add_u32_e32 v15, -5, v0
	v_cmp_lt_u32_e32 vcc, 6, v58
	v_mov_b32_e32 v58, 5
	s_and_saveexec_b64 s[2:3], vcc
	s_cbranch_execz .LBB12_107
; %bb.104:
	v_and_b32_e32 v58, -8, v15
	v_sub_u32_e32 v60, 0, v58
	s_mov_b64 s[8:9], 12
	s_movk_i32 s12, 0x54
	s_mov_b64 s[10:11], 0
.LBB12_105:                             ; =>This Inner Loop Header: Depth=1
	s_add_i32 s13, s8, -7
	v_mov_b32_e32 v58, s12
	s_add_i32 s14, s8, -6
	s_set_gpr_idx_on s13, gpr_idx(SRC0)
	v_mov_b32_e32 v68, v16
	s_set_gpr_idx_off
	ds_read2_b32 v[62:63], v58 offset1:1
	s_add_i32 s15, s8, -5
	s_set_gpr_idx_on s14, gpr_idx(SRC0)
	v_mov_b32_e32 v69, v16
	s_set_gpr_idx_off
	s_add_i32 s16, s8, -4
	s_set_gpr_idx_on s15, gpr_idx(SRC0)
	v_mov_b32_e32 v70, v16
	s_set_gpr_idx_off
	ds_read2_b32 v[64:65], v58 offset0:2 offset1:3
	s_add_i32 s17, s8, -3
	s_set_gpr_idx_on s16, gpr_idx(SRC0)
	v_mov_b32_e32 v71, v16
	s_set_gpr_idx_off
	s_add_i32 s18, s8, -2
	s_set_gpr_idx_on s17, gpr_idx(SRC0)
	v_mov_b32_e32 v72, v16
	s_set_gpr_idx_off
	ds_read2_b32 v[66:67], v58 offset0:4 offset1:5
	s_add_i32 s19, s8, -1
	s_waitcnt lgkmcnt(2)
	v_fmac_f32_e32 v61, v68, v62
	s_set_gpr_idx_on s18, gpr_idx(SRC0)
	v_mov_b32_e32 v68, v16
	s_set_gpr_idx_off
	v_fmac_f32_e32 v61, v69, v63
	s_set_gpr_idx_on s19, gpr_idx(SRC0)
	v_mov_b32_e32 v69, v16
	s_set_gpr_idx_off
	ds_read2_b32 v[62:63], v58 offset0:6 offset1:7
	s_waitcnt lgkmcnt(2)
	v_fmac_f32_e32 v61, v70, v64
	s_set_gpr_idx_on s8, gpr_idx(SRC0)
	v_mov_b32_e32 v64, v16
	s_set_gpr_idx_off
	v_fmac_f32_e32 v61, v71, v65
	s_add_u32 s8, s8, 8
	s_waitcnt lgkmcnt(1)
	v_fmac_f32_e32 v61, v72, v66
	v_add_u32_e32 v58, s8, v60
	v_fmac_f32_e32 v61, v68, v67
	s_addc_u32 s9, s9, 0
	s_add_i32 s12, s12, 32
	s_add_i32 s13, s8, -7
	v_cmp_eq_u32_e32 vcc, 12, v58
	s_waitcnt lgkmcnt(0)
	v_fmac_f32_e32 v61, v69, v62
	v_mov_b32_e32 v58, s13
	s_or_b64 s[10:11], vcc, s[10:11]
	v_fmac_f32_e32 v61, v64, v63
	s_andn2_b64 exec, exec, s[10:11]
	s_cbranch_execnz .LBB12_105
; %bb.106:
	s_or_b64 exec, exec, s[10:11]
.LBB12_107:
	s_or_b64 exec, exec, s[2:3]
	v_and_b32_e32 v29, 7, v15
	v_cmp_ne_u32_e32 vcc, 0, v29
	s_and_saveexec_b64 s[8:9], vcc
	s_cbranch_execz .LBB12_111
; %bb.108:
	v_lshl_add_u32 v30, v58, 2, 64
	v_mov_b32_e32 v15, 0
	s_mov_b64 s[10:11], 0
.LBB12_109:                             ; =>This Inner Loop Header: Depth=1
	v_cmp_eq_u32_e32 vcc, 1, v58
	v_cndmask_b32_e32 v31, v16, v17, vcc
	v_add_u32_e32 v29, -1, v29
	v_cmp_eq_u32_e32 vcc, 2, v58
	v_cndmask_b32_e32 v31, v31, v18, vcc
	v_cmp_eq_u32_e32 vcc, 0, v29
	v_cmp_eq_u32_e64 s[2:3], 3, v58
	v_cndmask_b32_e64 v31, v31, v19, s[2:3]
	s_or_b64 s[10:11], vcc, s[10:11]
	v_cmp_eq_u32_e32 vcc, 4, v58
	v_cndmask_b32_e32 v31, v31, v20, vcc
	v_cmp_eq_u32_e32 vcc, 5, v58
	v_cndmask_b32_e32 v31, v31, v21, vcc
	;; [unrolled: 2-line block ×4, first 2 shown]
	v_cmp_eq_u32_e32 vcc, 8, v58
	ds_read_b32 v60, v30
	v_cndmask_b32_e32 v31, v31, v24, vcc
	v_cmp_eq_u32_e32 vcc, 9, v58
	v_cndmask_b32_e32 v31, v31, v25, vcc
	v_cmp_eq_u32_e32 vcc, 10, v58
	;; [unrolled: 2-line block ×4, first 2 shown]
	v_add_co_u32_e64 v58, s[2:3], 1, v58
	v_cndmask_b32_e32 v31, v31, v28, vcc
	v_add_u32_e32 v30, 4, v30
	v_addc_co_u32_e64 v15, s[2:3], 0, v15, s[2:3]
	s_waitcnt lgkmcnt(0)
	v_fmac_f32_e32 v61, v31, v60
	s_andn2_b64 exec, exec, s[10:11]
	s_cbranch_execnz .LBB12_109
; %bb.110:
	s_or_b64 exec, exec, s[10:11]
.LBB12_111:
	s_or_b64 exec, exec, s[8:9]
.LBB12_112:
	s_or_b64 exec, exec, s[6:7]
	v_mov_b32_e32 v15, 0
	ds_read_b32 v15, v15 offset:16
	s_waitcnt lgkmcnt(0)
	v_mul_f32_e32 v20, v61, v15
.LBB12_113:
	s_or_b64 exec, exec, s[4:5]
	v_cmp_lt_u32_e64 s[2:3], 3, v0
	ds_write_b32 v59, v19
	s_waitcnt lgkmcnt(0)
	; wave barrier
	s_waitcnt lgkmcnt(0)
	s_and_saveexec_b64 s[4:5], s[2:3]
	s_cbranch_execz .LBB12_129
; %bb.114:
	s_andn2_b64 vcc, exec, s[26:27]
	s_cbranch_vccnz .LBB12_116
; %bb.115:
	v_cmp_eq_u32_e32 vcc, 1, v0
	v_cndmask_b32_e32 v15, v16, v17, vcc
	v_cmp_eq_u32_e32 vcc, 2, v0
	v_cndmask_b32_e32 v15, v15, v18, vcc
	;; [unrolled: 2-line block ×8, first 2 shown]
	v_cmp_eq_u32_e32 vcc, 9, v0
	ds_read_b32 v58, v59
	v_cndmask_b32_e32 v15, v15, v25, vcc
	v_cmp_eq_u32_e32 vcc, 10, v0
	v_cndmask_b32_e32 v15, v15, v26, vcc
	v_cmp_eq_u32_e32 vcc, 11, v0
	;; [unrolled: 2-line block ×3, first 2 shown]
	v_cndmask_b32_e32 v15, v15, v28, vcc
	s_waitcnt lgkmcnt(0)
	v_mul_f32_e32 v61, v15, v58
	s_cbranch_execz .LBB12_117
	s_branch .LBB12_118
.LBB12_116:
                                        ; implicit-def: $vgpr61
.LBB12_117:
	ds_read_b32 v61, v59
.LBB12_118:
	s_and_saveexec_b64 s[6:7], s[0:1]
	s_cbranch_execz .LBB12_128
; %bb.119:
	v_add_u32_e32 v58, -5, v0
	v_add_u32_e32 v15, -4, v0
	v_cmp_lt_u32_e32 vcc, 6, v58
	v_mov_b32_e32 v58, 4
	s_and_saveexec_b64 s[0:1], vcc
	s_cbranch_execz .LBB12_123
; %bb.120:
	v_and_b32_e32 v58, -8, v15
	v_sub_u32_e32 v60, 0, v58
	s_mov_b64 s[8:9], 5
	s_movk_i32 s12, 0x50
	s_mov_b64 s[10:11], 0
.LBB12_121:                             ; =>This Inner Loop Header: Depth=1
	s_add_i32 s13, s8, -1
	v_mov_b32_e32 v58, s12
	s_set_gpr_idx_on s13, gpr_idx(SRC0)
	v_mov_b32_e32 v70, v16
	s_set_gpr_idx_off
	s_add_i32 s14, s8, 1
	ds_read_b128 v[62:65], v58
	ds_read_b128 v[66:69], v58 offset:16
	s_set_gpr_idx_on s8, gpr_idx(SRC0)
	v_mov_b32_e32 v71, v16
	s_set_gpr_idx_off
	s_add_i32 s15, s8, 2
	s_set_gpr_idx_on s14, gpr_idx(SRC0)
	v_mov_b32_e32 v72, v16
	s_set_gpr_idx_off
	s_add_i32 s16, s8, 3
	;; [unrolled: 4-line block ×4, first 2 shown]
	s_waitcnt lgkmcnt(1)
	v_fmac_f32_e32 v61, v70, v62
	s_set_gpr_idx_on s17, gpr_idx(SRC0)
	v_mov_b32_e32 v62, v16
	s_set_gpr_idx_off
	s_add_i32 s19, s8, 6
	v_fmac_f32_e32 v61, v71, v63
	s_set_gpr_idx_on s18, gpr_idx(SRC0)
	v_mov_b32_e32 v63, v16
	s_set_gpr_idx_off
	v_fmac_f32_e32 v61, v72, v64
	s_set_gpr_idx_on s19, gpr_idx(SRC0)
	v_mov_b32_e32 v64, v16
	s_set_gpr_idx_off
	v_fmac_f32_e32 v61, v73, v65
	s_add_u32 s8, s8, 8
	s_waitcnt lgkmcnt(0)
	v_fmac_f32_e32 v61, v74, v66
	v_add_u32_e32 v58, s8, v60
	v_fmac_f32_e32 v61, v62, v67
	s_addc_u32 s9, s9, 0
	s_add_i32 s12, s12, 32
	s_add_i32 s13, s8, -1
	v_cmp_eq_u32_e32 vcc, 5, v58
	v_fmac_f32_e32 v61, v63, v68
	v_mov_b32_e32 v58, s13
	s_or_b64 s[10:11], vcc, s[10:11]
	v_fmac_f32_e32 v61, v64, v69
	s_andn2_b64 exec, exec, s[10:11]
	s_cbranch_execnz .LBB12_121
; %bb.122:
	s_or_b64 exec, exec, s[10:11]
.LBB12_123:
	s_or_b64 exec, exec, s[0:1]
	v_and_b32_e32 v29, 7, v15
	v_cmp_ne_u32_e32 vcc, 0, v29
	s_and_saveexec_b64 s[8:9], vcc
	s_cbranch_execz .LBB12_127
; %bb.124:
	v_lshl_add_u32 v30, v58, 2, 64
	v_mov_b32_e32 v15, 0
	s_mov_b64 s[10:11], 0
.LBB12_125:                             ; =>This Inner Loop Header: Depth=1
	v_cmp_eq_u32_e32 vcc, 1, v58
	v_cndmask_b32_e32 v31, v16, v17, vcc
	v_add_u32_e32 v29, -1, v29
	v_cmp_eq_u32_e32 vcc, 2, v58
	v_cndmask_b32_e32 v31, v31, v18, vcc
	v_cmp_eq_u32_e32 vcc, 0, v29
	v_cmp_eq_u32_e64 s[0:1], 3, v58
	v_cndmask_b32_e64 v31, v31, v19, s[0:1]
	s_or_b64 s[10:11], vcc, s[10:11]
	v_cmp_eq_u32_e32 vcc, 4, v58
	v_cndmask_b32_e32 v31, v31, v20, vcc
	v_cmp_eq_u32_e32 vcc, 5, v58
	v_cndmask_b32_e32 v31, v31, v21, vcc
	v_cmp_eq_u32_e32 vcc, 6, v58
	v_cndmask_b32_e32 v31, v31, v22, vcc
	v_cmp_eq_u32_e32 vcc, 7, v58
	v_cndmask_b32_e32 v31, v31, v23, vcc
	v_cmp_eq_u32_e32 vcc, 8, v58
	ds_read_b32 v60, v30
	v_cndmask_b32_e32 v31, v31, v24, vcc
	v_cmp_eq_u32_e32 vcc, 9, v58
	v_cndmask_b32_e32 v31, v31, v25, vcc
	v_cmp_eq_u32_e32 vcc, 10, v58
	;; [unrolled: 2-line block ×4, first 2 shown]
	v_add_co_u32_e64 v58, s[0:1], 1, v58
	v_cndmask_b32_e32 v31, v31, v28, vcc
	v_add_u32_e32 v30, 4, v30
	v_addc_co_u32_e64 v15, s[0:1], 0, v15, s[0:1]
	s_waitcnt lgkmcnt(0)
	v_fmac_f32_e32 v61, v31, v60
	s_andn2_b64 exec, exec, s[10:11]
	s_cbranch_execnz .LBB12_125
; %bb.126:
	s_or_b64 exec, exec, s[10:11]
.LBB12_127:
	s_or_b64 exec, exec, s[8:9]
.LBB12_128:
	s_or_b64 exec, exec, s[6:7]
	v_mov_b32_e32 v15, 0
	ds_read_b32 v15, v15 offset:12
	s_waitcnt lgkmcnt(0)
	v_mul_f32_e32 v19, v61, v15
.LBB12_129:
	s_or_b64 exec, exec, s[4:5]
	v_cmp_lt_u32_e64 s[0:1], 2, v0
	ds_write_b32 v59, v18
	s_waitcnt lgkmcnt(0)
	; wave barrier
	s_waitcnt lgkmcnt(0)
	s_and_saveexec_b64 s[4:5], s[0:1]
	s_cbranch_execz .LBB12_145
; %bb.130:
	s_andn2_b64 vcc, exec, s[26:27]
	s_cbranch_vccnz .LBB12_132
; %bb.131:
	v_cmp_eq_u32_e32 vcc, 1, v0
	v_cndmask_b32_e32 v15, v16, v17, vcc
	v_cmp_eq_u32_e32 vcc, 2, v0
	v_cndmask_b32_e32 v15, v15, v18, vcc
	;; [unrolled: 2-line block ×8, first 2 shown]
	v_cmp_eq_u32_e32 vcc, 9, v0
	ds_read_b32 v58, v59
	v_cndmask_b32_e32 v15, v15, v25, vcc
	v_cmp_eq_u32_e32 vcc, 10, v0
	v_cndmask_b32_e32 v15, v15, v26, vcc
	v_cmp_eq_u32_e32 vcc, 11, v0
	;; [unrolled: 2-line block ×3, first 2 shown]
	v_cndmask_b32_e32 v15, v15, v28, vcc
	s_waitcnt lgkmcnt(0)
	v_mul_f32_e32 v61, v15, v58
	s_cbranch_execz .LBB12_133
	s_branch .LBB12_134
.LBB12_132:
                                        ; implicit-def: $vgpr61
.LBB12_133:
	ds_read_b32 v61, v59
.LBB12_134:
	s_and_saveexec_b64 s[6:7], s[2:3]
	s_cbranch_execz .LBB12_144
; %bb.135:
	v_add_u32_e32 v58, -4, v0
	v_add_u32_e32 v15, -3, v0
	v_cmp_lt_u32_e32 vcc, 6, v58
	v_mov_b32_e32 v58, 3
	s_and_saveexec_b64 s[2:3], vcc
	s_cbranch_execz .LBB12_139
; %bb.136:
	v_and_b32_e32 v58, -8, v15
	v_sub_u32_e32 v60, 0, v58
	s_mov_b64 s[8:9], 10
	s_movk_i32 s12, 0x4c
	s_mov_b64 s[10:11], 0
.LBB12_137:                             ; =>This Inner Loop Header: Depth=1
	s_add_i32 s13, s8, -7
	v_mov_b32_e32 v58, s12
	s_add_i32 s14, s8, -6
	s_set_gpr_idx_on s13, gpr_idx(SRC0)
	v_mov_b32_e32 v68, v16
	s_set_gpr_idx_off
	ds_read2_b32 v[62:63], v58 offset1:1
	s_add_i32 s15, s8, -5
	s_set_gpr_idx_on s14, gpr_idx(SRC0)
	v_mov_b32_e32 v69, v16
	s_set_gpr_idx_off
	s_add_i32 s16, s8, -4
	s_set_gpr_idx_on s15, gpr_idx(SRC0)
	v_mov_b32_e32 v70, v16
	s_set_gpr_idx_off
	ds_read2_b32 v[64:65], v58 offset0:2 offset1:3
	s_add_i32 s17, s8, -3
	s_set_gpr_idx_on s16, gpr_idx(SRC0)
	v_mov_b32_e32 v71, v16
	s_set_gpr_idx_off
	s_add_i32 s18, s8, -2
	s_set_gpr_idx_on s17, gpr_idx(SRC0)
	v_mov_b32_e32 v72, v16
	s_set_gpr_idx_off
	ds_read2_b32 v[66:67], v58 offset0:4 offset1:5
	s_add_i32 s19, s8, -1
	s_waitcnt lgkmcnt(2)
	v_fmac_f32_e32 v61, v68, v62
	s_set_gpr_idx_on s18, gpr_idx(SRC0)
	v_mov_b32_e32 v68, v16
	s_set_gpr_idx_off
	v_fmac_f32_e32 v61, v69, v63
	s_set_gpr_idx_on s19, gpr_idx(SRC0)
	v_mov_b32_e32 v69, v16
	s_set_gpr_idx_off
	ds_read2_b32 v[62:63], v58 offset0:6 offset1:7
	s_waitcnt lgkmcnt(2)
	v_fmac_f32_e32 v61, v70, v64
	s_set_gpr_idx_on s8, gpr_idx(SRC0)
	v_mov_b32_e32 v64, v16
	s_set_gpr_idx_off
	v_fmac_f32_e32 v61, v71, v65
	s_add_u32 s8, s8, 8
	s_waitcnt lgkmcnt(1)
	v_fmac_f32_e32 v61, v72, v66
	v_add_u32_e32 v58, s8, v60
	v_fmac_f32_e32 v61, v68, v67
	s_addc_u32 s9, s9, 0
	s_add_i32 s12, s12, 32
	s_add_i32 s13, s8, -7
	v_cmp_eq_u32_e32 vcc, 10, v58
	s_waitcnt lgkmcnt(0)
	v_fmac_f32_e32 v61, v69, v62
	v_mov_b32_e32 v58, s13
	s_or_b64 s[10:11], vcc, s[10:11]
	v_fmac_f32_e32 v61, v64, v63
	s_andn2_b64 exec, exec, s[10:11]
	s_cbranch_execnz .LBB12_137
; %bb.138:
	s_or_b64 exec, exec, s[10:11]
.LBB12_139:
	s_or_b64 exec, exec, s[2:3]
	v_and_b32_e32 v29, 7, v15
	v_cmp_ne_u32_e32 vcc, 0, v29
	s_and_saveexec_b64 s[8:9], vcc
	s_cbranch_execz .LBB12_143
; %bb.140:
	v_lshl_add_u32 v30, v58, 2, 64
	v_mov_b32_e32 v15, 0
	s_mov_b64 s[10:11], 0
.LBB12_141:                             ; =>This Inner Loop Header: Depth=1
	v_cmp_eq_u32_e32 vcc, 1, v58
	v_cndmask_b32_e32 v31, v16, v17, vcc
	v_add_u32_e32 v29, -1, v29
	v_cmp_eq_u32_e32 vcc, 2, v58
	v_cndmask_b32_e32 v31, v31, v18, vcc
	v_cmp_eq_u32_e32 vcc, 0, v29
	v_cmp_eq_u32_e64 s[2:3], 3, v58
	v_cndmask_b32_e64 v31, v31, v19, s[2:3]
	s_or_b64 s[10:11], vcc, s[10:11]
	v_cmp_eq_u32_e32 vcc, 4, v58
	v_cndmask_b32_e32 v31, v31, v20, vcc
	v_cmp_eq_u32_e32 vcc, 5, v58
	v_cndmask_b32_e32 v31, v31, v21, vcc
	;; [unrolled: 2-line block ×4, first 2 shown]
	v_cmp_eq_u32_e32 vcc, 8, v58
	ds_read_b32 v60, v30
	v_cndmask_b32_e32 v31, v31, v24, vcc
	v_cmp_eq_u32_e32 vcc, 9, v58
	v_cndmask_b32_e32 v31, v31, v25, vcc
	v_cmp_eq_u32_e32 vcc, 10, v58
	;; [unrolled: 2-line block ×4, first 2 shown]
	v_add_co_u32_e64 v58, s[2:3], 1, v58
	v_cndmask_b32_e32 v31, v31, v28, vcc
	v_add_u32_e32 v30, 4, v30
	v_addc_co_u32_e64 v15, s[2:3], 0, v15, s[2:3]
	s_waitcnt lgkmcnt(0)
	v_fmac_f32_e32 v61, v31, v60
	s_andn2_b64 exec, exec, s[10:11]
	s_cbranch_execnz .LBB12_141
; %bb.142:
	s_or_b64 exec, exec, s[10:11]
.LBB12_143:
	s_or_b64 exec, exec, s[8:9]
.LBB12_144:
	s_or_b64 exec, exec, s[6:7]
	v_mov_b32_e32 v15, 0
	ds_read_b32 v15, v15 offset:8
	s_waitcnt lgkmcnt(0)
	v_mul_f32_e32 v18, v61, v15
.LBB12_145:
	s_or_b64 exec, exec, s[4:5]
	v_cmp_lt_u32_e64 s[2:3], 1, v0
	ds_write_b32 v59, v17
	s_waitcnt lgkmcnt(0)
	; wave barrier
	s_waitcnt lgkmcnt(0)
	s_and_saveexec_b64 s[4:5], s[2:3]
	s_cbranch_execz .LBB12_161
; %bb.146:
	s_andn2_b64 vcc, exec, s[26:27]
	s_cbranch_vccnz .LBB12_148
; %bb.147:
	v_cmp_eq_u32_e32 vcc, 1, v0
	v_cndmask_b32_e32 v15, v16, v17, vcc
	v_cmp_eq_u32_e32 vcc, 2, v0
	v_cndmask_b32_e32 v15, v15, v18, vcc
	;; [unrolled: 2-line block ×8, first 2 shown]
	v_cmp_eq_u32_e32 vcc, 9, v0
	ds_read_b32 v58, v59
	v_cndmask_b32_e32 v15, v15, v25, vcc
	v_cmp_eq_u32_e32 vcc, 10, v0
	v_cndmask_b32_e32 v15, v15, v26, vcc
	v_cmp_eq_u32_e32 vcc, 11, v0
	;; [unrolled: 2-line block ×3, first 2 shown]
	v_cndmask_b32_e32 v15, v15, v28, vcc
	s_waitcnt lgkmcnt(0)
	v_mul_f32_e32 v61, v15, v58
	s_cbranch_execz .LBB12_149
	s_branch .LBB12_150
.LBB12_148:
                                        ; implicit-def: $vgpr61
.LBB12_149:
	ds_read_b32 v61, v59
.LBB12_150:
	s_and_saveexec_b64 s[6:7], s[0:1]
	s_cbranch_execz .LBB12_160
; %bb.151:
	v_add_u32_e32 v58, -3, v0
	v_add_u32_e32 v15, -2, v0
	v_cmp_lt_u32_e32 vcc, 6, v58
	v_mov_b32_e32 v58, 2
	s_and_saveexec_b64 s[0:1], vcc
	s_cbranch_execz .LBB12_155
; %bb.152:
	v_and_b32_e32 v58, -8, v15
	v_sub_u32_e32 v60, 0, v58
	s_mov_b64 s[8:9], 9
	s_movk_i32 s12, 0x48
	s_mov_b64 s[10:11], 0
.LBB12_153:                             ; =>This Inner Loop Header: Depth=1
	s_add_i32 s13, s8, -7
	v_mov_b32_e32 v58, s12
	s_add_i32 s14, s8, -6
	s_set_gpr_idx_on s13, gpr_idx(SRC0)
	v_mov_b32_e32 v70, v16
	s_set_gpr_idx_off
	ds_read2_b64 v[62:65], v58 offset1:1
	s_add_i32 s15, s8, -5
	s_set_gpr_idx_on s14, gpr_idx(SRC0)
	v_mov_b32_e32 v71, v16
	s_set_gpr_idx_off
	s_add_i32 s16, s8, -4
	s_set_gpr_idx_on s15, gpr_idx(SRC0)
	v_mov_b32_e32 v72, v16
	s_set_gpr_idx_off
	;; [unrolled: 4-line block ×4, first 2 shown]
	ds_read2_b64 v[66:69], v58 offset0:2 offset1:3
	s_add_i32 s19, s8, -1
	s_waitcnt lgkmcnt(1)
	v_fmac_f32_e32 v61, v70, v62
	s_set_gpr_idx_on s18, gpr_idx(SRC0)
	v_mov_b32_e32 v62, v16
	s_set_gpr_idx_off
	v_fmac_f32_e32 v61, v71, v63
	s_set_gpr_idx_on s19, gpr_idx(SRC0)
	v_mov_b32_e32 v63, v16
	s_set_gpr_idx_off
	;; [unrolled: 4-line block ×3, first 2 shown]
	v_fmac_f32_e32 v61, v73, v65
	s_add_u32 s8, s8, 8
	s_waitcnt lgkmcnt(0)
	v_fmac_f32_e32 v61, v74, v66
	v_add_u32_e32 v58, s8, v60
	v_fmac_f32_e32 v61, v62, v67
	s_addc_u32 s9, s9, 0
	s_add_i32 s12, s12, 32
	s_add_i32 s13, s8, -7
	v_cmp_eq_u32_e32 vcc, 9, v58
	v_fmac_f32_e32 v61, v63, v68
	v_mov_b32_e32 v58, s13
	s_or_b64 s[10:11], vcc, s[10:11]
	v_fmac_f32_e32 v61, v64, v69
	s_andn2_b64 exec, exec, s[10:11]
	s_cbranch_execnz .LBB12_153
; %bb.154:
	s_or_b64 exec, exec, s[10:11]
.LBB12_155:
	s_or_b64 exec, exec, s[0:1]
	v_and_b32_e32 v29, 7, v15
	v_cmp_ne_u32_e32 vcc, 0, v29
	s_and_saveexec_b64 s[8:9], vcc
	s_cbranch_execz .LBB12_159
; %bb.156:
	v_lshl_add_u32 v30, v58, 2, 64
	v_mov_b32_e32 v15, 0
	s_mov_b64 s[10:11], 0
.LBB12_157:                             ; =>This Inner Loop Header: Depth=1
	v_cmp_eq_u32_e32 vcc, 1, v58
	v_cndmask_b32_e32 v31, v16, v17, vcc
	v_add_u32_e32 v29, -1, v29
	v_cmp_eq_u32_e32 vcc, 2, v58
	v_cndmask_b32_e32 v31, v31, v18, vcc
	v_cmp_eq_u32_e32 vcc, 0, v29
	v_cmp_eq_u32_e64 s[0:1], 3, v58
	v_cndmask_b32_e64 v31, v31, v19, s[0:1]
	s_or_b64 s[10:11], vcc, s[10:11]
	v_cmp_eq_u32_e32 vcc, 4, v58
	v_cndmask_b32_e32 v31, v31, v20, vcc
	v_cmp_eq_u32_e32 vcc, 5, v58
	v_cndmask_b32_e32 v31, v31, v21, vcc
	v_cmp_eq_u32_e32 vcc, 6, v58
	v_cndmask_b32_e32 v31, v31, v22, vcc
	v_cmp_eq_u32_e32 vcc, 7, v58
	v_cndmask_b32_e32 v31, v31, v23, vcc
	v_cmp_eq_u32_e32 vcc, 8, v58
	ds_read_b32 v60, v30
	v_cndmask_b32_e32 v31, v31, v24, vcc
	v_cmp_eq_u32_e32 vcc, 9, v58
	v_cndmask_b32_e32 v31, v31, v25, vcc
	v_cmp_eq_u32_e32 vcc, 10, v58
	v_cndmask_b32_e32 v31, v31, v26, vcc
	v_cmp_eq_u32_e32 vcc, 11, v58
	v_cndmask_b32_e32 v31, v31, v27, vcc
	v_cmp_eq_u32_e32 vcc, 12, v58
	v_add_co_u32_e64 v58, s[0:1], 1, v58
	v_cndmask_b32_e32 v31, v31, v28, vcc
	v_add_u32_e32 v30, 4, v30
	v_addc_co_u32_e64 v15, s[0:1], 0, v15, s[0:1]
	s_waitcnt lgkmcnt(0)
	v_fmac_f32_e32 v61, v31, v60
	s_andn2_b64 exec, exec, s[10:11]
	s_cbranch_execnz .LBB12_157
; %bb.158:
	s_or_b64 exec, exec, s[10:11]
.LBB12_159:
	s_or_b64 exec, exec, s[8:9]
.LBB12_160:
	s_or_b64 exec, exec, s[6:7]
	v_mov_b32_e32 v15, 0
	ds_read_b32 v15, v15 offset:4
	s_waitcnt lgkmcnt(0)
	v_mul_f32_e32 v17, v61, v15
.LBB12_161:
	s_or_b64 exec, exec, s[4:5]
	v_cmp_ne_u32_e32 vcc, 0, v0
	ds_write_b32 v59, v16
	s_waitcnt lgkmcnt(0)
	; wave barrier
	s_waitcnt lgkmcnt(0)
	s_and_saveexec_b64 s[4:5], vcc
	s_cbranch_execz .LBB12_177
; %bb.162:
	s_andn2_b64 vcc, exec, s[26:27]
	s_cbranch_vccnz .LBB12_164
; %bb.163:
	v_cmp_eq_u32_e32 vcc, 1, v0
	v_cndmask_b32_e32 v15, v16, v17, vcc
	v_cmp_eq_u32_e32 vcc, 2, v0
	v_cndmask_b32_e32 v15, v15, v18, vcc
	v_cmp_eq_u32_e32 vcc, 3, v0
	v_cndmask_b32_e32 v15, v15, v19, vcc
	v_cmp_eq_u32_e32 vcc, 4, v0
	v_cndmask_b32_e32 v15, v15, v20, vcc
	v_cmp_eq_u32_e32 vcc, 5, v0
	v_cndmask_b32_e32 v15, v15, v21, vcc
	v_cmp_eq_u32_e32 vcc, 6, v0
	v_cndmask_b32_e32 v15, v15, v22, vcc
	v_cmp_eq_u32_e32 vcc, 7, v0
	v_cndmask_b32_e32 v15, v15, v23, vcc
	v_cmp_eq_u32_e32 vcc, 8, v0
	v_cndmask_b32_e32 v15, v15, v24, vcc
	v_cmp_eq_u32_e32 vcc, 9, v0
	ds_read_b32 v58, v59
	v_cndmask_b32_e32 v15, v15, v25, vcc
	v_cmp_eq_u32_e32 vcc, 10, v0
	v_cndmask_b32_e32 v15, v15, v26, vcc
	v_cmp_eq_u32_e32 vcc, 11, v0
	v_cndmask_b32_e32 v15, v15, v27, vcc
	v_cmp_eq_u32_e32 vcc, 12, v0
	v_cndmask_b32_e32 v15, v15, v28, vcc
	s_waitcnt lgkmcnt(0)
	v_mul_f32_e32 v61, v15, v58
	s_cbranch_execz .LBB12_165
	s_branch .LBB12_166
.LBB12_164:
                                        ; implicit-def: $vgpr61
.LBB12_165:
	ds_read_b32 v61, v59
.LBB12_166:
	s_and_saveexec_b64 s[6:7], s[2:3]
	s_cbranch_execz .LBB12_176
; %bb.167:
	v_add_u32_e32 v58, -2, v0
	v_add_u32_e32 v15, -1, v0
	v_cmp_lt_u32_e32 vcc, 6, v58
	v_mov_b32_e32 v58, 1
	s_and_saveexec_b64 s[0:1], vcc
	s_cbranch_execz .LBB12_171
; %bb.168:
	v_and_b32_e32 v58, -8, v15
	v_sub_u32_e32 v60, 0, v58
	s_mov_b64 s[2:3], 8
	s_movk_i32 s10, 0x44
	s_mov_b64 s[8:9], 0
.LBB12_169:                             ; =>This Inner Loop Header: Depth=1
	s_add_i32 s11, s2, -7
	v_mov_b32_e32 v58, s10
	s_add_i32 s12, s2, -6
	s_set_gpr_idx_on s11, gpr_idx(SRC0)
	v_mov_b32_e32 v68, v16
	s_set_gpr_idx_off
	ds_read2_b32 v[62:63], v58 offset1:1
	s_add_i32 s13, s2, -5
	s_set_gpr_idx_on s12, gpr_idx(SRC0)
	v_mov_b32_e32 v69, v16
	s_set_gpr_idx_off
	s_add_i32 s14, s2, -4
	s_set_gpr_idx_on s13, gpr_idx(SRC0)
	v_mov_b32_e32 v70, v16
	s_set_gpr_idx_off
	ds_read2_b32 v[64:65], v58 offset0:2 offset1:3
	s_add_i32 s15, s2, -3
	s_set_gpr_idx_on s14, gpr_idx(SRC0)
	v_mov_b32_e32 v71, v16
	s_set_gpr_idx_off
	s_add_i32 s16, s2, -2
	s_set_gpr_idx_on s15, gpr_idx(SRC0)
	v_mov_b32_e32 v72, v16
	s_set_gpr_idx_off
	ds_read2_b32 v[66:67], v58 offset0:4 offset1:5
	s_add_i32 s17, s2, -1
	s_waitcnt lgkmcnt(2)
	v_fmac_f32_e32 v61, v68, v62
	s_set_gpr_idx_on s16, gpr_idx(SRC0)
	v_mov_b32_e32 v68, v16
	s_set_gpr_idx_off
	v_fmac_f32_e32 v61, v69, v63
	s_set_gpr_idx_on s17, gpr_idx(SRC0)
	v_mov_b32_e32 v69, v16
	s_set_gpr_idx_off
	ds_read2_b32 v[62:63], v58 offset0:6 offset1:7
	s_waitcnt lgkmcnt(2)
	v_fmac_f32_e32 v61, v70, v64
	s_set_gpr_idx_on s2, gpr_idx(SRC0)
	v_mov_b32_e32 v64, v16
	s_set_gpr_idx_off
	v_fmac_f32_e32 v61, v71, v65
	s_add_u32 s2, s2, 8
	s_waitcnt lgkmcnt(1)
	v_fmac_f32_e32 v61, v72, v66
	v_add_u32_e32 v58, s2, v60
	v_fmac_f32_e32 v61, v68, v67
	s_addc_u32 s3, s3, 0
	s_add_i32 s10, s10, 32
	s_add_i32 s11, s2, -7
	v_cmp_eq_u32_e32 vcc, 8, v58
	s_waitcnt lgkmcnt(0)
	v_fmac_f32_e32 v61, v69, v62
	v_mov_b32_e32 v58, s11
	s_or_b64 s[8:9], vcc, s[8:9]
	v_fmac_f32_e32 v61, v64, v63
	s_andn2_b64 exec, exec, s[8:9]
	s_cbranch_execnz .LBB12_169
; %bb.170:
	s_or_b64 exec, exec, s[8:9]
.LBB12_171:
	s_or_b64 exec, exec, s[0:1]
	v_and_b32_e32 v29, 7, v15
	v_cmp_ne_u32_e32 vcc, 0, v29
	s_and_saveexec_b64 s[2:3], vcc
	s_cbranch_execz .LBB12_175
; %bb.172:
	v_lshl_add_u32 v30, v58, 2, 64
	v_mov_b32_e32 v15, 0
	s_mov_b64 s[8:9], 0
.LBB12_173:                             ; =>This Inner Loop Header: Depth=1
	v_cmp_eq_u32_e32 vcc, 1, v58
	v_cndmask_b32_e32 v31, v16, v17, vcc
	v_add_u32_e32 v29, -1, v29
	v_cmp_eq_u32_e32 vcc, 2, v58
	v_cndmask_b32_e32 v31, v31, v18, vcc
	v_cmp_eq_u32_e32 vcc, 0, v29
	v_cmp_eq_u32_e64 s[0:1], 3, v58
	v_cndmask_b32_e64 v31, v31, v19, s[0:1]
	s_or_b64 s[8:9], vcc, s[8:9]
	v_cmp_eq_u32_e32 vcc, 4, v58
	v_cndmask_b32_e32 v31, v31, v20, vcc
	v_cmp_eq_u32_e32 vcc, 5, v58
	v_cndmask_b32_e32 v31, v31, v21, vcc
	;; [unrolled: 2-line block ×4, first 2 shown]
	v_cmp_eq_u32_e32 vcc, 8, v58
	ds_read_b32 v60, v30
	v_cndmask_b32_e32 v31, v31, v24, vcc
	v_cmp_eq_u32_e32 vcc, 9, v58
	v_cndmask_b32_e32 v31, v31, v25, vcc
	v_cmp_eq_u32_e32 vcc, 10, v58
	;; [unrolled: 2-line block ×4, first 2 shown]
	v_add_co_u32_e64 v58, s[0:1], 1, v58
	v_cndmask_b32_e32 v31, v31, v28, vcc
	v_add_u32_e32 v30, 4, v30
	v_addc_co_u32_e64 v15, s[0:1], 0, v15, s[0:1]
	s_waitcnt lgkmcnt(0)
	v_fmac_f32_e32 v61, v31, v60
	s_andn2_b64 exec, exec, s[8:9]
	s_cbranch_execnz .LBB12_173
; %bb.174:
	s_or_b64 exec, exec, s[8:9]
.LBB12_175:
	s_or_b64 exec, exec, s[2:3]
.LBB12_176:
	s_or_b64 exec, exec, s[6:7]
	v_mov_b32_e32 v15, 0
	ds_read_b32 v15, v15
	s_waitcnt lgkmcnt(0)
	v_mul_f32_e32 v16, v61, v15
.LBB12_177:
	s_or_b64 exec, exec, s[4:5]
	s_branch .LBB12_303
.LBB12_178:
	v_cmp_eq_u32_e64 s[2:3], 0, v0
	s_waitcnt vmcnt(12)
	ds_write_b32 v59, v3
	s_waitcnt lgkmcnt(0)
	; wave barrier
	s_waitcnt lgkmcnt(0)
	s_and_saveexec_b64 s[0:1], s[2:3]
	s_cbranch_execz .LBB12_184
; %bb.179:
	s_and_b64 vcc, exec, s[26:27]
	s_cbranch_vccz .LBB12_181
; %bb.180:
	v_cmp_eq_u32_e32 vcc, 1, v0
	s_waitcnt vmcnt(1)
	v_cndmask_b32_e32 v3, v2, v3, vcc
	v_cmp_eq_u32_e32 vcc, 2, v0
	v_cndmask_b32_e32 v3, v3, v4, vcc
	v_cmp_eq_u32_e32 vcc, 3, v0
	;; [unrolled: 2-line block ×8, first 2 shown]
	ds_read_b32 v15, v59
	v_cndmask_b32_e32 v3, v3, v11, vcc
	v_cmp_eq_u32_e32 vcc, 10, v0
	v_cndmask_b32_e32 v3, v3, v12, vcc
	v_cmp_eq_u32_e32 vcc, 11, v0
	;; [unrolled: 2-line block ×3, first 2 shown]
	s_waitcnt vmcnt(0)
	v_cndmask_b32_e32 v3, v3, v14, vcc
	s_waitcnt lgkmcnt(0)
	v_mul_f32_e32 v3, v3, v15
	s_cbranch_execz .LBB12_182
	s_branch .LBB12_183
.LBB12_181:
                                        ; implicit-def: $vgpr3
.LBB12_182:
	ds_read_b32 v3, v59
.LBB12_183:
	v_mov_b32_e32 v15, 0
	ds_read_b32 v15, v15 offset:4
	s_waitcnt lgkmcnt(0)
	v_mul_f32_e32 v3, v3, v15
.LBB12_184:
	s_or_b64 exec, exec, s[0:1]
	v_cndmask_b32_e64 v16, 0, 1, s[26:27]
	v_add_u32_e32 v15, 1, v0
	v_cmp_gt_u32_e32 vcc, 2, v0
	v_cmp_ne_u32_e64 s[0:1], 1, v16
	s_waitcnt vmcnt(11)
	ds_write_b32 v59, v4
	s_waitcnt lgkmcnt(0)
	; wave barrier
	s_waitcnt lgkmcnt(0)
	s_and_saveexec_b64 s[4:5], vcc
	s_cbranch_execz .LBB12_192
; %bb.185:
	s_and_b64 vcc, exec, s[0:1]
	s_cbranch_vccnz .LBB12_187
; %bb.186:
	v_cmp_eq_u32_e32 vcc, 1, v0
	s_waitcnt vmcnt(1)
	v_cndmask_b32_e32 v16, v2, v3, vcc
	v_cmp_eq_u32_e32 vcc, 2, v0
	v_cndmask_b32_e32 v16, v16, v4, vcc
	v_cmp_eq_u32_e32 vcc, 3, v0
	v_cndmask_b32_e32 v16, v16, v5, vcc
	v_cmp_eq_u32_e32 vcc, 4, v0
	v_cndmask_b32_e32 v16, v16, v6, vcc
	v_cmp_eq_u32_e32 vcc, 5, v0
	v_cndmask_b32_e32 v16, v16, v7, vcc
	v_cmp_eq_u32_e32 vcc, 6, v0
	v_cndmask_b32_e32 v16, v16, v8, vcc
	v_cmp_eq_u32_e32 vcc, 7, v0
	v_cndmask_b32_e32 v16, v16, v9, vcc
	v_cmp_eq_u32_e32 vcc, 8, v0
	v_cndmask_b32_e32 v16, v16, v10, vcc
	v_cmp_eq_u32_e32 vcc, 9, v0
	ds_read_b32 v17, v59
	v_cndmask_b32_e32 v16, v16, v11, vcc
	v_cmp_eq_u32_e32 vcc, 10, v0
	v_cndmask_b32_e32 v16, v16, v12, vcc
	v_cmp_eq_u32_e32 vcc, 11, v0
	;; [unrolled: 2-line block ×3, first 2 shown]
	s_waitcnt vmcnt(0)
	v_cndmask_b32_e32 v16, v16, v14, vcc
	s_waitcnt lgkmcnt(0)
	v_mul_f32_e32 v16, v16, v17
	s_cbranch_execz .LBB12_188
	s_branch .LBB12_189
.LBB12_187:
                                        ; implicit-def: $vgpr16
.LBB12_188:
	ds_read_b32 v16, v59
.LBB12_189:
	s_and_saveexec_b64 s[6:7], s[2:3]
	s_cbranch_execz .LBB12_191
; %bb.190:
	v_cmp_eq_u32_e32 vcc, 1, v15
	s_waitcnt vmcnt(1)
	v_cndmask_b32_e32 v17, v2, v3, vcc
	v_cmp_eq_u32_e32 vcc, 2, v15
	v_cndmask_b32_e32 v4, v17, v4, vcc
	v_cmp_eq_u32_e32 vcc, 3, v15
	;; [unrolled: 2-line block ×8, first 2 shown]
	ds_read_b32 v17, v59 offset:4
	v_cndmask_b32_e32 v4, v4, v11, vcc
	v_cmp_eq_u32_e32 vcc, 10, v15
	v_cndmask_b32_e32 v4, v4, v12, vcc
	v_cmp_eq_u32_e32 vcc, 11, v15
	;; [unrolled: 2-line block ×3, first 2 shown]
	s_waitcnt vmcnt(0)
	v_cndmask_b32_e32 v4, v4, v14, vcc
	s_waitcnt lgkmcnt(0)
	v_fmac_f32_e32 v16, v4, v17
.LBB12_191:
	s_or_b64 exec, exec, s[6:7]
	v_mov_b32_e32 v4, 0
	ds_read_b32 v4, v4 offset:8
	s_waitcnt lgkmcnt(0)
	v_mul_f32_e32 v4, v16, v4
.LBB12_192:
	s_or_b64 exec, exec, s[4:5]
	v_cmp_gt_u32_e64 s[4:5], 3, v0
	s_waitcnt vmcnt(10)
	ds_write_b32 v59, v5
	s_waitcnt lgkmcnt(0)
	; wave barrier
	s_waitcnt lgkmcnt(0)
	s_and_saveexec_b64 s[6:7], s[4:5]
	s_cbranch_execz .LBB12_200
; %bb.193:
	s_and_b64 vcc, exec, s[0:1]
	s_cbranch_vccnz .LBB12_195
; %bb.194:
	v_cmp_eq_u32_e32 vcc, 1, v0
	s_waitcnt vmcnt(1)
	v_cndmask_b32_e32 v16, v2, v3, vcc
	v_cmp_eq_u32_e32 vcc, 2, v0
	v_cndmask_b32_e32 v16, v16, v4, vcc
	v_cmp_eq_u32_e32 vcc, 3, v0
	;; [unrolled: 2-line block ×8, first 2 shown]
	ds_read_b32 v17, v59
	v_cndmask_b32_e32 v16, v16, v11, vcc
	v_cmp_eq_u32_e32 vcc, 10, v0
	v_cndmask_b32_e32 v16, v16, v12, vcc
	v_cmp_eq_u32_e32 vcc, 11, v0
	;; [unrolled: 2-line block ×3, first 2 shown]
	s_waitcnt vmcnt(0)
	v_cndmask_b32_e32 v16, v16, v14, vcc
	s_waitcnt lgkmcnt(0)
	v_mul_f32_e32 v16, v16, v17
	s_cbranch_execz .LBB12_196
	s_branch .LBB12_197
.LBB12_195:
                                        ; implicit-def: $vgpr16
.LBB12_196:
	ds_read_b32 v16, v59
.LBB12_197:
	v_cmp_ne_u32_e32 vcc, 2, v0
	s_and_saveexec_b64 s[8:9], vcc
	s_cbranch_execz .LBB12_199
; %bb.198:
	v_cmp_eq_u32_e32 vcc, 1, v15
	s_waitcnt vmcnt(1)
	v_cndmask_b32_e32 v17, v2, v3, vcc
	v_cmp_eq_u32_e32 vcc, 2, v15
	v_cndmask_b32_e32 v17, v17, v4, vcc
	v_cmp_eq_u32_e32 vcc, 3, v15
	;; [unrolled: 2-line block ×8, first 2 shown]
	v_mov_b32_e32 v17, 0
	v_cndmask_b32_e32 v5, v5, v11, vcc
	v_cmp_eq_u32_e32 vcc, 10, v15
	ds_read_b32 v18, v59 offset:4
	ds_read_b32 v17, v17 offset:72
	v_cndmask_b32_e32 v5, v5, v12, vcc
	v_cmp_eq_u32_e32 vcc, 11, v15
	v_cndmask_b32_e32 v5, v5, v13, vcc
	v_cmp_eq_u32_e32 vcc, 12, v15
	s_waitcnt vmcnt(0)
	v_cndmask_b32_e32 v5, v5, v14, vcc
	s_waitcnt lgkmcnt(1)
	v_fmac_f32_e32 v16, v5, v18
	s_waitcnt lgkmcnt(0)
	v_fma_f32 v5, v4, v17, v16
	v_cndmask_b32_e64 v16, v16, v5, s[2:3]
.LBB12_199:
	s_or_b64 exec, exec, s[8:9]
	v_mov_b32_e32 v5, 0
	ds_read_b32 v5, v5 offset:12
	s_waitcnt lgkmcnt(0)
	v_mul_f32_e32 v5, v16, v5
.LBB12_200:
	s_or_b64 exec, exec, s[6:7]
	v_cmp_gt_u32_e32 vcc, 4, v0
	s_waitcnt vmcnt(9)
	ds_write_b32 v59, v6
	s_waitcnt lgkmcnt(0)
	; wave barrier
	s_waitcnt lgkmcnt(0)
	s_and_saveexec_b64 s[8:9], vcc
	s_cbranch_execz .LBB12_210
; %bb.201:
	s_and_b64 vcc, exec, s[0:1]
	s_cbranch_vccnz .LBB12_203
; %bb.202:
	v_cmp_eq_u32_e32 vcc, 1, v0
	s_waitcnt vmcnt(1)
	v_cndmask_b32_e32 v16, v2, v3, vcc
	v_cmp_eq_u32_e32 vcc, 2, v0
	v_cndmask_b32_e32 v16, v16, v4, vcc
	v_cmp_eq_u32_e32 vcc, 3, v0
	;; [unrolled: 2-line block ×8, first 2 shown]
	ds_read_b32 v17, v59
	v_cndmask_b32_e32 v16, v16, v11, vcc
	v_cmp_eq_u32_e32 vcc, 10, v0
	v_cndmask_b32_e32 v16, v16, v12, vcc
	v_cmp_eq_u32_e32 vcc, 11, v0
	;; [unrolled: 2-line block ×3, first 2 shown]
	s_waitcnt vmcnt(0)
	v_cndmask_b32_e32 v16, v16, v14, vcc
	s_waitcnt lgkmcnt(0)
	v_mul_f32_e32 v18, v16, v17
	s_cbranch_execz .LBB12_204
	s_branch .LBB12_205
.LBB12_203:
                                        ; implicit-def: $vgpr18
.LBB12_204:
	ds_read_b32 v18, v59
.LBB12_205:
	v_cmp_ne_u32_e32 vcc, 3, v0
	s_and_saveexec_b64 s[10:11], vcc
	s_cbranch_execz .LBB12_209
; %bb.206:
	v_mov_b32_e32 v16, 0x44
	v_lshl_add_u32 v19, v0, 2, v16
	s_mov_b64 s[12:13], 0
	v_pk_mov_b32 v[16:17], v[0:1], v[0:1] op_sel:[0,1]
.LBB12_207:                             ; =>This Inner Loop Header: Depth=1
	v_add_co_u32_e32 v16, vcc, 1, v16
	v_addc_co_u32_e32 v17, vcc, 0, v17, vcc
	v_cmp_eq_u32_e32 vcc, 1, v16
	s_waitcnt vmcnt(1)
	v_cndmask_b32_e32 v21, v2, v3, vcc
	v_cmp_lt_u32_e32 vcc, 2, v16
	v_cmp_eq_u32_e64 s[6:7], 2, v16
	v_cndmask_b32_e64 v21, v21, v4, s[6:7]
	s_or_b64 s[12:13], vcc, s[12:13]
	v_cmp_eq_u32_e32 vcc, 3, v16
	v_cndmask_b32_e32 v21, v21, v5, vcc
	v_cmp_eq_u32_e32 vcc, 4, v16
	v_cndmask_b32_e32 v21, v21, v6, vcc
	;; [unrolled: 2-line block ×5, first 2 shown]
	v_cmp_eq_u32_e32 vcc, 8, v16
	ds_read_b32 v20, v19
	v_cndmask_b32_e32 v21, v21, v10, vcc
	v_cmp_eq_u32_e32 vcc, 9, v16
	v_cndmask_b32_e32 v21, v21, v11, vcc
	v_cmp_eq_u32_e32 vcc, 10, v16
	;; [unrolled: 2-line block ×4, first 2 shown]
	s_waitcnt vmcnt(0)
	v_cndmask_b32_e32 v21, v21, v14, vcc
	v_add_u32_e32 v19, 4, v19
	s_waitcnt lgkmcnt(0)
	v_fmac_f32_e32 v18, v21, v20
	s_andn2_b64 exec, exec, s[12:13]
	s_cbranch_execnz .LBB12_207
; %bb.208:
	s_or_b64 exec, exec, s[12:13]
.LBB12_209:
	s_or_b64 exec, exec, s[10:11]
	v_mov_b32_e32 v6, 0
	ds_read_b32 v6, v6 offset:16
	s_waitcnt lgkmcnt(0)
	v_mul_f32_e32 v6, v18, v6
.LBB12_210:
	s_or_b64 exec, exec, s[8:9]
	v_cmp_gt_u32_e64 s[6:7], 5, v0
	s_waitcnt vmcnt(8)
	ds_write_b32 v59, v7
	s_waitcnt lgkmcnt(0)
	; wave barrier
	s_waitcnt lgkmcnt(0)
	s_and_saveexec_b64 s[10:11], s[6:7]
	s_cbranch_execz .LBB12_220
; %bb.211:
	s_and_b64 vcc, exec, s[0:1]
	s_cbranch_vccnz .LBB12_213
; %bb.212:
	v_cmp_eq_u32_e32 vcc, 1, v0
	s_waitcnt vmcnt(1)
	v_cndmask_b32_e32 v16, v2, v3, vcc
	v_cmp_eq_u32_e32 vcc, 2, v0
	v_cndmask_b32_e32 v16, v16, v4, vcc
	v_cmp_eq_u32_e32 vcc, 3, v0
	;; [unrolled: 2-line block ×8, first 2 shown]
	ds_read_b32 v17, v59
	v_cndmask_b32_e32 v16, v16, v11, vcc
	v_cmp_eq_u32_e32 vcc, 10, v0
	v_cndmask_b32_e32 v16, v16, v12, vcc
	v_cmp_eq_u32_e32 vcc, 11, v0
	;; [unrolled: 2-line block ×3, first 2 shown]
	s_waitcnt vmcnt(0)
	v_cndmask_b32_e32 v16, v16, v14, vcc
	s_waitcnt lgkmcnt(0)
	v_mul_f32_e32 v18, v16, v17
	s_cbranch_execz .LBB12_214
	s_branch .LBB12_215
.LBB12_213:
                                        ; implicit-def: $vgpr18
.LBB12_214:
	ds_read_b32 v18, v59
.LBB12_215:
	v_cmp_ne_u32_e32 vcc, 4, v0
	s_and_saveexec_b64 s[12:13], vcc
	s_cbranch_execz .LBB12_219
; %bb.216:
	v_mov_b32_e32 v16, 0x44
	v_lshl_add_u32 v19, v0, 2, v16
	s_mov_b64 s[14:15], 0
	v_pk_mov_b32 v[16:17], v[0:1], v[0:1] op_sel:[0,1]
.LBB12_217:                             ; =>This Inner Loop Header: Depth=1
	v_add_co_u32_e32 v16, vcc, 1, v16
	v_addc_co_u32_e32 v17, vcc, 0, v17, vcc
	v_cmp_eq_u32_e32 vcc, 1, v16
	s_waitcnt vmcnt(1)
	v_cndmask_b32_e32 v21, v2, v3, vcc
	v_cmp_lt_u32_e32 vcc, 3, v16
	v_cmp_eq_u32_e64 s[8:9], 2, v16
	v_cndmask_b32_e64 v21, v21, v4, s[8:9]
	s_or_b64 s[14:15], vcc, s[14:15]
	v_cmp_eq_u32_e32 vcc, 3, v16
	v_cndmask_b32_e32 v21, v21, v5, vcc
	v_cmp_eq_u32_e32 vcc, 4, v16
	v_cndmask_b32_e32 v21, v21, v6, vcc
	;; [unrolled: 2-line block ×5, first 2 shown]
	v_cmp_eq_u32_e32 vcc, 8, v16
	ds_read_b32 v20, v19
	v_cndmask_b32_e32 v21, v21, v10, vcc
	v_cmp_eq_u32_e32 vcc, 9, v16
	v_cndmask_b32_e32 v21, v21, v11, vcc
	v_cmp_eq_u32_e32 vcc, 10, v16
	;; [unrolled: 2-line block ×4, first 2 shown]
	s_waitcnt vmcnt(0)
	v_cndmask_b32_e32 v21, v21, v14, vcc
	v_add_u32_e32 v19, 4, v19
	s_waitcnt lgkmcnt(0)
	v_fmac_f32_e32 v18, v21, v20
	s_andn2_b64 exec, exec, s[14:15]
	s_cbranch_execnz .LBB12_217
; %bb.218:
	s_or_b64 exec, exec, s[14:15]
.LBB12_219:
	s_or_b64 exec, exec, s[12:13]
	v_mov_b32_e32 v7, 0
	ds_read_b32 v7, v7 offset:20
	s_waitcnt lgkmcnt(0)
	v_mul_f32_e32 v7, v18, v7
.LBB12_220:
	s_or_b64 exec, exec, s[10:11]
	v_cmp_gt_u32_e32 vcc, 6, v0
	s_waitcnt vmcnt(7)
	ds_write_b32 v59, v8
	s_waitcnt lgkmcnt(0)
	; wave barrier
	s_waitcnt lgkmcnt(0)
	s_and_saveexec_b64 s[10:11], vcc
	s_cbranch_execz .LBB12_230
; %bb.221:
	s_and_b64 vcc, exec, s[0:1]
	s_cbranch_vccnz .LBB12_223
; %bb.222:
	v_cmp_eq_u32_e32 vcc, 1, v0
	s_waitcnt vmcnt(1)
	v_cndmask_b32_e32 v16, v2, v3, vcc
	v_cmp_eq_u32_e32 vcc, 2, v0
	v_cndmask_b32_e32 v16, v16, v4, vcc
	v_cmp_eq_u32_e32 vcc, 3, v0
	;; [unrolled: 2-line block ×8, first 2 shown]
	ds_read_b32 v17, v59
	v_cndmask_b32_e32 v16, v16, v11, vcc
	v_cmp_eq_u32_e32 vcc, 10, v0
	v_cndmask_b32_e32 v16, v16, v12, vcc
	v_cmp_eq_u32_e32 vcc, 11, v0
	;; [unrolled: 2-line block ×3, first 2 shown]
	s_waitcnt vmcnt(0)
	v_cndmask_b32_e32 v16, v16, v14, vcc
	s_waitcnt lgkmcnt(0)
	v_mul_f32_e32 v18, v16, v17
	s_cbranch_execz .LBB12_224
	s_branch .LBB12_225
.LBB12_223:
                                        ; implicit-def: $vgpr18
.LBB12_224:
	ds_read_b32 v18, v59
.LBB12_225:
	v_cmp_ne_u32_e32 vcc, 5, v0
	s_and_saveexec_b64 s[12:13], vcc
	s_cbranch_execz .LBB12_229
; %bb.226:
	v_mov_b32_e32 v16, 0x44
	v_lshl_add_u32 v19, v0, 2, v16
	s_mov_b64 s[14:15], 0
	v_pk_mov_b32 v[16:17], v[0:1], v[0:1] op_sel:[0,1]
.LBB12_227:                             ; =>This Inner Loop Header: Depth=1
	v_add_co_u32_e32 v16, vcc, 1, v16
	v_addc_co_u32_e32 v17, vcc, 0, v17, vcc
	v_cmp_eq_u32_e32 vcc, 1, v16
	s_waitcnt vmcnt(1)
	v_cndmask_b32_e32 v21, v2, v3, vcc
	v_cmp_lt_u32_e32 vcc, 4, v16
	v_cmp_eq_u32_e64 s[8:9], 2, v16
	v_cndmask_b32_e64 v21, v21, v4, s[8:9]
	s_or_b64 s[14:15], vcc, s[14:15]
	v_cmp_eq_u32_e32 vcc, 3, v16
	v_cndmask_b32_e32 v21, v21, v5, vcc
	v_cmp_eq_u32_e32 vcc, 4, v16
	v_cndmask_b32_e32 v21, v21, v6, vcc
	v_cmp_eq_u32_e32 vcc, 5, v16
	v_cndmask_b32_e32 v21, v21, v7, vcc
	v_cmp_eq_u32_e32 vcc, 6, v16
	v_cndmask_b32_e32 v21, v21, v8, vcc
	v_cmp_eq_u32_e32 vcc, 7, v16
	v_cndmask_b32_e32 v21, v21, v9, vcc
	v_cmp_eq_u32_e32 vcc, 8, v16
	ds_read_b32 v20, v19
	v_cndmask_b32_e32 v21, v21, v10, vcc
	v_cmp_eq_u32_e32 vcc, 9, v16
	v_cndmask_b32_e32 v21, v21, v11, vcc
	v_cmp_eq_u32_e32 vcc, 10, v16
	;; [unrolled: 2-line block ×4, first 2 shown]
	s_waitcnt vmcnt(0)
	v_cndmask_b32_e32 v21, v21, v14, vcc
	v_add_u32_e32 v19, 4, v19
	s_waitcnt lgkmcnt(0)
	v_fmac_f32_e32 v18, v21, v20
	s_andn2_b64 exec, exec, s[14:15]
	s_cbranch_execnz .LBB12_227
; %bb.228:
	s_or_b64 exec, exec, s[14:15]
.LBB12_229:
	s_or_b64 exec, exec, s[12:13]
	v_mov_b32_e32 v8, 0
	ds_read_b32 v8, v8 offset:24
	s_waitcnt lgkmcnt(0)
	v_mul_f32_e32 v8, v18, v8
.LBB12_230:
	s_or_b64 exec, exec, s[10:11]
	v_cmp_gt_u32_e64 s[8:9], 7, v0
	s_waitcnt vmcnt(6)
	ds_write_b32 v59, v9
	s_waitcnt lgkmcnt(0)
	; wave barrier
	s_waitcnt lgkmcnt(0)
	s_and_saveexec_b64 s[12:13], s[8:9]
	s_cbranch_execz .LBB12_240
; %bb.231:
	s_and_b64 vcc, exec, s[0:1]
	s_cbranch_vccnz .LBB12_233
; %bb.232:
	v_cmp_eq_u32_e32 vcc, 1, v0
	s_waitcnt vmcnt(1)
	v_cndmask_b32_e32 v16, v2, v3, vcc
	v_cmp_eq_u32_e32 vcc, 2, v0
	v_cndmask_b32_e32 v16, v16, v4, vcc
	v_cmp_eq_u32_e32 vcc, 3, v0
	;; [unrolled: 2-line block ×8, first 2 shown]
	ds_read_b32 v17, v59
	v_cndmask_b32_e32 v16, v16, v11, vcc
	v_cmp_eq_u32_e32 vcc, 10, v0
	v_cndmask_b32_e32 v16, v16, v12, vcc
	v_cmp_eq_u32_e32 vcc, 11, v0
	;; [unrolled: 2-line block ×3, first 2 shown]
	s_waitcnt vmcnt(0)
	v_cndmask_b32_e32 v16, v16, v14, vcc
	s_waitcnt lgkmcnt(0)
	v_mul_f32_e32 v18, v16, v17
	s_cbranch_execz .LBB12_234
	s_branch .LBB12_235
.LBB12_233:
                                        ; implicit-def: $vgpr18
.LBB12_234:
	ds_read_b32 v18, v59
.LBB12_235:
	v_cmp_ne_u32_e32 vcc, 6, v0
	s_and_saveexec_b64 s[14:15], vcc
	s_cbranch_execz .LBB12_239
; %bb.236:
	v_mov_b32_e32 v16, 0x44
	v_lshl_add_u32 v19, v0, 2, v16
	s_mov_b64 s[16:17], 0
	v_pk_mov_b32 v[16:17], v[0:1], v[0:1] op_sel:[0,1]
.LBB12_237:                             ; =>This Inner Loop Header: Depth=1
	v_add_co_u32_e32 v16, vcc, 1, v16
	v_addc_co_u32_e32 v17, vcc, 0, v17, vcc
	v_cmp_eq_u32_e32 vcc, 1, v16
	s_waitcnt vmcnt(1)
	v_cndmask_b32_e32 v21, v2, v3, vcc
	v_cmp_lt_u32_e32 vcc, 5, v16
	v_cmp_eq_u32_e64 s[10:11], 2, v16
	v_cndmask_b32_e64 v21, v21, v4, s[10:11]
	s_or_b64 s[16:17], vcc, s[16:17]
	v_cmp_eq_u32_e32 vcc, 3, v16
	v_cndmask_b32_e32 v21, v21, v5, vcc
	v_cmp_eq_u32_e32 vcc, 4, v16
	v_cndmask_b32_e32 v21, v21, v6, vcc
	;; [unrolled: 2-line block ×5, first 2 shown]
	v_cmp_eq_u32_e32 vcc, 8, v16
	ds_read_b32 v20, v19
	v_cndmask_b32_e32 v21, v21, v10, vcc
	v_cmp_eq_u32_e32 vcc, 9, v16
	v_cndmask_b32_e32 v21, v21, v11, vcc
	v_cmp_eq_u32_e32 vcc, 10, v16
	;; [unrolled: 2-line block ×4, first 2 shown]
	s_waitcnt vmcnt(0)
	v_cndmask_b32_e32 v21, v21, v14, vcc
	v_add_u32_e32 v19, 4, v19
	s_waitcnt lgkmcnt(0)
	v_fmac_f32_e32 v18, v21, v20
	s_andn2_b64 exec, exec, s[16:17]
	s_cbranch_execnz .LBB12_237
; %bb.238:
	s_or_b64 exec, exec, s[16:17]
.LBB12_239:
	s_or_b64 exec, exec, s[14:15]
	v_mov_b32_e32 v9, 0
	ds_read_b32 v9, v9 offset:28
	s_waitcnt lgkmcnt(0)
	v_mul_f32_e32 v9, v18, v9
.LBB12_240:
	s_or_b64 exec, exec, s[12:13]
	v_cmp_gt_u32_e32 vcc, 8, v0
	s_waitcnt vmcnt(5)
	ds_write_b32 v59, v10
	s_waitcnt lgkmcnt(0)
	; wave barrier
	s_waitcnt lgkmcnt(0)
	s_and_saveexec_b64 s[12:13], vcc
	s_cbranch_execz .LBB12_250
; %bb.241:
	s_and_b64 vcc, exec, s[0:1]
	s_cbranch_vccnz .LBB12_243
; %bb.242:
	v_cmp_eq_u32_e32 vcc, 1, v0
	s_waitcnt vmcnt(1)
	v_cndmask_b32_e32 v16, v2, v3, vcc
	v_cmp_eq_u32_e32 vcc, 2, v0
	v_cndmask_b32_e32 v16, v16, v4, vcc
	v_cmp_eq_u32_e32 vcc, 3, v0
	v_cndmask_b32_e32 v16, v16, v5, vcc
	v_cmp_eq_u32_e32 vcc, 4, v0
	v_cndmask_b32_e32 v16, v16, v6, vcc
	v_cmp_eq_u32_e32 vcc, 5, v0
	v_cndmask_b32_e32 v16, v16, v7, vcc
	v_cmp_eq_u32_e32 vcc, 6, v0
	v_cndmask_b32_e32 v16, v16, v8, vcc
	v_cmp_eq_u32_e32 vcc, 7, v0
	v_cndmask_b32_e32 v16, v16, v9, vcc
	v_cmp_eq_u32_e32 vcc, 8, v0
	v_cndmask_b32_e32 v16, v16, v10, vcc
	v_cmp_eq_u32_e32 vcc, 9, v0
	ds_read_b32 v17, v59
	v_cndmask_b32_e32 v16, v16, v11, vcc
	v_cmp_eq_u32_e32 vcc, 10, v0
	v_cndmask_b32_e32 v16, v16, v12, vcc
	v_cmp_eq_u32_e32 vcc, 11, v0
	;; [unrolled: 2-line block ×3, first 2 shown]
	s_waitcnt vmcnt(0)
	v_cndmask_b32_e32 v16, v16, v14, vcc
	s_waitcnt lgkmcnt(0)
	v_mul_f32_e32 v18, v16, v17
	s_cbranch_execz .LBB12_244
	s_branch .LBB12_245
.LBB12_243:
                                        ; implicit-def: $vgpr18
.LBB12_244:
	ds_read_b32 v18, v59
.LBB12_245:
	v_cmp_ne_u32_e32 vcc, 7, v0
	s_and_saveexec_b64 s[14:15], vcc
	s_cbranch_execz .LBB12_249
; %bb.246:
	v_mov_b32_e32 v16, 0x44
	v_lshl_add_u32 v19, v0, 2, v16
	s_mov_b64 s[16:17], 0
	v_pk_mov_b32 v[16:17], v[0:1], v[0:1] op_sel:[0,1]
.LBB12_247:                             ; =>This Inner Loop Header: Depth=1
	v_add_co_u32_e32 v16, vcc, 1, v16
	v_addc_co_u32_e32 v17, vcc, 0, v17, vcc
	v_cmp_eq_u32_e32 vcc, 1, v16
	s_waitcnt vmcnt(1)
	v_cndmask_b32_e32 v21, v2, v3, vcc
	v_cmp_lt_u32_e32 vcc, 6, v16
	v_cmp_eq_u32_e64 s[10:11], 2, v16
	v_cndmask_b32_e64 v21, v21, v4, s[10:11]
	s_or_b64 s[16:17], vcc, s[16:17]
	v_cmp_eq_u32_e32 vcc, 3, v16
	v_cndmask_b32_e32 v21, v21, v5, vcc
	v_cmp_eq_u32_e32 vcc, 4, v16
	v_cndmask_b32_e32 v21, v21, v6, vcc
	;; [unrolled: 2-line block ×5, first 2 shown]
	v_cmp_eq_u32_e32 vcc, 8, v16
	ds_read_b32 v20, v19
	v_cndmask_b32_e32 v21, v21, v10, vcc
	v_cmp_eq_u32_e32 vcc, 9, v16
	v_cndmask_b32_e32 v21, v21, v11, vcc
	v_cmp_eq_u32_e32 vcc, 10, v16
	v_cndmask_b32_e32 v21, v21, v12, vcc
	v_cmp_eq_u32_e32 vcc, 11, v16
	v_cndmask_b32_e32 v21, v21, v13, vcc
	v_cmp_eq_u32_e32 vcc, 12, v16
	s_waitcnt vmcnt(0)
	v_cndmask_b32_e32 v21, v21, v14, vcc
	v_add_u32_e32 v19, 4, v19
	s_waitcnt lgkmcnt(0)
	v_fmac_f32_e32 v18, v21, v20
	s_andn2_b64 exec, exec, s[16:17]
	s_cbranch_execnz .LBB12_247
; %bb.248:
	s_or_b64 exec, exec, s[16:17]
.LBB12_249:
	s_or_b64 exec, exec, s[14:15]
	v_mov_b32_e32 v10, 0
	ds_read_b32 v10, v10 offset:32
	s_waitcnt lgkmcnt(0)
	v_mul_f32_e32 v10, v18, v10
.LBB12_250:
	s_or_b64 exec, exec, s[12:13]
	v_cmp_gt_u32_e32 vcc, 9, v0
	s_waitcnt vmcnt(4)
	ds_write_b32 v59, v11
	s_waitcnt lgkmcnt(0)
	; wave barrier
	s_waitcnt lgkmcnt(0)
	s_and_saveexec_b64 s[10:11], vcc
	s_cbranch_execz .LBB12_272
; %bb.251:
	s_and_b64 vcc, exec, s[0:1]
	s_cbranch_vccnz .LBB12_253
; %bb.252:
	v_cmp_eq_u32_e32 vcc, 1, v0
	s_waitcnt vmcnt(1)
	v_cndmask_b32_e32 v16, v2, v3, vcc
	v_cmp_eq_u32_e32 vcc, 2, v0
	v_cndmask_b32_e32 v16, v16, v4, vcc
	v_cmp_eq_u32_e32 vcc, 3, v0
	;; [unrolled: 2-line block ×8, first 2 shown]
	ds_read_b32 v17, v59
	v_cndmask_b32_e32 v16, v16, v11, vcc
	v_cmp_eq_u32_e32 vcc, 10, v0
	v_cndmask_b32_e32 v16, v16, v12, vcc
	v_cmp_eq_u32_e32 vcc, 11, v0
	;; [unrolled: 2-line block ×3, first 2 shown]
	s_waitcnt vmcnt(0)
	v_cndmask_b32_e32 v16, v16, v14, vcc
	s_waitcnt lgkmcnt(0)
	v_mul_f32_e32 v16, v16, v17
	s_cbranch_execz .LBB12_254
	s_branch .LBB12_255
.LBB12_253:
                                        ; implicit-def: $vgpr16
.LBB12_254:
	ds_read_b32 v16, v59
.LBB12_255:
	v_cmp_ne_u32_e32 vcc, 8, v0
	s_and_saveexec_b64 s[12:13], vcc
	s_cbranch_execz .LBB12_271
; %bb.256:
	v_cmp_eq_u32_e32 vcc, 1, v15
	s_waitcnt vmcnt(1)
	v_cndmask_b32_e32 v17, v2, v3, vcc
	v_cmp_eq_u32_e32 vcc, 2, v15
	v_cndmask_b32_e32 v17, v17, v4, vcc
	v_cmp_eq_u32_e32 vcc, 3, v15
	;; [unrolled: 2-line block ×8, first 2 shown]
	ds_read_b32 v18, v59 offset:4
	v_cndmask_b32_e32 v17, v17, v11, vcc
	v_cmp_eq_u32_e32 vcc, 10, v15
	v_cndmask_b32_e32 v17, v17, v12, vcc
	v_cmp_eq_u32_e32 vcc, 11, v15
	;; [unrolled: 2-line block ×3, first 2 shown]
	s_waitcnt vmcnt(0)
	v_cndmask_b32_e32 v15, v17, v14, vcc
	s_waitcnt lgkmcnt(0)
	v_fmac_f32_e32 v16, v15, v18
	s_and_saveexec_b64 s[14:15], s[8:9]
	s_cbranch_execz .LBB12_270
; %bb.257:
	v_add_u32_e32 v15, 2, v0
	v_cmp_eq_u32_e32 vcc, 1, v15
	v_cndmask_b32_e32 v17, v2, v3, vcc
	v_cmp_eq_u32_e32 vcc, 2, v15
	v_cndmask_b32_e32 v17, v17, v4, vcc
	;; [unrolled: 2-line block ×8, first 2 shown]
	v_cmp_eq_u32_e32 vcc, 9, v15
	ds_read_b32 v18, v59 offset:8
	v_cndmask_b32_e32 v17, v17, v11, vcc
	v_cmp_eq_u32_e32 vcc, 10, v15
	v_cndmask_b32_e32 v17, v17, v12, vcc
	v_cmp_eq_u32_e32 vcc, 11, v15
	;; [unrolled: 2-line block ×3, first 2 shown]
	v_cndmask_b32_e32 v15, v17, v14, vcc
	s_waitcnt lgkmcnt(0)
	v_fmac_f32_e32 v16, v15, v18
	v_cmp_ne_u32_e32 vcc, 6, v0
	s_and_saveexec_b64 s[8:9], vcc
	s_cbranch_execz .LBB12_269
; %bb.258:
	v_add_u32_e32 v15, 3, v0
	v_cmp_eq_u32_e32 vcc, 1, v15
	v_cndmask_b32_e32 v17, v2, v3, vcc
	v_cmp_eq_u32_e32 vcc, 2, v15
	v_cndmask_b32_e32 v17, v17, v4, vcc
	;; [unrolled: 2-line block ×8, first 2 shown]
	v_cmp_eq_u32_e32 vcc, 9, v15
	ds_read_b32 v18, v59 offset:12
	v_cndmask_b32_e32 v17, v17, v11, vcc
	v_cmp_eq_u32_e32 vcc, 10, v15
	v_cndmask_b32_e32 v17, v17, v12, vcc
	v_cmp_eq_u32_e32 vcc, 11, v15
	;; [unrolled: 2-line block ×3, first 2 shown]
	v_cndmask_b32_e32 v15, v17, v14, vcc
	s_waitcnt lgkmcnt(0)
	v_fmac_f32_e32 v16, v15, v18
	s_and_saveexec_b64 s[16:17], s[6:7]
	s_cbranch_execz .LBB12_268
; %bb.259:
	v_add_u32_e32 v15, 4, v0
	v_cmp_eq_u32_e32 vcc, 1, v15
	v_cndmask_b32_e32 v17, v2, v3, vcc
	v_cmp_eq_u32_e32 vcc, 2, v15
	v_cndmask_b32_e32 v17, v17, v4, vcc
	v_cmp_eq_u32_e32 vcc, 3, v15
	v_cndmask_b32_e32 v17, v17, v5, vcc
	v_cmp_eq_u32_e32 vcc, 4, v15
	v_cndmask_b32_e32 v17, v17, v6, vcc
	v_cmp_eq_u32_e32 vcc, 5, v15
	v_cndmask_b32_e32 v17, v17, v7, vcc
	v_cmp_eq_u32_e32 vcc, 6, v15
	v_cndmask_b32_e32 v17, v17, v8, vcc
	v_cmp_eq_u32_e32 vcc, 7, v15
	v_cndmask_b32_e32 v17, v17, v9, vcc
	v_cmp_eq_u32_e32 vcc, 8, v15
	v_cndmask_b32_e32 v17, v17, v10, vcc
	v_cmp_eq_u32_e32 vcc, 9, v15
	ds_read_b32 v18, v59 offset:16
	v_cndmask_b32_e32 v17, v17, v11, vcc
	v_cmp_eq_u32_e32 vcc, 10, v15
	v_cndmask_b32_e32 v17, v17, v12, vcc
	v_cmp_eq_u32_e32 vcc, 11, v15
	;; [unrolled: 2-line block ×3, first 2 shown]
	v_cndmask_b32_e32 v15, v17, v14, vcc
	s_waitcnt lgkmcnt(0)
	v_fmac_f32_e32 v16, v15, v18
	v_cmp_ne_u32_e32 vcc, 4, v0
	s_and_saveexec_b64 s[6:7], vcc
	s_cbranch_execz .LBB12_267
; %bb.260:
	v_add_u32_e32 v15, 5, v0
	v_cmp_eq_u32_e32 vcc, 1, v15
	v_cndmask_b32_e32 v17, v2, v3, vcc
	v_cmp_eq_u32_e32 vcc, 2, v15
	v_cndmask_b32_e32 v17, v17, v4, vcc
	;; [unrolled: 2-line block ×8, first 2 shown]
	v_cmp_eq_u32_e32 vcc, 9, v15
	ds_read_b32 v18, v59 offset:20
	v_cndmask_b32_e32 v17, v17, v11, vcc
	v_cmp_eq_u32_e32 vcc, 10, v15
	v_cndmask_b32_e32 v17, v17, v12, vcc
	v_cmp_eq_u32_e32 vcc, 11, v15
	;; [unrolled: 2-line block ×3, first 2 shown]
	v_cndmask_b32_e32 v15, v17, v14, vcc
	s_waitcnt lgkmcnt(0)
	v_fmac_f32_e32 v16, v15, v18
	s_and_saveexec_b64 s[18:19], s[4:5]
	s_cbranch_execz .LBB12_266
; %bb.261:
	v_add_u32_e32 v15, 6, v0
	v_cmp_eq_u32_e32 vcc, 1, v15
	v_cndmask_b32_e32 v17, v2, v3, vcc
	v_cmp_eq_u32_e32 vcc, 2, v15
	v_cndmask_b32_e32 v17, v17, v4, vcc
	;; [unrolled: 2-line block ×8, first 2 shown]
	v_cmp_eq_u32_e32 vcc, 9, v15
	ds_read_b32 v18, v59 offset:24
	v_cndmask_b32_e32 v17, v17, v11, vcc
	v_cmp_eq_u32_e32 vcc, 10, v15
	v_cndmask_b32_e32 v17, v17, v12, vcc
	v_cmp_eq_u32_e32 vcc, 11, v15
	;; [unrolled: 2-line block ×3, first 2 shown]
	v_cndmask_b32_e32 v15, v17, v14, vcc
	s_waitcnt lgkmcnt(0)
	v_fmac_f32_e32 v16, v15, v18
	v_cmp_ne_u32_e32 vcc, 2, v0
	s_and_saveexec_b64 s[4:5], vcc
	s_cbranch_execz .LBB12_265
; %bb.262:
	v_add_u32_e32 v15, 7, v0
	v_cmp_eq_u32_e32 vcc, 1, v15
	v_cndmask_b32_e32 v17, v2, v3, vcc
	v_cmp_eq_u32_e32 vcc, 2, v15
	v_cndmask_b32_e32 v17, v17, v4, vcc
	v_cmp_eq_u32_e32 vcc, 3, v15
	v_cndmask_b32_e32 v17, v17, v5, vcc
	v_cmp_eq_u32_e32 vcc, 4, v15
	v_cndmask_b32_e32 v17, v17, v6, vcc
	v_cmp_eq_u32_e32 vcc, 5, v15
	v_cndmask_b32_e32 v17, v17, v7, vcc
	v_cmp_eq_u32_e32 vcc, 6, v15
	v_cndmask_b32_e32 v17, v17, v8, vcc
	v_cmp_eq_u32_e32 vcc, 7, v15
	v_cndmask_b32_e32 v17, v17, v9, vcc
	v_cmp_eq_u32_e32 vcc, 8, v15
	v_cndmask_b32_e32 v17, v17, v10, vcc
	v_cmp_eq_u32_e32 vcc, 9, v15
	v_cndmask_b32_e32 v11, v17, v11, vcc
	ds_read_b32 v17, v59 offset:28
	v_cmp_eq_u32_e32 vcc, 10, v15
	v_cndmask_b32_e32 v11, v11, v12, vcc
	v_cmp_eq_u32_e32 vcc, 11, v15
	v_cndmask_b32_e32 v11, v11, v13, vcc
	;; [unrolled: 2-line block ×3, first 2 shown]
	s_waitcnt lgkmcnt(0)
	v_fmac_f32_e32 v16, v11, v17
	s_and_saveexec_b64 s[20:21], s[2:3]
	s_cbranch_execz .LBB12_264
; %bb.263:
	ds_read_b32 v11, v59 offset:32
	s_waitcnt lgkmcnt(0)
	v_fmac_f32_e32 v16, v10, v11
.LBB12_264:
	s_or_b64 exec, exec, s[20:21]
.LBB12_265:
	s_or_b64 exec, exec, s[4:5]
.LBB12_266:
	s_or_b64 exec, exec, s[18:19]
.LBB12_267:
	s_or_b64 exec, exec, s[6:7]
.LBB12_268:
	s_or_b64 exec, exec, s[16:17]
.LBB12_269:
	s_or_b64 exec, exec, s[8:9]
.LBB12_270:
	s_or_b64 exec, exec, s[14:15]
.LBB12_271:
	s_or_b64 exec, exec, s[12:13]
	v_mov_b32_e32 v11, 0
	ds_read_b32 v11, v11 offset:36
	s_waitcnt lgkmcnt(0)
	v_mul_f32_e32 v11, v16, v11
.LBB12_272:
	s_or_b64 exec, exec, s[10:11]
	v_cmp_gt_u32_e32 vcc, 10, v0
	s_waitcnt vmcnt(3)
	ds_write_b32 v59, v12
	s_waitcnt lgkmcnt(0)
	; wave barrier
	s_waitcnt lgkmcnt(0)
	s_and_saveexec_b64 s[4:5], vcc
	s_cbranch_execz .LBB12_282
; %bb.273:
	s_and_b64 vcc, exec, s[0:1]
	s_cbranch_vccnz .LBB12_275
; %bb.274:
	v_cmp_eq_u32_e32 vcc, 1, v0
	s_waitcnt vmcnt(1)
	v_cndmask_b32_e32 v15, v2, v3, vcc
	v_cmp_eq_u32_e32 vcc, 2, v0
	v_cndmask_b32_e32 v15, v15, v4, vcc
	v_cmp_eq_u32_e32 vcc, 3, v0
	;; [unrolled: 2-line block ×8, first 2 shown]
	ds_read_b32 v16, v59
	v_cndmask_b32_e32 v15, v15, v11, vcc
	v_cmp_eq_u32_e32 vcc, 10, v0
	v_cndmask_b32_e32 v15, v15, v12, vcc
	v_cmp_eq_u32_e32 vcc, 11, v0
	;; [unrolled: 2-line block ×3, first 2 shown]
	s_waitcnt vmcnt(0)
	v_cndmask_b32_e32 v15, v15, v14, vcc
	s_waitcnt lgkmcnt(0)
	v_mul_f32_e32 v15, v15, v16
	s_cbranch_execz .LBB12_276
	s_branch .LBB12_277
.LBB12_275:
                                        ; implicit-def: $vgpr15
.LBB12_276:
	ds_read_b32 v15, v59
.LBB12_277:
	v_cmp_ne_u32_e32 vcc, 9, v0
	s_and_saveexec_b64 s[6:7], vcc
	s_cbranch_execz .LBB12_281
; %bb.278:
	v_mov_b32_e32 v16, 0x44
	v_lshl_add_u32 v18, v0, 2, v16
	s_mov_b64 s[8:9], 0
	v_pk_mov_b32 v[16:17], v[0:1], v[0:1] op_sel:[0,1]
.LBB12_279:                             ; =>This Inner Loop Header: Depth=1
	v_add_co_u32_e32 v16, vcc, 1, v16
	v_addc_co_u32_e32 v17, vcc, 0, v17, vcc
	v_cmp_eq_u32_e32 vcc, 1, v16
	s_waitcnt vmcnt(1)
	v_cndmask_b32_e32 v20, v2, v3, vcc
	v_cmp_lt_u32_e32 vcc, 8, v16
	v_cmp_eq_u32_e64 s[2:3], 2, v16
	v_cndmask_b32_e64 v20, v20, v4, s[2:3]
	s_or_b64 s[8:9], vcc, s[8:9]
	v_cmp_eq_u32_e32 vcc, 3, v16
	v_cndmask_b32_e32 v20, v20, v5, vcc
	v_cmp_eq_u32_e32 vcc, 4, v16
	v_cndmask_b32_e32 v20, v20, v6, vcc
	;; [unrolled: 2-line block ×5, first 2 shown]
	v_cmp_eq_u32_e32 vcc, 8, v16
	ds_read_b32 v19, v18
	v_cndmask_b32_e32 v20, v20, v10, vcc
	v_cmp_eq_u32_e32 vcc, 9, v16
	v_cndmask_b32_e32 v20, v20, v11, vcc
	v_cmp_eq_u32_e32 vcc, 10, v16
	;; [unrolled: 2-line block ×4, first 2 shown]
	s_waitcnt vmcnt(0)
	v_cndmask_b32_e32 v20, v20, v14, vcc
	v_add_u32_e32 v18, 4, v18
	s_waitcnt lgkmcnt(0)
	v_fmac_f32_e32 v15, v20, v19
	s_andn2_b64 exec, exec, s[8:9]
	s_cbranch_execnz .LBB12_279
; %bb.280:
	s_or_b64 exec, exec, s[8:9]
.LBB12_281:
	s_or_b64 exec, exec, s[6:7]
	v_mov_b32_e32 v12, 0
	ds_read_b32 v12, v12 offset:40
	s_waitcnt lgkmcnt(0)
	v_mul_f32_e32 v12, v15, v12
.LBB12_282:
	s_or_b64 exec, exec, s[4:5]
	v_cmp_gt_u32_e64 s[2:3], 11, v0
	s_waitcnt vmcnt(2)
	ds_write_b32 v59, v13
	s_waitcnt lgkmcnt(0)
	; wave barrier
	s_waitcnt lgkmcnt(0)
	s_and_saveexec_b64 s[6:7], s[2:3]
	s_cbranch_execz .LBB12_292
; %bb.283:
	s_and_b64 vcc, exec, s[0:1]
	s_cbranch_vccnz .LBB12_285
; %bb.284:
	v_cmp_eq_u32_e32 vcc, 1, v0
	s_waitcnt vmcnt(1)
	v_cndmask_b32_e32 v15, v2, v3, vcc
	v_cmp_eq_u32_e32 vcc, 2, v0
	v_cndmask_b32_e32 v15, v15, v4, vcc
	v_cmp_eq_u32_e32 vcc, 3, v0
	;; [unrolled: 2-line block ×8, first 2 shown]
	ds_read_b32 v16, v59
	v_cndmask_b32_e32 v15, v15, v11, vcc
	v_cmp_eq_u32_e32 vcc, 10, v0
	v_cndmask_b32_e32 v15, v15, v12, vcc
	v_cmp_eq_u32_e32 vcc, 11, v0
	;; [unrolled: 2-line block ×3, first 2 shown]
	s_waitcnt vmcnt(0)
	v_cndmask_b32_e32 v15, v15, v14, vcc
	s_waitcnt lgkmcnt(0)
	v_mul_f32_e32 v15, v15, v16
	s_cbranch_execz .LBB12_286
	s_branch .LBB12_287
.LBB12_285:
                                        ; implicit-def: $vgpr15
.LBB12_286:
	ds_read_b32 v15, v59
.LBB12_287:
	v_cmp_ne_u32_e32 vcc, 10, v0
	s_and_saveexec_b64 s[8:9], vcc
	s_cbranch_execz .LBB12_291
; %bb.288:
	v_mov_b32_e32 v16, 0x44
	v_lshl_add_u32 v18, v0, 2, v16
	s_mov_b64 s[10:11], 0
	v_pk_mov_b32 v[16:17], v[0:1], v[0:1] op_sel:[0,1]
.LBB12_289:                             ; =>This Inner Loop Header: Depth=1
	v_add_co_u32_e32 v16, vcc, 1, v16
	v_addc_co_u32_e32 v17, vcc, 0, v17, vcc
	v_cmp_eq_u32_e32 vcc, 1, v16
	s_waitcnt vmcnt(1)
	v_cndmask_b32_e32 v20, v2, v3, vcc
	v_cmp_lt_u32_e32 vcc, 9, v16
	v_cmp_eq_u32_e64 s[4:5], 2, v16
	v_cndmask_b32_e64 v20, v20, v4, s[4:5]
	s_or_b64 s[10:11], vcc, s[10:11]
	v_cmp_eq_u32_e32 vcc, 3, v16
	v_cndmask_b32_e32 v20, v20, v5, vcc
	v_cmp_eq_u32_e32 vcc, 4, v16
	v_cndmask_b32_e32 v20, v20, v6, vcc
	;; [unrolled: 2-line block ×5, first 2 shown]
	v_cmp_eq_u32_e32 vcc, 8, v16
	ds_read_b32 v19, v18
	v_cndmask_b32_e32 v20, v20, v10, vcc
	v_cmp_eq_u32_e32 vcc, 9, v16
	v_cndmask_b32_e32 v20, v20, v11, vcc
	v_cmp_eq_u32_e32 vcc, 10, v16
	;; [unrolled: 2-line block ×4, first 2 shown]
	s_waitcnt vmcnt(0)
	v_cndmask_b32_e32 v20, v20, v14, vcc
	v_add_u32_e32 v18, 4, v18
	s_waitcnt lgkmcnt(0)
	v_fmac_f32_e32 v15, v20, v19
	s_andn2_b64 exec, exec, s[10:11]
	s_cbranch_execnz .LBB12_289
; %bb.290:
	s_or_b64 exec, exec, s[10:11]
.LBB12_291:
	s_or_b64 exec, exec, s[8:9]
	v_mov_b32_e32 v13, 0
	ds_read_b32 v13, v13 offset:44
	s_waitcnt lgkmcnt(0)
	v_mul_f32_e32 v13, v15, v13
.LBB12_292:
	s_or_b64 exec, exec, s[6:7]
	v_cmp_ne_u32_e32 vcc, 12, v0
	s_waitcnt vmcnt(0)
	ds_write_b32 v59, v14
	s_waitcnt lgkmcnt(0)
	; wave barrier
	s_waitcnt lgkmcnt(0)
	s_and_saveexec_b64 s[4:5], vcc
	s_cbranch_execz .LBB12_302
; %bb.293:
	s_and_b64 vcc, exec, s[0:1]
	s_cbranch_vccnz .LBB12_295
; %bb.294:
	v_cmp_eq_u32_e32 vcc, 1, v0
	v_cndmask_b32_e32 v15, v2, v3, vcc
	v_cmp_eq_u32_e32 vcc, 2, v0
	v_cndmask_b32_e32 v15, v15, v4, vcc
	v_cmp_eq_u32_e32 vcc, 3, v0
	v_cndmask_b32_e32 v15, v15, v5, vcc
	v_cmp_eq_u32_e32 vcc, 4, v0
	v_cndmask_b32_e32 v15, v15, v6, vcc
	v_cmp_eq_u32_e32 vcc, 5, v0
	v_cndmask_b32_e32 v15, v15, v7, vcc
	v_cmp_eq_u32_e32 vcc, 6, v0
	v_cndmask_b32_e32 v15, v15, v8, vcc
	v_cmp_eq_u32_e32 vcc, 7, v0
	v_cndmask_b32_e32 v15, v15, v9, vcc
	v_cmp_eq_u32_e32 vcc, 8, v0
	v_cndmask_b32_e32 v15, v15, v10, vcc
	v_cmp_eq_u32_e32 vcc, 9, v0
	ds_read_b32 v16, v59
	v_cndmask_b32_e32 v15, v15, v11, vcc
	v_cmp_eq_u32_e32 vcc, 10, v0
	v_cndmask_b32_e32 v15, v15, v12, vcc
	v_cmp_eq_u32_e32 vcc, 11, v0
	;; [unrolled: 2-line block ×3, first 2 shown]
	v_cndmask_b32_e32 v15, v15, v14, vcc
	s_waitcnt lgkmcnt(0)
	v_mul_f32_e32 v15, v15, v16
	s_cbranch_execz .LBB12_296
	s_branch .LBB12_297
.LBB12_295:
                                        ; implicit-def: $vgpr15
.LBB12_296:
	ds_read_b32 v15, v59
.LBB12_297:
	s_and_saveexec_b64 s[6:7], s[2:3]
	s_cbranch_execz .LBB12_301
; %bb.298:
	v_mov_b32_e32 v16, 0x44
	v_lshl_add_u32 v16, v0, 2, v16
	s_mov_b64 s[2:3], 0
.LBB12_299:                             ; =>This Inner Loop Header: Depth=1
	v_add_co_u32_e32 v0, vcc, 1, v0
	v_addc_co_u32_e32 v1, vcc, 0, v1, vcc
	v_cmp_eq_u32_e32 vcc, 1, v0
	v_cndmask_b32_e32 v18, v2, v3, vcc
	v_cmp_lt_u32_e32 vcc, 10, v0
	v_cmp_eq_u32_e64 s[0:1], 2, v0
	v_cndmask_b32_e64 v18, v18, v4, s[0:1]
	s_or_b64 s[2:3], vcc, s[2:3]
	v_cmp_eq_u32_e32 vcc, 3, v0
	v_cndmask_b32_e32 v18, v18, v5, vcc
	v_cmp_eq_u32_e32 vcc, 4, v0
	v_cndmask_b32_e32 v18, v18, v6, vcc
	;; [unrolled: 2-line block ×5, first 2 shown]
	v_cmp_eq_u32_e32 vcc, 8, v0
	ds_read_b32 v17, v16
	v_cndmask_b32_e32 v18, v18, v10, vcc
	v_cmp_eq_u32_e32 vcc, 9, v0
	v_cndmask_b32_e32 v18, v18, v11, vcc
	v_cmp_eq_u32_e32 vcc, 10, v0
	;; [unrolled: 2-line block ×4, first 2 shown]
	v_cndmask_b32_e32 v18, v18, v14, vcc
	v_add_u32_e32 v16, 4, v16
	s_waitcnt lgkmcnt(0)
	v_fmac_f32_e32 v15, v18, v17
	s_andn2_b64 exec, exec, s[2:3]
	s_cbranch_execnz .LBB12_299
; %bb.300:
	s_or_b64 exec, exec, s[2:3]
.LBB12_301:
	s_or_b64 exec, exec, s[6:7]
	v_mov_b32_e32 v0, 0
	ds_read_b32 v0, v0 offset:48
	s_waitcnt lgkmcnt(0)
	v_mul_f32_e32 v14, v15, v0
.LBB12_302:
	s_or_b64 exec, exec, s[4:5]
	v_pk_mov_b32 v[30:31], v[16:17], v[16:17] op_sel:[0,1]
	v_pk_mov_b32 v[28:29], v[14:15], v[14:15] op_sel:[0,1]
	;; [unrolled: 1-line block ×8, first 2 shown]
.LBB12_303:
	global_store_dword v[32:33], v16, off
	global_store_dword v[34:35], v17, off
	global_store_dword v[36:37], v18, off
	global_store_dword v[38:39], v19, off
	global_store_dword v[40:41], v20, off
	global_store_dword v[42:43], v21, off
	global_store_dword v[44:45], v22, off
	global_store_dword v[46:47], v23, off
	global_store_dword v[48:49], v24, off
	global_store_dword v[50:51], v25, off
	global_store_dword v[52:53], v26, off
	global_store_dword v[54:55], v27, off
	global_store_dword v[56:57], v28, off
.LBB12_304:
	s_endpgm
	.section	.rodata,"a",@progbits
	.p2align	6, 0x0
	.amdhsa_kernel _ZN9rocsolver6v33100L18trti2_kernel_smallILi13EfPfEEv13rocblas_fill_17rocblas_diagonal_T1_iil
		.amdhsa_group_segment_fixed_size 116
		.amdhsa_private_segment_fixed_size 0
		.amdhsa_kernarg_size 32
		.amdhsa_user_sgpr_count 6
		.amdhsa_user_sgpr_private_segment_buffer 1
		.amdhsa_user_sgpr_dispatch_ptr 0
		.amdhsa_user_sgpr_queue_ptr 0
		.amdhsa_user_sgpr_kernarg_segment_ptr 1
		.amdhsa_user_sgpr_dispatch_id 0
		.amdhsa_user_sgpr_flat_scratch_init 0
		.amdhsa_user_sgpr_kernarg_preload_length 0
		.amdhsa_user_sgpr_kernarg_preload_offset 0
		.amdhsa_user_sgpr_private_segment_size 0
		.amdhsa_uses_dynamic_stack 0
		.amdhsa_system_sgpr_private_segment_wavefront_offset 0
		.amdhsa_system_sgpr_workgroup_id_x 1
		.amdhsa_system_sgpr_workgroup_id_y 0
		.amdhsa_system_sgpr_workgroup_id_z 0
		.amdhsa_system_sgpr_workgroup_info 0
		.amdhsa_system_vgpr_workitem_id 0
		.amdhsa_next_free_vgpr 75
		.amdhsa_next_free_sgpr 44
		.amdhsa_accum_offset 76
		.amdhsa_reserve_vcc 1
		.amdhsa_reserve_flat_scratch 0
		.amdhsa_float_round_mode_32 0
		.amdhsa_float_round_mode_16_64 0
		.amdhsa_float_denorm_mode_32 3
		.amdhsa_float_denorm_mode_16_64 3
		.amdhsa_dx10_clamp 1
		.amdhsa_ieee_mode 1
		.amdhsa_fp16_overflow 0
		.amdhsa_tg_split 0
		.amdhsa_exception_fp_ieee_invalid_op 0
		.amdhsa_exception_fp_denorm_src 0
		.amdhsa_exception_fp_ieee_div_zero 0
		.amdhsa_exception_fp_ieee_overflow 0
		.amdhsa_exception_fp_ieee_underflow 0
		.amdhsa_exception_fp_ieee_inexact 0
		.amdhsa_exception_int_div_zero 0
	.end_amdhsa_kernel
	.section	.text._ZN9rocsolver6v33100L18trti2_kernel_smallILi13EfPfEEv13rocblas_fill_17rocblas_diagonal_T1_iil,"axG",@progbits,_ZN9rocsolver6v33100L18trti2_kernel_smallILi13EfPfEEv13rocblas_fill_17rocblas_diagonal_T1_iil,comdat
.Lfunc_end12:
	.size	_ZN9rocsolver6v33100L18trti2_kernel_smallILi13EfPfEEv13rocblas_fill_17rocblas_diagonal_T1_iil, .Lfunc_end12-_ZN9rocsolver6v33100L18trti2_kernel_smallILi13EfPfEEv13rocblas_fill_17rocblas_diagonal_T1_iil
                                        ; -- End function
	.section	.AMDGPU.csdata,"",@progbits
; Kernel info:
; codeLenInByte = 13836
; NumSgprs: 48
; NumVgprs: 75
; NumAgprs: 0
; TotalNumVgprs: 75
; ScratchSize: 0
; MemoryBound: 0
; FloatMode: 240
; IeeeMode: 1
; LDSByteSize: 116 bytes/workgroup (compile time only)
; SGPRBlocks: 5
; VGPRBlocks: 9
; NumSGPRsForWavesPerEU: 48
; NumVGPRsForWavesPerEU: 75
; AccumOffset: 76
; Occupancy: 6
; WaveLimiterHint : 0
; COMPUTE_PGM_RSRC2:SCRATCH_EN: 0
; COMPUTE_PGM_RSRC2:USER_SGPR: 6
; COMPUTE_PGM_RSRC2:TRAP_HANDLER: 0
; COMPUTE_PGM_RSRC2:TGID_X_EN: 1
; COMPUTE_PGM_RSRC2:TGID_Y_EN: 0
; COMPUTE_PGM_RSRC2:TGID_Z_EN: 0
; COMPUTE_PGM_RSRC2:TIDIG_COMP_CNT: 0
; COMPUTE_PGM_RSRC3_GFX90A:ACCUM_OFFSET: 18
; COMPUTE_PGM_RSRC3_GFX90A:TG_SPLIT: 0
	.section	.text._ZN9rocsolver6v33100L18trti2_kernel_smallILi14EfPfEEv13rocblas_fill_17rocblas_diagonal_T1_iil,"axG",@progbits,_ZN9rocsolver6v33100L18trti2_kernel_smallILi14EfPfEEv13rocblas_fill_17rocblas_diagonal_T1_iil,comdat
	.globl	_ZN9rocsolver6v33100L18trti2_kernel_smallILi14EfPfEEv13rocblas_fill_17rocblas_diagonal_T1_iil ; -- Begin function _ZN9rocsolver6v33100L18trti2_kernel_smallILi14EfPfEEv13rocblas_fill_17rocblas_diagonal_T1_iil
	.p2align	8
	.type	_ZN9rocsolver6v33100L18trti2_kernel_smallILi14EfPfEEv13rocblas_fill_17rocblas_diagonal_T1_iil,@function
_ZN9rocsolver6v33100L18trti2_kernel_smallILi14EfPfEEv13rocblas_fill_17rocblas_diagonal_T1_iil: ; @_ZN9rocsolver6v33100L18trti2_kernel_smallILi14EfPfEEv13rocblas_fill_17rocblas_diagonal_T1_iil
; %bb.0:
	v_cmp_gt_u32_e32 vcc, 14, v0
	s_and_saveexec_b64 s[0:1], vcc
	s_cbranch_execz .LBB13_330
; %bb.1:
	s_load_dwordx8 s[36:43], s[4:5], 0x0
	s_ashr_i32 s2, s6, 31
	v_lshlrev_b32_e32 v16, 2, v0
	v_mov_b32_e32 v17, -1.0
	s_waitcnt lgkmcnt(0)
	s_mul_i32 s3, s6, s43
	s_mul_hi_u32 s4, s6, s42
	s_add_i32 s3, s4, s3
	s_mul_i32 s2, s2, s42
	s_add_i32 s3, s3, s2
	s_mul_i32 s2, s6, s42
	s_ashr_i32 s1, s40, 31
	s_lshl_b64 s[2:3], s[2:3], 2
	s_mov_b32 s0, s40
	s_add_u32 s2, s38, s2
	s_addc_u32 s3, s39, s3
	s_lshl_b64 s[0:1], s[0:1], 2
	s_add_u32 s0, s2, s0
	s_addc_u32 s1, s3, s1
	v_mov_b32_e32 v1, s1
	v_add_co_u32_e32 v32, vcc, s0, v16
	s_ashr_i32 s3, s41, 31
	s_mov_b32 s2, s41
	v_addc_co_u32_e32 v33, vcc, 0, v1, vcc
	s_lshl_b64 s[2:3], s[2:3], 2
	v_add_co_u32_e32 v34, vcc, s2, v32
	s_add_i32 s2, s41, s41
	v_add_u32_e32 v2, s2, v0
	v_mov_b32_e32 v1, s3
	v_ashrrev_i32_e32 v3, 31, v2
	v_addc_co_u32_e32 v35, vcc, v33, v1, vcc
	v_lshlrev_b64 v[4:5], 2, v[2:3]
	v_add_u32_e32 v2, s41, v2
	v_mov_b32_e32 v1, s1
	v_add_co_u32_e32 v36, vcc, s0, v4
	v_ashrrev_i32_e32 v3, 31, v2
	v_addc_co_u32_e32 v37, vcc, v1, v5, vcc
	v_lshlrev_b64 v[4:5], 2, v[2:3]
	v_add_u32_e32 v2, s41, v2
	v_add_co_u32_e32 v38, vcc, s0, v4
	v_ashrrev_i32_e32 v3, 31, v2
	v_addc_co_u32_e32 v39, vcc, v1, v5, vcc
	v_lshlrev_b64 v[4:5], 2, v[2:3]
	v_add_u32_e32 v2, s41, v2
	;; [unrolled: 5-line block ×8, first 2 shown]
	v_add_co_u32_e32 v52, vcc, s0, v14
	v_ashrrev_i32_e32 v13, 31, v12
	global_load_dword v3, v[34:35], off
	global_load_dword v4, v[36:37], off
	;; [unrolled: 1-line block ×8, first 2 shown]
	v_addc_co_u32_e32 v53, vcc, v1, v15, vcc
	v_lshlrev_b64 v[14:15], 2, v[12:13]
	v_add_u32_e32 v18, s41, v12
	v_add_co_u32_e32 v54, vcc, s0, v14
	v_ashrrev_i32_e32 v19, 31, v18
	v_addc_co_u32_e32 v55, vcc, v1, v15, vcc
	v_lshlrev_b64 v[12:13], 2, v[18:19]
	v_add_u32_e32 v18, s41, v18
	v_add_co_u32_e32 v56, vcc, s0, v12
	v_ashrrev_i32_e32 v19, 31, v18
	v_addc_co_u32_e32 v57, vcc, v1, v13, vcc
	global_load_dword v11, v[50:51], off
	global_load_dword v12, v[52:53], off
	;; [unrolled: 1-line block ×4, first 2 shown]
	v_lshlrev_b64 v[18:19], 2, v[18:19]
	v_add_co_u32_e32 v58, vcc, s0, v18
	v_addc_co_u32_e32 v59, vcc, v1, v19, vcc
	global_load_dword v2, v16, s[0:1]
	global_load_dword v15, v[58:59], off
	s_cmpk_lg_i32 s37, 0x84
	v_mov_b32_e32 v1, 0
	s_cselect_b64 s[28:29], -1, 0
	s_cmpk_eq_i32 s37, 0x84
	v_cmp_eq_u32_e64 s[0:1], 0, v0
	s_cbranch_scc1 .LBB13_3
; %bb.2:
	v_cmp_eq_u32_e64 s[2:3], 1, v0
	s_waitcnt vmcnt(1)
	v_cndmask_b32_e64 v17, v2, v3, s[2:3]
	v_cmp_eq_u32_e64 s[4:5], 2, v0
	v_cndmask_b32_e64 v17, v17, v4, s[4:5]
	v_cmp_eq_u32_e64 s[6:7], 3, v0
	;; [unrolled: 2-line block ×12, first 2 shown]
	s_waitcnt vmcnt(0)
	v_cndmask_b32_e64 v17, v17, v15, s[26:27]
	v_div_scale_f32 v18, s[30:31], v17, v17, 1.0
	v_rcp_f32_e32 v19, v18
	v_fma_f32 v20, -v18, v19, 1.0
	v_fmac_f32_e32 v19, v20, v19
	v_div_scale_f32 v20, vcc, 1.0, v17, 1.0
	v_mul_f32_e32 v21, v20, v19
	v_fma_f32 v22, -v18, v21, v20
	v_fmac_f32_e32 v21, v22, v19
	v_fma_f32 v18, -v18, v21, v20
	v_div_fmas_f32 v18, v18, v19, v21
	v_div_fixup_f32 v17, v18, v17, 1.0
	v_cndmask_b32_e64 v15, v15, v17, s[26:27]
	v_cndmask_b32_e64 v14, v14, v17, s[24:25]
	v_cndmask_b32_e64 v13, v13, v17, s[22:23]
	v_cndmask_b32_e64 v12, v12, v17, s[20:21]
	v_cndmask_b32_e64 v11, v11, v17, s[18:19]
	v_cndmask_b32_e64 v10, v10, v17, s[16:17]
	v_cndmask_b32_e64 v9, v9, v17, s[14:15]
	v_cndmask_b32_e64 v8, v8, v17, s[12:13]
	v_cndmask_b32_e64 v7, v7, v17, s[10:11]
	v_cndmask_b32_e64 v6, v6, v17, s[8:9]
	v_cndmask_b32_e64 v5, v5, v17, s[6:7]
	v_cndmask_b32_e64 v4, v4, v17, s[4:5]
	v_cndmask_b32_e64 v3, v3, v17, s[2:3]
	v_cndmask_b32_e64 v2, v2, v17, s[0:1]
	v_xor_b32_e32 v17, 0x80000000, v17
.LBB13_3:
	s_cmpk_eq_i32 s36, 0x79
	v_add_u32_e32 v61, 64, v16
	ds_write_b32 v16, v17
	s_cbranch_scc1 .LBB13_7
; %bb.4:
	s_waitcnt vmcnt(0)
	v_pk_mov_b32 v[30:31], v[16:17], v[16:17] op_sel:[0,1]
	v_cmp_eq_u32_e64 s[0:1], 13, v0
	v_pk_mov_b32 v[28:29], v[14:15], v[14:15] op_sel:[0,1]
	v_pk_mov_b32 v[26:27], v[12:13], v[12:13] op_sel:[0,1]
	;; [unrolled: 1-line block ×7, first 2 shown]
	ds_write_b32 v61, v14
	s_waitcnt lgkmcnt(0)
	; wave barrier
	s_waitcnt lgkmcnt(0)
	s_and_saveexec_b64 s[2:3], s[0:1]
	s_cbranch_execz .LBB13_11
; %bb.5:
	s_and_b64 vcc, exec, s[28:29]
	s_cbranch_vccz .LBB13_8
; %bb.6:
	v_cmp_eq_u32_e32 vcc, 1, v0
	v_cndmask_b32_e32 v16, v2, v3, vcc
	v_cmp_eq_u32_e32 vcc, 2, v0
	v_cndmask_b32_e32 v16, v16, v4, vcc
	;; [unrolled: 2-line block ×9, first 2 shown]
	v_cmp_eq_u32_e32 vcc, 10, v0
	ds_read_b32 v17, v61
	v_cndmask_b32_e32 v16, v16, v12, vcc
	v_cmp_eq_u32_e32 vcc, 11, v0
	v_cndmask_b32_e32 v16, v16, v13, vcc
	v_cmp_eq_u32_e32 vcc, 12, v0
	;; [unrolled: 2-line block ×3, first 2 shown]
	v_cndmask_b32_e32 v16, v16, v15, vcc
	s_waitcnt lgkmcnt(0)
	v_mul_f32_e32 v20, v16, v17
	s_cbranch_execz .LBB13_9
	s_branch .LBB13_10
.LBB13_7:
                                        ; implicit-def: $vgpr16_vgpr17_vgpr18_vgpr19_vgpr20_vgpr21_vgpr22_vgpr23_vgpr24_vgpr25_vgpr26_vgpr27_vgpr28_vgpr29_vgpr30_vgpr31
	s_cbranch_execnz .LBB13_194
	s_branch .LBB13_329
.LBB13_8:
                                        ; implicit-def: $vgpr20
.LBB13_9:
	ds_read_b32 v20, v61
.LBB13_10:
	v_mov_b32_e32 v16, 0
	ds_read_b32 v21, v16 offset:48
	v_mov_b32_e32 v16, v2
	v_mov_b32_e32 v17, v3
	;; [unrolled: 1-line block ×4, first 2 shown]
	s_waitcnt lgkmcnt(0)
	v_mul_f32_e32 v28, v20, v21
	v_mov_b32_e32 v20, v6
	v_mov_b32_e32 v21, v7
	;; [unrolled: 1-line block ×9, first 2 shown]
.LBB13_11:
	s_or_b64 exec, exec, s[2:3]
	v_cmp_lt_u32_e64 s[2:3], 11, v0
	ds_write_b32 v61, v27
	s_waitcnt lgkmcnt(0)
	; wave barrier
	s_waitcnt lgkmcnt(0)
	s_and_saveexec_b64 s[4:5], s[2:3]
	s_cbranch_execz .LBB13_17
; %bb.12:
	s_andn2_b64 vcc, exec, s[28:29]
	s_cbranch_vccnz .LBB13_14
; %bb.13:
	v_cmp_eq_u32_e32 vcc, 1, v0
	v_cndmask_b32_e32 v30, v16, v17, vcc
	v_cmp_eq_u32_e32 vcc, 2, v0
	v_cndmask_b32_e32 v30, v30, v18, vcc
	;; [unrolled: 2-line block ×11, first 2 shown]
	ds_read_b32 v30, v61
	v_cmp_eq_u32_e32 vcc, 12, v0
	v_cndmask_b32_e32 v27, v27, v28, vcc
	v_cmp_eq_u32_e32 vcc, 13, v0
	v_cndmask_b32_e32 v27, v27, v29, vcc
	s_waitcnt lgkmcnt(0)
	v_mul_f32_e32 v27, v27, v30
	s_cbranch_execz .LBB13_15
	s_branch .LBB13_16
.LBB13_14:
                                        ; implicit-def: $vgpr27
.LBB13_15:
	ds_read_b32 v27, v61
.LBB13_16:
	v_mov_b32_e32 v30, 0
	ds_read2_b32 v[30:31], v30 offset0:11 offset1:28
	s_waitcnt lgkmcnt(0)
	v_fma_f32 v31, v28, v31, v27
	v_cndmask_b32_e64 v27, v27, v31, s[0:1]
	v_mul_f32_e32 v27, v27, v30
.LBB13_17:
	s_or_b64 exec, exec, s[4:5]
	v_cmp_lt_u32_e64 s[0:1], 10, v0
	ds_write_b32 v61, v26
	s_waitcnt lgkmcnt(0)
	; wave barrier
	s_waitcnt lgkmcnt(0)
	s_and_saveexec_b64 s[4:5], s[0:1]
	s_cbranch_execz .LBB13_33
; %bb.18:
	s_andn2_b64 vcc, exec, s[28:29]
	s_cbranch_vccnz .LBB13_20
; %bb.19:
	v_cmp_eq_u32_e32 vcc, 1, v0
	v_cndmask_b32_e32 v60, v16, v17, vcc
	v_cmp_eq_u32_e32 vcc, 2, v0
	v_cndmask_b32_e32 v60, v60, v18, vcc
	;; [unrolled: 2-line block ×9, first 2 shown]
	v_cmp_eq_u32_e32 vcc, 10, v0
	ds_read_b32 v62, v61
	v_cndmask_b32_e32 v60, v60, v26, vcc
	v_cmp_eq_u32_e32 vcc, 11, v0
	v_cndmask_b32_e32 v60, v60, v27, vcc
	v_cmp_eq_u32_e32 vcc, 12, v0
	v_cndmask_b32_e32 v60, v60, v28, vcc
	v_cmp_eq_u32_e32 vcc, 13, v0
	v_cndmask_b32_e32 v60, v60, v29, vcc
	s_waitcnt lgkmcnt(0)
	v_mul_f32_e32 v63, v60, v62
	s_cbranch_execz .LBB13_21
	s_branch .LBB13_22
.LBB13_20:
                                        ; implicit-def: $vgpr63
.LBB13_21:
	ds_read_b32 v63, v61
.LBB13_22:
	s_and_saveexec_b64 s[6:7], s[2:3]
	s_cbranch_execz .LBB13_32
; %bb.23:
	v_add_u32_e32 v60, -12, v0
	v_add_u32_e32 v64, -11, v0
	v_cmp_lt_u32_e32 vcc, 6, v60
	v_mov_b32_e32 v60, 11
	s_and_saveexec_b64 s[2:3], vcc
	s_cbranch_execz .LBB13_27
; %bb.24:
	v_and_b32_e32 v60, -8, v64
	v_sub_u32_e32 v62, 0, v60
	s_mov_b64 s[8:9], 18
	s_movk_i32 s12, 0x6c
	s_mov_b64 s[10:11], 0
.LBB13_25:                              ; =>This Inner Loop Header: Depth=1
	s_add_i32 s13, s8, -7
	v_mov_b32_e32 v65, s12
	s_set_gpr_idx_on s13, gpr_idx(SRC0)
	v_mov_b32_e32 v60, v16
	s_set_gpr_idx_off
	ds_read2_b32 v[66:67], v65 offset1:1
	s_add_i32 s13, s8, -6
	s_waitcnt lgkmcnt(0)
	v_fmac_f32_e32 v63, v60, v66
	s_set_gpr_idx_on s13, gpr_idx(SRC0)
	v_mov_b32_e32 v60, v16
	s_set_gpr_idx_off
	s_add_i32 s13, s8, -5
	v_fmac_f32_e32 v63, v60, v67
	s_set_gpr_idx_on s13, gpr_idx(SRC0)
	v_mov_b32_e32 v60, v16
	s_set_gpr_idx_off
	ds_read2_b32 v[66:67], v65 offset0:2 offset1:3
	s_add_i32 s13, s8, -4
	s_waitcnt lgkmcnt(0)
	v_fmac_f32_e32 v63, v60, v66
	s_set_gpr_idx_on s13, gpr_idx(SRC0)
	v_mov_b32_e32 v60, v16
	s_set_gpr_idx_off
	s_add_i32 s13, s8, -3
	v_fmac_f32_e32 v63, v60, v67
	s_set_gpr_idx_on s13, gpr_idx(SRC0)
	v_mov_b32_e32 v60, v16
	s_set_gpr_idx_off
	ds_read2_b32 v[66:67], v65 offset0:4 offset1:5
	;; [unrolled: 12-line block ×3, first 2 shown]
	s_waitcnt lgkmcnt(0)
	v_fmac_f32_e32 v63, v60, v66
	s_set_gpr_idx_on s8, gpr_idx(SRC0)
	v_mov_b32_e32 v60, v16
	s_set_gpr_idx_off
	s_add_u32 s8, s8, 8
	v_fmac_f32_e32 v63, v60, v67
	v_add_u32_e32 v60, s8, v62
	s_addc_u32 s9, s9, 0
	s_add_i32 s12, s12, 32
	v_cmp_eq_u32_e32 vcc, 18, v60
	s_add_i32 s13, s8, -7
	s_or_b64 s[10:11], vcc, s[10:11]
	v_mov_b32_e32 v60, s13
	s_andn2_b64 exec, exec, s[10:11]
	s_cbranch_execnz .LBB13_25
; %bb.26:
	s_or_b64 exec, exec, s[10:11]
.LBB13_27:
	s_or_b64 exec, exec, s[2:3]
	v_and_b32_e32 v30, 7, v64
	v_cmp_ne_u32_e32 vcc, 0, v30
	s_and_saveexec_b64 s[8:9], vcc
	s_cbranch_execz .LBB13_31
; %bb.28:
	v_lshl_add_u32 v62, v60, 2, 64
	v_mov_b32_e32 v31, 0
	s_mov_b64 s[10:11], 0
.LBB13_29:                              ; =>This Inner Loop Header: Depth=1
	v_cmp_eq_u32_e32 vcc, 1, v60
	v_cndmask_b32_e32 v64, v16, v17, vcc
	v_add_u32_e32 v30, -1, v30
	v_cmp_eq_u32_e32 vcc, 2, v60
	v_cndmask_b32_e32 v64, v64, v18, vcc
	v_cmp_eq_u32_e32 vcc, 0, v30
	v_cmp_eq_u32_e64 s[2:3], 3, v60
	v_cndmask_b32_e64 v64, v64, v19, s[2:3]
	s_or_b64 s[10:11], vcc, s[10:11]
	v_cmp_eq_u32_e32 vcc, 4, v60
	v_cndmask_b32_e32 v64, v64, v20, vcc
	v_cmp_eq_u32_e32 vcc, 5, v60
	v_cndmask_b32_e32 v64, v64, v21, vcc
	;; [unrolled: 2-line block ×5, first 2 shown]
	v_cmp_eq_u32_e32 vcc, 9, v60
	ds_read_b32 v65, v62
	v_cndmask_b32_e32 v64, v64, v25, vcc
	v_cmp_eq_u32_e32 vcc, 10, v60
	v_cndmask_b32_e32 v64, v64, v26, vcc
	v_cmp_eq_u32_e32 vcc, 11, v60
	;; [unrolled: 2-line block ×4, first 2 shown]
	v_add_co_u32_e64 v60, s[2:3], 1, v60
	v_cndmask_b32_e32 v64, v64, v29, vcc
	v_add_u32_e32 v62, 4, v62
	v_addc_co_u32_e64 v31, s[2:3], 0, v31, s[2:3]
	s_waitcnt lgkmcnt(0)
	v_fmac_f32_e32 v63, v64, v65
	s_andn2_b64 exec, exec, s[10:11]
	s_cbranch_execnz .LBB13_29
; %bb.30:
	s_or_b64 exec, exec, s[10:11]
.LBB13_31:
	s_or_b64 exec, exec, s[8:9]
.LBB13_32:
	s_or_b64 exec, exec, s[6:7]
	v_mov_b32_e32 v26, 0
	ds_read_b32 v26, v26 offset:40
	s_waitcnt lgkmcnt(0)
	v_mul_f32_e32 v26, v63, v26
.LBB13_33:
	s_or_b64 exec, exec, s[4:5]
	v_cmp_lt_u32_e64 s[2:3], 9, v0
	ds_write_b32 v61, v25
	s_waitcnt lgkmcnt(0)
	; wave barrier
	s_waitcnt lgkmcnt(0)
	s_and_saveexec_b64 s[4:5], s[2:3]
	s_cbranch_execz .LBB13_49
; %bb.34:
	s_andn2_b64 vcc, exec, s[28:29]
	s_cbranch_vccnz .LBB13_36
; %bb.35:
	v_cmp_eq_u32_e32 vcc, 1, v0
	v_cndmask_b32_e32 v60, v16, v17, vcc
	v_cmp_eq_u32_e32 vcc, 2, v0
	v_cndmask_b32_e32 v60, v60, v18, vcc
	;; [unrolled: 2-line block ×9, first 2 shown]
	v_cmp_eq_u32_e32 vcc, 10, v0
	ds_read_b32 v62, v61
	v_cndmask_b32_e32 v60, v60, v26, vcc
	v_cmp_eq_u32_e32 vcc, 11, v0
	v_cndmask_b32_e32 v60, v60, v27, vcc
	v_cmp_eq_u32_e32 vcc, 12, v0
	;; [unrolled: 2-line block ×3, first 2 shown]
	v_cndmask_b32_e32 v60, v60, v29, vcc
	s_waitcnt lgkmcnt(0)
	v_mul_f32_e32 v63, v60, v62
	s_cbranch_execz .LBB13_37
	s_branch .LBB13_38
.LBB13_36:
                                        ; implicit-def: $vgpr63
.LBB13_37:
	ds_read_b32 v63, v61
.LBB13_38:
	s_and_saveexec_b64 s[6:7], s[0:1]
	s_cbranch_execz .LBB13_48
; %bb.39:
	v_add_u32_e32 v60, -11, v0
	v_add_u32_e32 v64, -10, v0
	v_cmp_lt_u32_e32 vcc, 6, v60
	v_mov_b32_e32 v60, 10
	s_and_saveexec_b64 s[0:1], vcc
	s_cbranch_execz .LBB13_43
; %bb.40:
	v_and_b32_e32 v60, -8, v64
	v_sub_u32_e32 v62, 0, v60
	s_mov_b64 s[8:9], 17
	s_movk_i32 s12, 0x68
	s_mov_b64 s[10:11], 0
.LBB13_41:                              ; =>This Inner Loop Header: Depth=1
	s_add_i32 s13, s8, -7
	v_mov_b32_e32 v65, s12
	s_set_gpr_idx_on s13, gpr_idx(SRC0)
	v_mov_b32_e32 v60, v16
	s_set_gpr_idx_off
	ds_read2_b64 v[66:69], v65 offset1:1
	s_add_i32 s13, s8, -6
	s_waitcnt lgkmcnt(0)
	v_fmac_f32_e32 v63, v60, v66
	s_set_gpr_idx_on s13, gpr_idx(SRC0)
	v_mov_b32_e32 v60, v16
	s_set_gpr_idx_off
	s_add_i32 s13, s8, -5
	v_fmac_f32_e32 v63, v60, v67
	s_set_gpr_idx_on s13, gpr_idx(SRC0)
	v_mov_b32_e32 v60, v16
	s_set_gpr_idx_off
	s_add_i32 s13, s8, -4
	;; [unrolled: 5-line block ×3, first 2 shown]
	v_fmac_f32_e32 v63, v60, v69
	s_set_gpr_idx_on s13, gpr_idx(SRC0)
	v_mov_b32_e32 v60, v16
	s_set_gpr_idx_off
	ds_read2_b64 v[66:69], v65 offset0:2 offset1:3
	s_add_i32 s13, s8, -2
	s_waitcnt lgkmcnt(0)
	v_fmac_f32_e32 v63, v60, v66
	s_set_gpr_idx_on s13, gpr_idx(SRC0)
	v_mov_b32_e32 v60, v16
	s_set_gpr_idx_off
	s_add_i32 s13, s8, -1
	v_fmac_f32_e32 v63, v60, v67
	s_set_gpr_idx_on s13, gpr_idx(SRC0)
	v_mov_b32_e32 v60, v16
	s_set_gpr_idx_off
	v_fmac_f32_e32 v63, v60, v68
	s_set_gpr_idx_on s8, gpr_idx(SRC0)
	v_mov_b32_e32 v60, v16
	s_set_gpr_idx_off
	s_add_u32 s8, s8, 8
	v_fmac_f32_e32 v63, v60, v69
	v_add_u32_e32 v60, s8, v62
	s_addc_u32 s9, s9, 0
	s_add_i32 s12, s12, 32
	v_cmp_eq_u32_e32 vcc, 17, v60
	s_add_i32 s13, s8, -7
	s_or_b64 s[10:11], vcc, s[10:11]
	v_mov_b32_e32 v60, s13
	s_andn2_b64 exec, exec, s[10:11]
	s_cbranch_execnz .LBB13_41
; %bb.42:
	s_or_b64 exec, exec, s[10:11]
.LBB13_43:
	s_or_b64 exec, exec, s[0:1]
	v_and_b32_e32 v30, 7, v64
	v_cmp_ne_u32_e32 vcc, 0, v30
	s_and_saveexec_b64 s[8:9], vcc
	s_cbranch_execz .LBB13_47
; %bb.44:
	v_lshl_add_u32 v62, v60, 2, 64
	v_mov_b32_e32 v31, 0
	s_mov_b64 s[10:11], 0
.LBB13_45:                              ; =>This Inner Loop Header: Depth=1
	v_cmp_eq_u32_e32 vcc, 1, v60
	v_cndmask_b32_e32 v64, v16, v17, vcc
	v_add_u32_e32 v30, -1, v30
	v_cmp_eq_u32_e32 vcc, 2, v60
	v_cndmask_b32_e32 v64, v64, v18, vcc
	v_cmp_eq_u32_e32 vcc, 0, v30
	v_cmp_eq_u32_e64 s[0:1], 3, v60
	v_cndmask_b32_e64 v64, v64, v19, s[0:1]
	s_or_b64 s[10:11], vcc, s[10:11]
	v_cmp_eq_u32_e32 vcc, 4, v60
	v_cndmask_b32_e32 v64, v64, v20, vcc
	v_cmp_eq_u32_e32 vcc, 5, v60
	v_cndmask_b32_e32 v64, v64, v21, vcc
	v_cmp_eq_u32_e32 vcc, 6, v60
	v_cndmask_b32_e32 v64, v64, v22, vcc
	v_cmp_eq_u32_e32 vcc, 7, v60
	v_cndmask_b32_e32 v64, v64, v23, vcc
	v_cmp_eq_u32_e32 vcc, 8, v60
	v_cndmask_b32_e32 v64, v64, v24, vcc
	v_cmp_eq_u32_e32 vcc, 9, v60
	ds_read_b32 v65, v62
	v_cndmask_b32_e32 v64, v64, v25, vcc
	v_cmp_eq_u32_e32 vcc, 10, v60
	v_cndmask_b32_e32 v64, v64, v26, vcc
	v_cmp_eq_u32_e32 vcc, 11, v60
	v_cndmask_b32_e32 v64, v64, v27, vcc
	v_cmp_eq_u32_e32 vcc, 12, v60
	v_cndmask_b32_e32 v64, v64, v28, vcc
	v_cmp_eq_u32_e32 vcc, 13, v60
	v_add_co_u32_e64 v60, s[0:1], 1, v60
	v_cndmask_b32_e32 v64, v64, v29, vcc
	v_add_u32_e32 v62, 4, v62
	v_addc_co_u32_e64 v31, s[0:1], 0, v31, s[0:1]
	s_waitcnt lgkmcnt(0)
	v_fmac_f32_e32 v63, v64, v65
	s_andn2_b64 exec, exec, s[10:11]
	s_cbranch_execnz .LBB13_45
; %bb.46:
	s_or_b64 exec, exec, s[10:11]
.LBB13_47:
	s_or_b64 exec, exec, s[8:9]
.LBB13_48:
	s_or_b64 exec, exec, s[6:7]
	v_mov_b32_e32 v25, 0
	ds_read_b32 v25, v25 offset:36
	s_waitcnt lgkmcnt(0)
	v_mul_f32_e32 v25, v63, v25
.LBB13_49:
	s_or_b64 exec, exec, s[4:5]
	v_cmp_lt_u32_e64 s[0:1], 8, v0
	ds_write_b32 v61, v24
	s_waitcnt lgkmcnt(0)
	; wave barrier
	s_waitcnt lgkmcnt(0)
	s_and_saveexec_b64 s[4:5], s[0:1]
	s_cbranch_execz .LBB13_65
; %bb.50:
	s_andn2_b64 vcc, exec, s[28:29]
	s_cbranch_vccnz .LBB13_52
; %bb.51:
	v_cmp_eq_u32_e32 vcc, 1, v0
	v_cndmask_b32_e32 v60, v16, v17, vcc
	v_cmp_eq_u32_e32 vcc, 2, v0
	v_cndmask_b32_e32 v60, v60, v18, vcc
	;; [unrolled: 2-line block ×9, first 2 shown]
	v_cmp_eq_u32_e32 vcc, 10, v0
	ds_read_b32 v62, v61
	v_cndmask_b32_e32 v60, v60, v26, vcc
	v_cmp_eq_u32_e32 vcc, 11, v0
	v_cndmask_b32_e32 v60, v60, v27, vcc
	v_cmp_eq_u32_e32 vcc, 12, v0
	;; [unrolled: 2-line block ×3, first 2 shown]
	v_cndmask_b32_e32 v60, v60, v29, vcc
	s_waitcnt lgkmcnt(0)
	v_mul_f32_e32 v63, v60, v62
	s_cbranch_execz .LBB13_53
	s_branch .LBB13_54
.LBB13_52:
                                        ; implicit-def: $vgpr63
.LBB13_53:
	ds_read_b32 v63, v61
.LBB13_54:
	s_and_saveexec_b64 s[6:7], s[2:3]
	s_cbranch_execz .LBB13_64
; %bb.55:
	v_add_u32_e32 v60, -10, v0
	v_add_u32_e32 v64, -9, v0
	v_cmp_lt_u32_e32 vcc, 6, v60
	v_mov_b32_e32 v60, 9
	s_and_saveexec_b64 s[2:3], vcc
	s_cbranch_execz .LBB13_59
; %bb.56:
	v_and_b32_e32 v60, -8, v64
	v_sub_u32_e32 v62, 0, v60
	s_mov_b64 s[8:9], 16
	s_movk_i32 s12, 0x64
	s_mov_b64 s[10:11], 0
.LBB13_57:                              ; =>This Inner Loop Header: Depth=1
	s_add_i32 s13, s8, -7
	v_mov_b32_e32 v65, s12
	s_set_gpr_idx_on s13, gpr_idx(SRC0)
	v_mov_b32_e32 v60, v16
	s_set_gpr_idx_off
	ds_read2_b32 v[66:67], v65 offset1:1
	s_add_i32 s13, s8, -6
	s_waitcnt lgkmcnt(0)
	v_fmac_f32_e32 v63, v60, v66
	s_set_gpr_idx_on s13, gpr_idx(SRC0)
	v_mov_b32_e32 v60, v16
	s_set_gpr_idx_off
	s_add_i32 s13, s8, -5
	v_fmac_f32_e32 v63, v60, v67
	s_set_gpr_idx_on s13, gpr_idx(SRC0)
	v_mov_b32_e32 v60, v16
	s_set_gpr_idx_off
	ds_read2_b32 v[66:67], v65 offset0:2 offset1:3
	s_add_i32 s13, s8, -4
	s_waitcnt lgkmcnt(0)
	v_fmac_f32_e32 v63, v60, v66
	s_set_gpr_idx_on s13, gpr_idx(SRC0)
	v_mov_b32_e32 v60, v16
	s_set_gpr_idx_off
	s_add_i32 s13, s8, -3
	v_fmac_f32_e32 v63, v60, v67
	s_set_gpr_idx_on s13, gpr_idx(SRC0)
	v_mov_b32_e32 v60, v16
	s_set_gpr_idx_off
	ds_read2_b32 v[66:67], v65 offset0:4 offset1:5
	;; [unrolled: 12-line block ×3, first 2 shown]
	s_waitcnt lgkmcnt(0)
	v_fmac_f32_e32 v63, v60, v66
	s_set_gpr_idx_on s8, gpr_idx(SRC0)
	v_mov_b32_e32 v60, v16
	s_set_gpr_idx_off
	s_add_u32 s8, s8, 8
	v_fmac_f32_e32 v63, v60, v67
	v_add_u32_e32 v60, s8, v62
	s_addc_u32 s9, s9, 0
	s_add_i32 s12, s12, 32
	v_cmp_eq_u32_e32 vcc, 16, v60
	s_add_i32 s13, s8, -7
	s_or_b64 s[10:11], vcc, s[10:11]
	v_mov_b32_e32 v60, s13
	s_andn2_b64 exec, exec, s[10:11]
	s_cbranch_execnz .LBB13_57
; %bb.58:
	s_or_b64 exec, exec, s[10:11]
.LBB13_59:
	s_or_b64 exec, exec, s[2:3]
	v_and_b32_e32 v30, 7, v64
	v_cmp_ne_u32_e32 vcc, 0, v30
	s_and_saveexec_b64 s[8:9], vcc
	s_cbranch_execz .LBB13_63
; %bb.60:
	v_lshl_add_u32 v62, v60, 2, 64
	v_mov_b32_e32 v31, 0
	s_mov_b64 s[10:11], 0
.LBB13_61:                              ; =>This Inner Loop Header: Depth=1
	v_cmp_eq_u32_e32 vcc, 1, v60
	v_cndmask_b32_e32 v64, v16, v17, vcc
	v_add_u32_e32 v30, -1, v30
	v_cmp_eq_u32_e32 vcc, 2, v60
	v_cndmask_b32_e32 v64, v64, v18, vcc
	v_cmp_eq_u32_e32 vcc, 0, v30
	v_cmp_eq_u32_e64 s[2:3], 3, v60
	v_cndmask_b32_e64 v64, v64, v19, s[2:3]
	s_or_b64 s[10:11], vcc, s[10:11]
	v_cmp_eq_u32_e32 vcc, 4, v60
	v_cndmask_b32_e32 v64, v64, v20, vcc
	v_cmp_eq_u32_e32 vcc, 5, v60
	v_cndmask_b32_e32 v64, v64, v21, vcc
	;; [unrolled: 2-line block ×5, first 2 shown]
	v_cmp_eq_u32_e32 vcc, 9, v60
	ds_read_b32 v65, v62
	v_cndmask_b32_e32 v64, v64, v25, vcc
	v_cmp_eq_u32_e32 vcc, 10, v60
	v_cndmask_b32_e32 v64, v64, v26, vcc
	v_cmp_eq_u32_e32 vcc, 11, v60
	;; [unrolled: 2-line block ×4, first 2 shown]
	v_add_co_u32_e64 v60, s[2:3], 1, v60
	v_cndmask_b32_e32 v64, v64, v29, vcc
	v_add_u32_e32 v62, 4, v62
	v_addc_co_u32_e64 v31, s[2:3], 0, v31, s[2:3]
	s_waitcnt lgkmcnt(0)
	v_fmac_f32_e32 v63, v64, v65
	s_andn2_b64 exec, exec, s[10:11]
	s_cbranch_execnz .LBB13_61
; %bb.62:
	s_or_b64 exec, exec, s[10:11]
.LBB13_63:
	s_or_b64 exec, exec, s[8:9]
.LBB13_64:
	s_or_b64 exec, exec, s[6:7]
	v_mov_b32_e32 v24, 0
	ds_read_b32 v24, v24 offset:32
	s_waitcnt lgkmcnt(0)
	v_mul_f32_e32 v24, v63, v24
.LBB13_65:
	s_or_b64 exec, exec, s[4:5]
	v_cmp_lt_u32_e64 s[2:3], 7, v0
	ds_write_b32 v61, v23
	s_waitcnt lgkmcnt(0)
	; wave barrier
	s_waitcnt lgkmcnt(0)
	s_and_saveexec_b64 s[4:5], s[2:3]
	s_cbranch_execz .LBB13_81
; %bb.66:
	s_andn2_b64 vcc, exec, s[28:29]
	s_cbranch_vccnz .LBB13_68
; %bb.67:
	v_cmp_eq_u32_e32 vcc, 1, v0
	v_cndmask_b32_e32 v60, v16, v17, vcc
	v_cmp_eq_u32_e32 vcc, 2, v0
	v_cndmask_b32_e32 v60, v60, v18, vcc
	;; [unrolled: 2-line block ×9, first 2 shown]
	v_cmp_eq_u32_e32 vcc, 10, v0
	ds_read_b32 v62, v61
	v_cndmask_b32_e32 v60, v60, v26, vcc
	v_cmp_eq_u32_e32 vcc, 11, v0
	v_cndmask_b32_e32 v60, v60, v27, vcc
	v_cmp_eq_u32_e32 vcc, 12, v0
	;; [unrolled: 2-line block ×3, first 2 shown]
	v_cndmask_b32_e32 v60, v60, v29, vcc
	s_waitcnt lgkmcnt(0)
	v_mul_f32_e32 v63, v60, v62
	s_cbranch_execz .LBB13_69
	s_branch .LBB13_70
.LBB13_68:
                                        ; implicit-def: $vgpr63
.LBB13_69:
	ds_read_b32 v63, v61
.LBB13_70:
	s_and_saveexec_b64 s[6:7], s[0:1]
	s_cbranch_execz .LBB13_80
; %bb.71:
	v_add_u32_e32 v60, -9, v0
	v_cmp_lt_u32_e32 vcc, 6, v60
	v_mov_b32_e32 v60, 8
	s_and_saveexec_b64 s[0:1], vcc
	s_cbranch_execz .LBB13_75
; %bb.72:
	v_and_b32_e32 v60, 8, v0
	v_sub_u32_e32 v62, 0, v60
	s_mov_b64 s[8:9], 15
	s_movk_i32 s12, 0x60
	s_mov_b64 s[10:11], 0
.LBB13_73:                              ; =>This Inner Loop Header: Depth=1
	s_add_i32 s13, s8, -7
	v_mov_b32_e32 v60, s12
	s_add_i32 s14, s8, -6
	s_set_gpr_idx_on s13, gpr_idx(SRC0)
	v_mov_b32_e32 v72, v16
	s_set_gpr_idx_off
	s_add_i32 s15, s8, -5
	ds_read_b128 v[64:67], v60
	ds_read_b128 v[68:71], v60 offset:16
	s_set_gpr_idx_on s14, gpr_idx(SRC0)
	v_mov_b32_e32 v60, v16
	s_set_gpr_idx_off
	s_add_i32 s16, s8, -4
	s_set_gpr_idx_on s15, gpr_idx(SRC0)
	v_mov_b32_e32 v73, v16
	s_set_gpr_idx_off
	s_add_i32 s17, s8, -3
	;; [unrolled: 4-line block ×4, first 2 shown]
	s_waitcnt lgkmcnt(1)
	v_fmac_f32_e32 v63, v72, v64
	s_set_gpr_idx_on s18, gpr_idx(SRC0)
	v_mov_b32_e32 v64, v16
	s_set_gpr_idx_off
	v_fmac_f32_e32 v63, v60, v65
	s_set_gpr_idx_on s19, gpr_idx(SRC0)
	v_mov_b32_e32 v65, v16
	s_set_gpr_idx_off
	;; [unrolled: 4-line block ×3, first 2 shown]
	v_fmac_f32_e32 v63, v74, v67
	s_add_u32 s8, s8, 8
	s_waitcnt lgkmcnt(0)
	v_fmac_f32_e32 v63, v75, v68
	v_add_u32_e32 v60, s8, v62
	v_fmac_f32_e32 v63, v64, v69
	s_addc_u32 s9, s9, 0
	s_add_i32 s12, s12, 32
	s_add_i32 s13, s8, -7
	v_cmp_eq_u32_e32 vcc, 7, v60
	v_fmac_f32_e32 v63, v65, v70
	v_mov_b32_e32 v60, s13
	s_or_b64 s[10:11], vcc, s[10:11]
	v_fmac_f32_e32 v63, v66, v71
	s_andn2_b64 exec, exec, s[10:11]
	s_cbranch_execnz .LBB13_73
; %bb.74:
	s_or_b64 exec, exec, s[10:11]
.LBB13_75:
	s_or_b64 exec, exec, s[0:1]
	v_and_b32_e32 v30, 7, v0
	v_cmp_ne_u32_e32 vcc, 0, v30
	s_and_saveexec_b64 s[8:9], vcc
	s_cbranch_execz .LBB13_79
; %bb.76:
	v_lshl_add_u32 v62, v60, 2, 64
	v_mov_b32_e32 v31, 0
	s_mov_b64 s[10:11], 0
.LBB13_77:                              ; =>This Inner Loop Header: Depth=1
	v_cmp_eq_u32_e32 vcc, 1, v60
	v_cndmask_b32_e32 v64, v16, v17, vcc
	v_add_u32_e32 v30, -1, v30
	v_cmp_eq_u32_e32 vcc, 2, v60
	v_cndmask_b32_e32 v64, v64, v18, vcc
	v_cmp_eq_u32_e32 vcc, 0, v30
	v_cmp_eq_u32_e64 s[0:1], 3, v60
	v_cndmask_b32_e64 v64, v64, v19, s[0:1]
	s_or_b64 s[10:11], vcc, s[10:11]
	v_cmp_eq_u32_e32 vcc, 4, v60
	v_cndmask_b32_e32 v64, v64, v20, vcc
	v_cmp_eq_u32_e32 vcc, 5, v60
	v_cndmask_b32_e32 v64, v64, v21, vcc
	;; [unrolled: 2-line block ×5, first 2 shown]
	v_cmp_eq_u32_e32 vcc, 9, v60
	ds_read_b32 v65, v62
	v_cndmask_b32_e32 v64, v64, v25, vcc
	v_cmp_eq_u32_e32 vcc, 10, v60
	v_cndmask_b32_e32 v64, v64, v26, vcc
	v_cmp_eq_u32_e32 vcc, 11, v60
	;; [unrolled: 2-line block ×4, first 2 shown]
	v_add_co_u32_e64 v60, s[0:1], 1, v60
	v_cndmask_b32_e32 v64, v64, v29, vcc
	v_add_u32_e32 v62, 4, v62
	v_addc_co_u32_e64 v31, s[0:1], 0, v31, s[0:1]
	s_waitcnt lgkmcnt(0)
	v_fmac_f32_e32 v63, v64, v65
	s_andn2_b64 exec, exec, s[10:11]
	s_cbranch_execnz .LBB13_77
; %bb.78:
	s_or_b64 exec, exec, s[10:11]
.LBB13_79:
	s_or_b64 exec, exec, s[8:9]
.LBB13_80:
	s_or_b64 exec, exec, s[6:7]
	v_mov_b32_e32 v23, 0
	ds_read_b32 v23, v23 offset:28
	s_waitcnt lgkmcnt(0)
	v_mul_f32_e32 v23, v63, v23
.LBB13_81:
	s_or_b64 exec, exec, s[4:5]
	v_cmp_lt_u32_e64 s[0:1], 6, v0
	ds_write_b32 v61, v22
	s_waitcnt lgkmcnt(0)
	; wave barrier
	s_waitcnt lgkmcnt(0)
	s_and_saveexec_b64 s[4:5], s[0:1]
	s_cbranch_execz .LBB13_97
; %bb.82:
	s_andn2_b64 vcc, exec, s[28:29]
	s_cbranch_vccnz .LBB13_84
; %bb.83:
	v_cmp_eq_u32_e32 vcc, 1, v0
	v_cndmask_b32_e32 v60, v16, v17, vcc
	v_cmp_eq_u32_e32 vcc, 2, v0
	v_cndmask_b32_e32 v60, v60, v18, vcc
	;; [unrolled: 2-line block ×9, first 2 shown]
	v_cmp_eq_u32_e32 vcc, 10, v0
	ds_read_b32 v62, v61
	v_cndmask_b32_e32 v60, v60, v26, vcc
	v_cmp_eq_u32_e32 vcc, 11, v0
	v_cndmask_b32_e32 v60, v60, v27, vcc
	v_cmp_eq_u32_e32 vcc, 12, v0
	;; [unrolled: 2-line block ×3, first 2 shown]
	v_cndmask_b32_e32 v60, v60, v29, vcc
	s_waitcnt lgkmcnt(0)
	v_mul_f32_e32 v63, v60, v62
	s_cbranch_execz .LBB13_85
	s_branch .LBB13_86
.LBB13_84:
                                        ; implicit-def: $vgpr63
.LBB13_85:
	ds_read_b32 v63, v61
.LBB13_86:
	s_and_saveexec_b64 s[6:7], s[2:3]
	s_cbranch_execz .LBB13_96
; %bb.87:
	v_add_u32_e32 v60, -8, v0
	v_add_u32_e32 v64, -7, v0
	v_cmp_lt_u32_e32 vcc, 6, v60
	v_mov_b32_e32 v60, 7
	s_and_saveexec_b64 s[2:3], vcc
	s_cbranch_execz .LBB13_91
; %bb.88:
	v_and_b32_e32 v60, -8, v64
	v_sub_u32_e32 v62, 0, v60
	s_mov_b64 s[8:9], 14
	s_movk_i32 s12, 0x5c
	s_mov_b64 s[10:11], 0
.LBB13_89:                              ; =>This Inner Loop Header: Depth=1
	s_add_i32 s13, s8, -7
	v_mov_b32_e32 v60, s12
	s_add_i32 s14, s8, -6
	s_set_gpr_idx_on s13, gpr_idx(SRC0)
	v_mov_b32_e32 v65, v16
	s_set_gpr_idx_off
	ds_read2_b32 v[66:67], v60 offset1:1
	s_add_i32 s15, s8, -5
	s_set_gpr_idx_on s14, gpr_idx(SRC0)
	v_mov_b32_e32 v72, v16
	s_set_gpr_idx_off
	s_add_i32 s16, s8, -4
	s_set_gpr_idx_on s15, gpr_idx(SRC0)
	v_mov_b32_e32 v73, v16
	s_set_gpr_idx_off
	ds_read2_b32 v[68:69], v60 offset0:2 offset1:3
	s_add_i32 s17, s8, -3
	s_set_gpr_idx_on s16, gpr_idx(SRC0)
	v_mov_b32_e32 v74, v16
	s_set_gpr_idx_off
	s_add_i32 s18, s8, -2
	s_set_gpr_idx_on s17, gpr_idx(SRC0)
	v_mov_b32_e32 v75, v16
	s_set_gpr_idx_off
	ds_read2_b32 v[70:71], v60 offset0:4 offset1:5
	s_add_i32 s19, s8, -1
	s_waitcnt lgkmcnt(2)
	v_fmac_f32_e32 v63, v65, v66
	s_set_gpr_idx_on s18, gpr_idx(SRC0)
	v_mov_b32_e32 v65, v16
	s_set_gpr_idx_off
	v_fmac_f32_e32 v63, v72, v67
	s_set_gpr_idx_on s19, gpr_idx(SRC0)
	v_mov_b32_e32 v72, v16
	s_set_gpr_idx_off
	ds_read2_b32 v[66:67], v60 offset0:6 offset1:7
	s_waitcnt lgkmcnt(2)
	v_fmac_f32_e32 v63, v73, v68
	s_set_gpr_idx_on s8, gpr_idx(SRC0)
	v_mov_b32_e32 v68, v16
	s_set_gpr_idx_off
	v_fmac_f32_e32 v63, v74, v69
	s_add_u32 s8, s8, 8
	s_waitcnt lgkmcnt(1)
	v_fmac_f32_e32 v63, v75, v70
	v_add_u32_e32 v60, s8, v62
	v_fmac_f32_e32 v63, v65, v71
	s_addc_u32 s9, s9, 0
	s_add_i32 s12, s12, 32
	s_add_i32 s13, s8, -7
	v_cmp_eq_u32_e32 vcc, 14, v60
	s_waitcnt lgkmcnt(0)
	v_fmac_f32_e32 v63, v72, v66
	v_mov_b32_e32 v60, s13
	s_or_b64 s[10:11], vcc, s[10:11]
	v_fmac_f32_e32 v63, v68, v67
	s_andn2_b64 exec, exec, s[10:11]
	s_cbranch_execnz .LBB13_89
; %bb.90:
	s_or_b64 exec, exec, s[10:11]
.LBB13_91:
	s_or_b64 exec, exec, s[2:3]
	v_and_b32_e32 v30, 7, v64
	v_cmp_ne_u32_e32 vcc, 0, v30
	s_and_saveexec_b64 s[8:9], vcc
	s_cbranch_execz .LBB13_95
; %bb.92:
	v_lshl_add_u32 v62, v60, 2, 64
	v_mov_b32_e32 v31, 0
	s_mov_b64 s[10:11], 0
.LBB13_93:                              ; =>This Inner Loop Header: Depth=1
	v_cmp_eq_u32_e32 vcc, 1, v60
	v_cndmask_b32_e32 v64, v16, v17, vcc
	v_add_u32_e32 v30, -1, v30
	v_cmp_eq_u32_e32 vcc, 2, v60
	v_cndmask_b32_e32 v64, v64, v18, vcc
	v_cmp_eq_u32_e32 vcc, 0, v30
	v_cmp_eq_u32_e64 s[2:3], 3, v60
	v_cndmask_b32_e64 v64, v64, v19, s[2:3]
	s_or_b64 s[10:11], vcc, s[10:11]
	v_cmp_eq_u32_e32 vcc, 4, v60
	v_cndmask_b32_e32 v64, v64, v20, vcc
	v_cmp_eq_u32_e32 vcc, 5, v60
	v_cndmask_b32_e32 v64, v64, v21, vcc
	;; [unrolled: 2-line block ×5, first 2 shown]
	v_cmp_eq_u32_e32 vcc, 9, v60
	ds_read_b32 v65, v62
	v_cndmask_b32_e32 v64, v64, v25, vcc
	v_cmp_eq_u32_e32 vcc, 10, v60
	v_cndmask_b32_e32 v64, v64, v26, vcc
	v_cmp_eq_u32_e32 vcc, 11, v60
	;; [unrolled: 2-line block ×4, first 2 shown]
	v_add_co_u32_e64 v60, s[2:3], 1, v60
	v_cndmask_b32_e32 v64, v64, v29, vcc
	v_add_u32_e32 v62, 4, v62
	v_addc_co_u32_e64 v31, s[2:3], 0, v31, s[2:3]
	s_waitcnt lgkmcnt(0)
	v_fmac_f32_e32 v63, v64, v65
	s_andn2_b64 exec, exec, s[10:11]
	s_cbranch_execnz .LBB13_93
; %bb.94:
	s_or_b64 exec, exec, s[10:11]
.LBB13_95:
	s_or_b64 exec, exec, s[8:9]
.LBB13_96:
	s_or_b64 exec, exec, s[6:7]
	v_mov_b32_e32 v22, 0
	ds_read_b32 v22, v22 offset:24
	s_waitcnt lgkmcnt(0)
	v_mul_f32_e32 v22, v63, v22
.LBB13_97:
	s_or_b64 exec, exec, s[4:5]
	v_cmp_lt_u32_e64 s[2:3], 5, v0
	ds_write_b32 v61, v21
	s_waitcnt lgkmcnt(0)
	; wave barrier
	s_waitcnt lgkmcnt(0)
	s_and_saveexec_b64 s[4:5], s[2:3]
	s_cbranch_execz .LBB13_113
; %bb.98:
	s_andn2_b64 vcc, exec, s[28:29]
	s_cbranch_vccnz .LBB13_100
; %bb.99:
	v_cmp_eq_u32_e32 vcc, 1, v0
	v_cndmask_b32_e32 v60, v16, v17, vcc
	v_cmp_eq_u32_e32 vcc, 2, v0
	v_cndmask_b32_e32 v60, v60, v18, vcc
	;; [unrolled: 2-line block ×9, first 2 shown]
	v_cmp_eq_u32_e32 vcc, 10, v0
	ds_read_b32 v62, v61
	v_cndmask_b32_e32 v60, v60, v26, vcc
	v_cmp_eq_u32_e32 vcc, 11, v0
	v_cndmask_b32_e32 v60, v60, v27, vcc
	v_cmp_eq_u32_e32 vcc, 12, v0
	;; [unrolled: 2-line block ×3, first 2 shown]
	v_cndmask_b32_e32 v60, v60, v29, vcc
	s_waitcnt lgkmcnt(0)
	v_mul_f32_e32 v63, v60, v62
	s_cbranch_execz .LBB13_101
	s_branch .LBB13_102
.LBB13_100:
                                        ; implicit-def: $vgpr63
.LBB13_101:
	ds_read_b32 v63, v61
.LBB13_102:
	s_and_saveexec_b64 s[6:7], s[0:1]
	s_cbranch_execz .LBB13_112
; %bb.103:
	v_add_u32_e32 v60, -7, v0
	v_add_u32_e32 v64, -6, v0
	v_cmp_lt_u32_e32 vcc, 6, v60
	v_mov_b32_e32 v60, 6
	s_and_saveexec_b64 s[0:1], vcc
	s_cbranch_execz .LBB13_107
; %bb.104:
	v_and_b32_e32 v60, -8, v64
	v_sub_u32_e32 v62, 0, v60
	s_mov_b64 s[8:9], 13
	s_movk_i32 s12, 0x58
	s_mov_b64 s[10:11], 0
.LBB13_105:                             ; =>This Inner Loop Header: Depth=1
	s_add_i32 s13, s8, -7
	v_mov_b32_e32 v60, s12
	s_add_i32 s14, s8, -6
	s_set_gpr_idx_on s13, gpr_idx(SRC0)
	v_mov_b32_e32 v65, v16
	s_set_gpr_idx_off
	ds_read2_b64 v[66:69], v60 offset1:1
	s_add_i32 s15, s8, -5
	s_set_gpr_idx_on s14, gpr_idx(SRC0)
	v_mov_b32_e32 v74, v16
	s_set_gpr_idx_off
	s_add_i32 s16, s8, -4
	s_set_gpr_idx_on s15, gpr_idx(SRC0)
	v_mov_b32_e32 v75, v16
	s_set_gpr_idx_off
	;; [unrolled: 4-line block ×4, first 2 shown]
	ds_read2_b64 v[70:73], v60 offset0:2 offset1:3
	s_add_i32 s19, s8, -1
	s_waitcnt lgkmcnt(1)
	v_fmac_f32_e32 v63, v65, v66
	s_set_gpr_idx_on s18, gpr_idx(SRC0)
	v_mov_b32_e32 v65, v16
	s_set_gpr_idx_off
	v_fmac_f32_e32 v63, v74, v67
	s_set_gpr_idx_on s19, gpr_idx(SRC0)
	v_mov_b32_e32 v66, v16
	s_set_gpr_idx_off
	v_fmac_f32_e32 v63, v75, v68
	s_set_gpr_idx_on s8, gpr_idx(SRC0)
	v_mov_b32_e32 v67, v16
	s_set_gpr_idx_off
	v_fmac_f32_e32 v63, v76, v69
	s_add_u32 s8, s8, 8
	s_waitcnt lgkmcnt(0)
	v_fmac_f32_e32 v63, v77, v70
	v_add_u32_e32 v60, s8, v62
	v_fmac_f32_e32 v63, v65, v71
	s_addc_u32 s9, s9, 0
	s_add_i32 s12, s12, 32
	s_add_i32 s13, s8, -7
	v_cmp_eq_u32_e32 vcc, 13, v60
	v_fmac_f32_e32 v63, v66, v72
	v_mov_b32_e32 v60, s13
	s_or_b64 s[10:11], vcc, s[10:11]
	v_fmac_f32_e32 v63, v67, v73
	s_andn2_b64 exec, exec, s[10:11]
	s_cbranch_execnz .LBB13_105
; %bb.106:
	s_or_b64 exec, exec, s[10:11]
.LBB13_107:
	s_or_b64 exec, exec, s[0:1]
	v_and_b32_e32 v30, 7, v64
	v_cmp_ne_u32_e32 vcc, 0, v30
	s_and_saveexec_b64 s[8:9], vcc
	s_cbranch_execz .LBB13_111
; %bb.108:
	v_lshl_add_u32 v62, v60, 2, 64
	v_mov_b32_e32 v31, 0
	s_mov_b64 s[10:11], 0
.LBB13_109:                             ; =>This Inner Loop Header: Depth=1
	v_cmp_eq_u32_e32 vcc, 1, v60
	v_cndmask_b32_e32 v64, v16, v17, vcc
	v_add_u32_e32 v30, -1, v30
	v_cmp_eq_u32_e32 vcc, 2, v60
	v_cndmask_b32_e32 v64, v64, v18, vcc
	v_cmp_eq_u32_e32 vcc, 0, v30
	v_cmp_eq_u32_e64 s[0:1], 3, v60
	v_cndmask_b32_e64 v64, v64, v19, s[0:1]
	s_or_b64 s[10:11], vcc, s[10:11]
	v_cmp_eq_u32_e32 vcc, 4, v60
	v_cndmask_b32_e32 v64, v64, v20, vcc
	v_cmp_eq_u32_e32 vcc, 5, v60
	v_cndmask_b32_e32 v64, v64, v21, vcc
	;; [unrolled: 2-line block ×5, first 2 shown]
	v_cmp_eq_u32_e32 vcc, 9, v60
	ds_read_b32 v65, v62
	v_cndmask_b32_e32 v64, v64, v25, vcc
	v_cmp_eq_u32_e32 vcc, 10, v60
	v_cndmask_b32_e32 v64, v64, v26, vcc
	v_cmp_eq_u32_e32 vcc, 11, v60
	;; [unrolled: 2-line block ×4, first 2 shown]
	v_add_co_u32_e64 v60, s[0:1], 1, v60
	v_cndmask_b32_e32 v64, v64, v29, vcc
	v_add_u32_e32 v62, 4, v62
	v_addc_co_u32_e64 v31, s[0:1], 0, v31, s[0:1]
	s_waitcnt lgkmcnt(0)
	v_fmac_f32_e32 v63, v64, v65
	s_andn2_b64 exec, exec, s[10:11]
	s_cbranch_execnz .LBB13_109
; %bb.110:
	s_or_b64 exec, exec, s[10:11]
.LBB13_111:
	s_or_b64 exec, exec, s[8:9]
.LBB13_112:
	s_or_b64 exec, exec, s[6:7]
	v_mov_b32_e32 v21, 0
	ds_read_b32 v21, v21 offset:20
	s_waitcnt lgkmcnt(0)
	v_mul_f32_e32 v21, v63, v21
.LBB13_113:
	s_or_b64 exec, exec, s[4:5]
	v_cmp_lt_u32_e64 s[0:1], 4, v0
	ds_write_b32 v61, v20
	s_waitcnt lgkmcnt(0)
	; wave barrier
	s_waitcnt lgkmcnt(0)
	s_and_saveexec_b64 s[4:5], s[0:1]
	s_cbranch_execz .LBB13_129
; %bb.114:
	s_andn2_b64 vcc, exec, s[28:29]
	s_cbranch_vccnz .LBB13_116
; %bb.115:
	v_cmp_eq_u32_e32 vcc, 1, v0
	v_cndmask_b32_e32 v60, v16, v17, vcc
	v_cmp_eq_u32_e32 vcc, 2, v0
	v_cndmask_b32_e32 v60, v60, v18, vcc
	;; [unrolled: 2-line block ×9, first 2 shown]
	v_cmp_eq_u32_e32 vcc, 10, v0
	ds_read_b32 v62, v61
	v_cndmask_b32_e32 v60, v60, v26, vcc
	v_cmp_eq_u32_e32 vcc, 11, v0
	v_cndmask_b32_e32 v60, v60, v27, vcc
	v_cmp_eq_u32_e32 vcc, 12, v0
	;; [unrolled: 2-line block ×3, first 2 shown]
	v_cndmask_b32_e32 v60, v60, v29, vcc
	s_waitcnt lgkmcnt(0)
	v_mul_f32_e32 v63, v60, v62
	s_cbranch_execz .LBB13_117
	s_branch .LBB13_118
.LBB13_116:
                                        ; implicit-def: $vgpr63
.LBB13_117:
	ds_read_b32 v63, v61
.LBB13_118:
	s_and_saveexec_b64 s[6:7], s[2:3]
	s_cbranch_execz .LBB13_128
; %bb.119:
	v_add_u32_e32 v60, -6, v0
	v_add_u32_e32 v64, -5, v0
	v_cmp_lt_u32_e32 vcc, 6, v60
	v_mov_b32_e32 v60, 5
	s_and_saveexec_b64 s[2:3], vcc
	s_cbranch_execz .LBB13_123
; %bb.120:
	v_and_b32_e32 v60, -8, v64
	v_sub_u32_e32 v62, 0, v60
	s_mov_b64 s[8:9], 12
	s_movk_i32 s12, 0x54
	s_mov_b64 s[10:11], 0
.LBB13_121:                             ; =>This Inner Loop Header: Depth=1
	s_add_i32 s13, s8, -7
	v_mov_b32_e32 v60, s12
	s_add_i32 s14, s8, -6
	s_set_gpr_idx_on s13, gpr_idx(SRC0)
	v_mov_b32_e32 v65, v16
	s_set_gpr_idx_off
	ds_read2_b32 v[66:67], v60 offset1:1
	s_add_i32 s15, s8, -5
	s_set_gpr_idx_on s14, gpr_idx(SRC0)
	v_mov_b32_e32 v72, v16
	s_set_gpr_idx_off
	s_add_i32 s16, s8, -4
	s_set_gpr_idx_on s15, gpr_idx(SRC0)
	v_mov_b32_e32 v73, v16
	s_set_gpr_idx_off
	ds_read2_b32 v[68:69], v60 offset0:2 offset1:3
	s_add_i32 s17, s8, -3
	s_set_gpr_idx_on s16, gpr_idx(SRC0)
	v_mov_b32_e32 v74, v16
	s_set_gpr_idx_off
	s_add_i32 s18, s8, -2
	s_set_gpr_idx_on s17, gpr_idx(SRC0)
	v_mov_b32_e32 v75, v16
	s_set_gpr_idx_off
	ds_read2_b32 v[70:71], v60 offset0:4 offset1:5
	s_add_i32 s19, s8, -1
	s_waitcnt lgkmcnt(2)
	v_fmac_f32_e32 v63, v65, v66
	s_set_gpr_idx_on s18, gpr_idx(SRC0)
	v_mov_b32_e32 v65, v16
	s_set_gpr_idx_off
	v_fmac_f32_e32 v63, v72, v67
	s_set_gpr_idx_on s19, gpr_idx(SRC0)
	v_mov_b32_e32 v72, v16
	s_set_gpr_idx_off
	ds_read2_b32 v[66:67], v60 offset0:6 offset1:7
	s_waitcnt lgkmcnt(2)
	v_fmac_f32_e32 v63, v73, v68
	s_set_gpr_idx_on s8, gpr_idx(SRC0)
	v_mov_b32_e32 v68, v16
	s_set_gpr_idx_off
	v_fmac_f32_e32 v63, v74, v69
	s_add_u32 s8, s8, 8
	s_waitcnt lgkmcnt(1)
	v_fmac_f32_e32 v63, v75, v70
	v_add_u32_e32 v60, s8, v62
	v_fmac_f32_e32 v63, v65, v71
	s_addc_u32 s9, s9, 0
	s_add_i32 s12, s12, 32
	s_add_i32 s13, s8, -7
	v_cmp_eq_u32_e32 vcc, 12, v60
	s_waitcnt lgkmcnt(0)
	v_fmac_f32_e32 v63, v72, v66
	v_mov_b32_e32 v60, s13
	s_or_b64 s[10:11], vcc, s[10:11]
	v_fmac_f32_e32 v63, v68, v67
	s_andn2_b64 exec, exec, s[10:11]
	s_cbranch_execnz .LBB13_121
; %bb.122:
	s_or_b64 exec, exec, s[10:11]
.LBB13_123:
	s_or_b64 exec, exec, s[2:3]
	v_and_b32_e32 v30, 7, v64
	v_cmp_ne_u32_e32 vcc, 0, v30
	s_and_saveexec_b64 s[8:9], vcc
	s_cbranch_execz .LBB13_127
; %bb.124:
	v_lshl_add_u32 v62, v60, 2, 64
	v_mov_b32_e32 v31, 0
	s_mov_b64 s[10:11], 0
.LBB13_125:                             ; =>This Inner Loop Header: Depth=1
	v_cmp_eq_u32_e32 vcc, 1, v60
	v_cndmask_b32_e32 v64, v16, v17, vcc
	v_add_u32_e32 v30, -1, v30
	v_cmp_eq_u32_e32 vcc, 2, v60
	v_cndmask_b32_e32 v64, v64, v18, vcc
	v_cmp_eq_u32_e32 vcc, 0, v30
	v_cmp_eq_u32_e64 s[2:3], 3, v60
	v_cndmask_b32_e64 v64, v64, v19, s[2:3]
	s_or_b64 s[10:11], vcc, s[10:11]
	v_cmp_eq_u32_e32 vcc, 4, v60
	v_cndmask_b32_e32 v64, v64, v20, vcc
	v_cmp_eq_u32_e32 vcc, 5, v60
	v_cndmask_b32_e32 v64, v64, v21, vcc
	v_cmp_eq_u32_e32 vcc, 6, v60
	v_cndmask_b32_e32 v64, v64, v22, vcc
	v_cmp_eq_u32_e32 vcc, 7, v60
	v_cndmask_b32_e32 v64, v64, v23, vcc
	v_cmp_eq_u32_e32 vcc, 8, v60
	v_cndmask_b32_e32 v64, v64, v24, vcc
	v_cmp_eq_u32_e32 vcc, 9, v60
	ds_read_b32 v65, v62
	v_cndmask_b32_e32 v64, v64, v25, vcc
	v_cmp_eq_u32_e32 vcc, 10, v60
	v_cndmask_b32_e32 v64, v64, v26, vcc
	v_cmp_eq_u32_e32 vcc, 11, v60
	v_cndmask_b32_e32 v64, v64, v27, vcc
	v_cmp_eq_u32_e32 vcc, 12, v60
	v_cndmask_b32_e32 v64, v64, v28, vcc
	v_cmp_eq_u32_e32 vcc, 13, v60
	v_add_co_u32_e64 v60, s[2:3], 1, v60
	v_cndmask_b32_e32 v64, v64, v29, vcc
	v_add_u32_e32 v62, 4, v62
	v_addc_co_u32_e64 v31, s[2:3], 0, v31, s[2:3]
	s_waitcnt lgkmcnt(0)
	v_fmac_f32_e32 v63, v64, v65
	s_andn2_b64 exec, exec, s[10:11]
	s_cbranch_execnz .LBB13_125
; %bb.126:
	s_or_b64 exec, exec, s[10:11]
.LBB13_127:
	s_or_b64 exec, exec, s[8:9]
.LBB13_128:
	s_or_b64 exec, exec, s[6:7]
	v_mov_b32_e32 v20, 0
	ds_read_b32 v20, v20 offset:16
	s_waitcnt lgkmcnt(0)
	v_mul_f32_e32 v20, v63, v20
.LBB13_129:
	s_or_b64 exec, exec, s[4:5]
	v_cmp_lt_u32_e64 s[2:3], 3, v0
	ds_write_b32 v61, v19
	s_waitcnt lgkmcnt(0)
	; wave barrier
	s_waitcnt lgkmcnt(0)
	s_and_saveexec_b64 s[4:5], s[2:3]
	s_cbranch_execz .LBB13_145
; %bb.130:
	s_andn2_b64 vcc, exec, s[28:29]
	s_cbranch_vccnz .LBB13_132
; %bb.131:
	v_cmp_eq_u32_e32 vcc, 1, v0
	v_cndmask_b32_e32 v60, v16, v17, vcc
	v_cmp_eq_u32_e32 vcc, 2, v0
	v_cndmask_b32_e32 v60, v60, v18, vcc
	;; [unrolled: 2-line block ×9, first 2 shown]
	v_cmp_eq_u32_e32 vcc, 10, v0
	ds_read_b32 v62, v61
	v_cndmask_b32_e32 v60, v60, v26, vcc
	v_cmp_eq_u32_e32 vcc, 11, v0
	v_cndmask_b32_e32 v60, v60, v27, vcc
	v_cmp_eq_u32_e32 vcc, 12, v0
	;; [unrolled: 2-line block ×3, first 2 shown]
	v_cndmask_b32_e32 v60, v60, v29, vcc
	s_waitcnt lgkmcnt(0)
	v_mul_f32_e32 v63, v60, v62
	s_cbranch_execz .LBB13_133
	s_branch .LBB13_134
.LBB13_132:
                                        ; implicit-def: $vgpr63
.LBB13_133:
	ds_read_b32 v63, v61
.LBB13_134:
	s_and_saveexec_b64 s[6:7], s[0:1]
	s_cbranch_execz .LBB13_144
; %bb.135:
	v_add_u32_e32 v60, -5, v0
	v_add_u32_e32 v64, -4, v0
	v_cmp_lt_u32_e32 vcc, 6, v60
	v_mov_b32_e32 v60, 4
	s_and_saveexec_b64 s[0:1], vcc
	s_cbranch_execz .LBB13_139
; %bb.136:
	v_and_b32_e32 v60, -8, v64
	v_sub_u32_e32 v62, 0, v60
	s_mov_b64 s[8:9], 5
	s_movk_i32 s12, 0x50
	s_mov_b64 s[10:11], 0
.LBB13_137:                             ; =>This Inner Loop Header: Depth=1
	s_add_i32 s13, s8, -1
	v_mov_b32_e32 v60, s12
	s_set_gpr_idx_on s13, gpr_idx(SRC0)
	v_mov_b32_e32 v65, v16
	s_set_gpr_idx_off
	s_add_i32 s14, s8, 1
	ds_read_b128 v[66:69], v60
	ds_read_b128 v[70:73], v60 offset:16
	s_set_gpr_idx_on s8, gpr_idx(SRC0)
	v_mov_b32_e32 v74, v16
	s_set_gpr_idx_off
	s_add_i32 s15, s8, 2
	s_set_gpr_idx_on s14, gpr_idx(SRC0)
	v_mov_b32_e32 v75, v16
	s_set_gpr_idx_off
	s_add_i32 s16, s8, 3
	;; [unrolled: 4-line block ×4, first 2 shown]
	s_waitcnt lgkmcnt(1)
	v_fmac_f32_e32 v63, v65, v66
	s_set_gpr_idx_on s17, gpr_idx(SRC0)
	v_mov_b32_e32 v65, v16
	s_set_gpr_idx_off
	s_add_i32 s19, s8, 6
	v_fmac_f32_e32 v63, v74, v67
	s_set_gpr_idx_on s18, gpr_idx(SRC0)
	v_mov_b32_e32 v66, v16
	s_set_gpr_idx_off
	v_fmac_f32_e32 v63, v75, v68
	s_set_gpr_idx_on s19, gpr_idx(SRC0)
	v_mov_b32_e32 v67, v16
	s_set_gpr_idx_off
	v_fmac_f32_e32 v63, v76, v69
	s_add_u32 s8, s8, 8
	s_waitcnt lgkmcnt(0)
	v_fmac_f32_e32 v63, v77, v70
	v_add_u32_e32 v60, s8, v62
	v_fmac_f32_e32 v63, v65, v71
	s_addc_u32 s9, s9, 0
	s_add_i32 s12, s12, 32
	s_add_i32 s13, s8, -1
	v_cmp_eq_u32_e32 vcc, 5, v60
	v_fmac_f32_e32 v63, v66, v72
	v_mov_b32_e32 v60, s13
	s_or_b64 s[10:11], vcc, s[10:11]
	v_fmac_f32_e32 v63, v67, v73
	s_andn2_b64 exec, exec, s[10:11]
	s_cbranch_execnz .LBB13_137
; %bb.138:
	s_or_b64 exec, exec, s[10:11]
.LBB13_139:
	s_or_b64 exec, exec, s[0:1]
	v_and_b32_e32 v30, 7, v64
	v_cmp_ne_u32_e32 vcc, 0, v30
	s_and_saveexec_b64 s[8:9], vcc
	s_cbranch_execz .LBB13_143
; %bb.140:
	v_lshl_add_u32 v62, v60, 2, 64
	v_mov_b32_e32 v31, 0
	s_mov_b64 s[10:11], 0
.LBB13_141:                             ; =>This Inner Loop Header: Depth=1
	v_cmp_eq_u32_e32 vcc, 1, v60
	v_cndmask_b32_e32 v64, v16, v17, vcc
	v_add_u32_e32 v30, -1, v30
	v_cmp_eq_u32_e32 vcc, 2, v60
	v_cndmask_b32_e32 v64, v64, v18, vcc
	v_cmp_eq_u32_e32 vcc, 0, v30
	v_cmp_eq_u32_e64 s[0:1], 3, v60
	v_cndmask_b32_e64 v64, v64, v19, s[0:1]
	s_or_b64 s[10:11], vcc, s[10:11]
	v_cmp_eq_u32_e32 vcc, 4, v60
	v_cndmask_b32_e32 v64, v64, v20, vcc
	v_cmp_eq_u32_e32 vcc, 5, v60
	v_cndmask_b32_e32 v64, v64, v21, vcc
	;; [unrolled: 2-line block ×5, first 2 shown]
	v_cmp_eq_u32_e32 vcc, 9, v60
	ds_read_b32 v65, v62
	v_cndmask_b32_e32 v64, v64, v25, vcc
	v_cmp_eq_u32_e32 vcc, 10, v60
	v_cndmask_b32_e32 v64, v64, v26, vcc
	v_cmp_eq_u32_e32 vcc, 11, v60
	;; [unrolled: 2-line block ×4, first 2 shown]
	v_add_co_u32_e64 v60, s[0:1], 1, v60
	v_cndmask_b32_e32 v64, v64, v29, vcc
	v_add_u32_e32 v62, 4, v62
	v_addc_co_u32_e64 v31, s[0:1], 0, v31, s[0:1]
	s_waitcnt lgkmcnt(0)
	v_fmac_f32_e32 v63, v64, v65
	s_andn2_b64 exec, exec, s[10:11]
	s_cbranch_execnz .LBB13_141
; %bb.142:
	s_or_b64 exec, exec, s[10:11]
.LBB13_143:
	s_or_b64 exec, exec, s[8:9]
.LBB13_144:
	s_or_b64 exec, exec, s[6:7]
	v_mov_b32_e32 v19, 0
	ds_read_b32 v19, v19 offset:12
	s_waitcnt lgkmcnt(0)
	v_mul_f32_e32 v19, v63, v19
.LBB13_145:
	s_or_b64 exec, exec, s[4:5]
	v_cmp_lt_u32_e64 s[0:1], 2, v0
	ds_write_b32 v61, v18
	s_waitcnt lgkmcnt(0)
	; wave barrier
	s_waitcnt lgkmcnt(0)
	s_and_saveexec_b64 s[4:5], s[0:1]
	s_cbranch_execz .LBB13_161
; %bb.146:
	s_andn2_b64 vcc, exec, s[28:29]
	s_cbranch_vccnz .LBB13_148
; %bb.147:
	v_cmp_eq_u32_e32 vcc, 1, v0
	v_cndmask_b32_e32 v60, v16, v17, vcc
	v_cmp_eq_u32_e32 vcc, 2, v0
	v_cndmask_b32_e32 v60, v60, v18, vcc
	;; [unrolled: 2-line block ×9, first 2 shown]
	v_cmp_eq_u32_e32 vcc, 10, v0
	ds_read_b32 v62, v61
	v_cndmask_b32_e32 v60, v60, v26, vcc
	v_cmp_eq_u32_e32 vcc, 11, v0
	v_cndmask_b32_e32 v60, v60, v27, vcc
	v_cmp_eq_u32_e32 vcc, 12, v0
	;; [unrolled: 2-line block ×3, first 2 shown]
	v_cndmask_b32_e32 v60, v60, v29, vcc
	s_waitcnt lgkmcnt(0)
	v_mul_f32_e32 v63, v60, v62
	s_cbranch_execz .LBB13_149
	s_branch .LBB13_150
.LBB13_148:
                                        ; implicit-def: $vgpr63
.LBB13_149:
	ds_read_b32 v63, v61
.LBB13_150:
	s_and_saveexec_b64 s[6:7], s[2:3]
	s_cbranch_execz .LBB13_160
; %bb.151:
	v_add_u32_e32 v60, -4, v0
	v_add_u32_e32 v64, -3, v0
	v_cmp_lt_u32_e32 vcc, 6, v60
	v_mov_b32_e32 v60, 3
	s_and_saveexec_b64 s[2:3], vcc
	s_cbranch_execz .LBB13_155
; %bb.152:
	v_and_b32_e32 v60, -8, v64
	v_sub_u32_e32 v62, 0, v60
	s_mov_b64 s[8:9], 10
	s_movk_i32 s12, 0x4c
	s_mov_b64 s[10:11], 0
.LBB13_153:                             ; =>This Inner Loop Header: Depth=1
	s_add_i32 s13, s8, -7
	v_mov_b32_e32 v60, s12
	s_add_i32 s14, s8, -6
	s_set_gpr_idx_on s13, gpr_idx(SRC0)
	v_mov_b32_e32 v65, v16
	s_set_gpr_idx_off
	ds_read2_b32 v[66:67], v60 offset1:1
	s_add_i32 s15, s8, -5
	s_set_gpr_idx_on s14, gpr_idx(SRC0)
	v_mov_b32_e32 v72, v16
	s_set_gpr_idx_off
	s_add_i32 s16, s8, -4
	s_set_gpr_idx_on s15, gpr_idx(SRC0)
	v_mov_b32_e32 v73, v16
	s_set_gpr_idx_off
	ds_read2_b32 v[68:69], v60 offset0:2 offset1:3
	s_add_i32 s17, s8, -3
	s_set_gpr_idx_on s16, gpr_idx(SRC0)
	v_mov_b32_e32 v74, v16
	s_set_gpr_idx_off
	s_add_i32 s18, s8, -2
	s_set_gpr_idx_on s17, gpr_idx(SRC0)
	v_mov_b32_e32 v75, v16
	s_set_gpr_idx_off
	ds_read2_b32 v[70:71], v60 offset0:4 offset1:5
	s_add_i32 s19, s8, -1
	s_waitcnt lgkmcnt(2)
	v_fmac_f32_e32 v63, v65, v66
	s_set_gpr_idx_on s18, gpr_idx(SRC0)
	v_mov_b32_e32 v65, v16
	s_set_gpr_idx_off
	v_fmac_f32_e32 v63, v72, v67
	s_set_gpr_idx_on s19, gpr_idx(SRC0)
	v_mov_b32_e32 v72, v16
	s_set_gpr_idx_off
	ds_read2_b32 v[66:67], v60 offset0:6 offset1:7
	s_waitcnt lgkmcnt(2)
	v_fmac_f32_e32 v63, v73, v68
	s_set_gpr_idx_on s8, gpr_idx(SRC0)
	v_mov_b32_e32 v68, v16
	s_set_gpr_idx_off
	v_fmac_f32_e32 v63, v74, v69
	s_add_u32 s8, s8, 8
	s_waitcnt lgkmcnt(1)
	v_fmac_f32_e32 v63, v75, v70
	v_add_u32_e32 v60, s8, v62
	v_fmac_f32_e32 v63, v65, v71
	s_addc_u32 s9, s9, 0
	s_add_i32 s12, s12, 32
	s_add_i32 s13, s8, -7
	v_cmp_eq_u32_e32 vcc, 10, v60
	s_waitcnt lgkmcnt(0)
	v_fmac_f32_e32 v63, v72, v66
	v_mov_b32_e32 v60, s13
	s_or_b64 s[10:11], vcc, s[10:11]
	v_fmac_f32_e32 v63, v68, v67
	s_andn2_b64 exec, exec, s[10:11]
	s_cbranch_execnz .LBB13_153
; %bb.154:
	s_or_b64 exec, exec, s[10:11]
.LBB13_155:
	s_or_b64 exec, exec, s[2:3]
	v_and_b32_e32 v30, 7, v64
	v_cmp_ne_u32_e32 vcc, 0, v30
	s_and_saveexec_b64 s[8:9], vcc
	s_cbranch_execz .LBB13_159
; %bb.156:
	v_lshl_add_u32 v62, v60, 2, 64
	v_mov_b32_e32 v31, 0
	s_mov_b64 s[10:11], 0
.LBB13_157:                             ; =>This Inner Loop Header: Depth=1
	v_cmp_eq_u32_e32 vcc, 1, v60
	v_cndmask_b32_e32 v64, v16, v17, vcc
	v_add_u32_e32 v30, -1, v30
	v_cmp_eq_u32_e32 vcc, 2, v60
	v_cndmask_b32_e32 v64, v64, v18, vcc
	v_cmp_eq_u32_e32 vcc, 0, v30
	v_cmp_eq_u32_e64 s[2:3], 3, v60
	v_cndmask_b32_e64 v64, v64, v19, s[2:3]
	s_or_b64 s[10:11], vcc, s[10:11]
	v_cmp_eq_u32_e32 vcc, 4, v60
	v_cndmask_b32_e32 v64, v64, v20, vcc
	v_cmp_eq_u32_e32 vcc, 5, v60
	v_cndmask_b32_e32 v64, v64, v21, vcc
	v_cmp_eq_u32_e32 vcc, 6, v60
	v_cndmask_b32_e32 v64, v64, v22, vcc
	v_cmp_eq_u32_e32 vcc, 7, v60
	v_cndmask_b32_e32 v64, v64, v23, vcc
	v_cmp_eq_u32_e32 vcc, 8, v60
	v_cndmask_b32_e32 v64, v64, v24, vcc
	v_cmp_eq_u32_e32 vcc, 9, v60
	ds_read_b32 v65, v62
	v_cndmask_b32_e32 v64, v64, v25, vcc
	v_cmp_eq_u32_e32 vcc, 10, v60
	v_cndmask_b32_e32 v64, v64, v26, vcc
	v_cmp_eq_u32_e32 vcc, 11, v60
	;; [unrolled: 2-line block ×4, first 2 shown]
	v_add_co_u32_e64 v60, s[2:3], 1, v60
	v_cndmask_b32_e32 v64, v64, v29, vcc
	v_add_u32_e32 v62, 4, v62
	v_addc_co_u32_e64 v31, s[2:3], 0, v31, s[2:3]
	s_waitcnt lgkmcnt(0)
	v_fmac_f32_e32 v63, v64, v65
	s_andn2_b64 exec, exec, s[10:11]
	s_cbranch_execnz .LBB13_157
; %bb.158:
	s_or_b64 exec, exec, s[10:11]
.LBB13_159:
	s_or_b64 exec, exec, s[8:9]
.LBB13_160:
	s_or_b64 exec, exec, s[6:7]
	v_mov_b32_e32 v18, 0
	ds_read_b32 v18, v18 offset:8
	s_waitcnt lgkmcnt(0)
	v_mul_f32_e32 v18, v63, v18
.LBB13_161:
	s_or_b64 exec, exec, s[4:5]
	v_cmp_lt_u32_e64 s[2:3], 1, v0
	ds_write_b32 v61, v17
	s_waitcnt lgkmcnt(0)
	; wave barrier
	s_waitcnt lgkmcnt(0)
	s_and_saveexec_b64 s[4:5], s[2:3]
	s_cbranch_execz .LBB13_177
; %bb.162:
	s_andn2_b64 vcc, exec, s[28:29]
	s_cbranch_vccnz .LBB13_164
; %bb.163:
	v_cmp_eq_u32_e32 vcc, 1, v0
	v_cndmask_b32_e32 v60, v16, v17, vcc
	v_cmp_eq_u32_e32 vcc, 2, v0
	v_cndmask_b32_e32 v60, v60, v18, vcc
	;; [unrolled: 2-line block ×9, first 2 shown]
	v_cmp_eq_u32_e32 vcc, 10, v0
	ds_read_b32 v62, v61
	v_cndmask_b32_e32 v60, v60, v26, vcc
	v_cmp_eq_u32_e32 vcc, 11, v0
	v_cndmask_b32_e32 v60, v60, v27, vcc
	v_cmp_eq_u32_e32 vcc, 12, v0
	;; [unrolled: 2-line block ×3, first 2 shown]
	v_cndmask_b32_e32 v60, v60, v29, vcc
	s_waitcnt lgkmcnt(0)
	v_mul_f32_e32 v63, v60, v62
	s_cbranch_execz .LBB13_165
	s_branch .LBB13_166
.LBB13_164:
                                        ; implicit-def: $vgpr63
.LBB13_165:
	ds_read_b32 v63, v61
.LBB13_166:
	s_and_saveexec_b64 s[6:7], s[0:1]
	s_cbranch_execz .LBB13_176
; %bb.167:
	v_add_u32_e32 v60, -3, v0
	v_add_u32_e32 v64, -2, v0
	v_cmp_lt_u32_e32 vcc, 6, v60
	v_mov_b32_e32 v60, 2
	s_and_saveexec_b64 s[0:1], vcc
	s_cbranch_execz .LBB13_171
; %bb.168:
	v_and_b32_e32 v60, -8, v64
	v_sub_u32_e32 v62, 0, v60
	s_mov_b64 s[8:9], 9
	s_movk_i32 s12, 0x48
	s_mov_b64 s[10:11], 0
.LBB13_169:                             ; =>This Inner Loop Header: Depth=1
	s_add_i32 s13, s8, -7
	v_mov_b32_e32 v60, s12
	s_add_i32 s14, s8, -6
	s_set_gpr_idx_on s13, gpr_idx(SRC0)
	v_mov_b32_e32 v65, v16
	s_set_gpr_idx_off
	ds_read2_b64 v[66:69], v60 offset1:1
	s_add_i32 s15, s8, -5
	s_set_gpr_idx_on s14, gpr_idx(SRC0)
	v_mov_b32_e32 v74, v16
	s_set_gpr_idx_off
	s_add_i32 s16, s8, -4
	s_set_gpr_idx_on s15, gpr_idx(SRC0)
	v_mov_b32_e32 v75, v16
	s_set_gpr_idx_off
	;; [unrolled: 4-line block ×4, first 2 shown]
	ds_read2_b64 v[70:73], v60 offset0:2 offset1:3
	s_add_i32 s19, s8, -1
	s_waitcnt lgkmcnt(1)
	v_fmac_f32_e32 v63, v65, v66
	s_set_gpr_idx_on s18, gpr_idx(SRC0)
	v_mov_b32_e32 v65, v16
	s_set_gpr_idx_off
	v_fmac_f32_e32 v63, v74, v67
	s_set_gpr_idx_on s19, gpr_idx(SRC0)
	v_mov_b32_e32 v66, v16
	s_set_gpr_idx_off
	;; [unrolled: 4-line block ×3, first 2 shown]
	v_fmac_f32_e32 v63, v76, v69
	s_add_u32 s8, s8, 8
	s_waitcnt lgkmcnt(0)
	v_fmac_f32_e32 v63, v77, v70
	v_add_u32_e32 v60, s8, v62
	v_fmac_f32_e32 v63, v65, v71
	s_addc_u32 s9, s9, 0
	s_add_i32 s12, s12, 32
	s_add_i32 s13, s8, -7
	v_cmp_eq_u32_e32 vcc, 9, v60
	v_fmac_f32_e32 v63, v66, v72
	v_mov_b32_e32 v60, s13
	s_or_b64 s[10:11], vcc, s[10:11]
	v_fmac_f32_e32 v63, v67, v73
	s_andn2_b64 exec, exec, s[10:11]
	s_cbranch_execnz .LBB13_169
; %bb.170:
	s_or_b64 exec, exec, s[10:11]
.LBB13_171:
	s_or_b64 exec, exec, s[0:1]
	v_and_b32_e32 v30, 7, v64
	v_cmp_ne_u32_e32 vcc, 0, v30
	s_and_saveexec_b64 s[8:9], vcc
	s_cbranch_execz .LBB13_175
; %bb.172:
	v_lshl_add_u32 v62, v60, 2, 64
	v_mov_b32_e32 v31, 0
	s_mov_b64 s[10:11], 0
.LBB13_173:                             ; =>This Inner Loop Header: Depth=1
	v_cmp_eq_u32_e32 vcc, 1, v60
	v_cndmask_b32_e32 v64, v16, v17, vcc
	v_add_u32_e32 v30, -1, v30
	v_cmp_eq_u32_e32 vcc, 2, v60
	v_cndmask_b32_e32 v64, v64, v18, vcc
	v_cmp_eq_u32_e32 vcc, 0, v30
	v_cmp_eq_u32_e64 s[0:1], 3, v60
	v_cndmask_b32_e64 v64, v64, v19, s[0:1]
	s_or_b64 s[10:11], vcc, s[10:11]
	v_cmp_eq_u32_e32 vcc, 4, v60
	v_cndmask_b32_e32 v64, v64, v20, vcc
	v_cmp_eq_u32_e32 vcc, 5, v60
	v_cndmask_b32_e32 v64, v64, v21, vcc
	;; [unrolled: 2-line block ×5, first 2 shown]
	v_cmp_eq_u32_e32 vcc, 9, v60
	ds_read_b32 v65, v62
	v_cndmask_b32_e32 v64, v64, v25, vcc
	v_cmp_eq_u32_e32 vcc, 10, v60
	v_cndmask_b32_e32 v64, v64, v26, vcc
	v_cmp_eq_u32_e32 vcc, 11, v60
	;; [unrolled: 2-line block ×4, first 2 shown]
	v_add_co_u32_e64 v60, s[0:1], 1, v60
	v_cndmask_b32_e32 v64, v64, v29, vcc
	v_add_u32_e32 v62, 4, v62
	v_addc_co_u32_e64 v31, s[0:1], 0, v31, s[0:1]
	s_waitcnt lgkmcnt(0)
	v_fmac_f32_e32 v63, v64, v65
	s_andn2_b64 exec, exec, s[10:11]
	s_cbranch_execnz .LBB13_173
; %bb.174:
	s_or_b64 exec, exec, s[10:11]
.LBB13_175:
	s_or_b64 exec, exec, s[8:9]
.LBB13_176:
	s_or_b64 exec, exec, s[6:7]
	v_mov_b32_e32 v17, 0
	ds_read_b32 v17, v17 offset:4
	s_waitcnt lgkmcnt(0)
	v_mul_f32_e32 v17, v63, v17
.LBB13_177:
	s_or_b64 exec, exec, s[4:5]
	v_cmp_ne_u32_e32 vcc, 0, v0
	ds_write_b32 v61, v16
	s_waitcnt lgkmcnt(0)
	; wave barrier
	s_waitcnt lgkmcnt(0)
	s_and_saveexec_b64 s[4:5], vcc
	s_cbranch_execz .LBB13_193
; %bb.178:
	s_andn2_b64 vcc, exec, s[28:29]
	s_cbranch_vccnz .LBB13_180
; %bb.179:
	v_cmp_eq_u32_e32 vcc, 1, v0
	v_cndmask_b32_e32 v60, v16, v17, vcc
	v_cmp_eq_u32_e32 vcc, 2, v0
	v_cndmask_b32_e32 v60, v60, v18, vcc
	;; [unrolled: 2-line block ×9, first 2 shown]
	v_cmp_eq_u32_e32 vcc, 10, v0
	ds_read_b32 v62, v61
	v_cndmask_b32_e32 v60, v60, v26, vcc
	v_cmp_eq_u32_e32 vcc, 11, v0
	v_cndmask_b32_e32 v60, v60, v27, vcc
	v_cmp_eq_u32_e32 vcc, 12, v0
	;; [unrolled: 2-line block ×3, first 2 shown]
	v_cndmask_b32_e32 v60, v60, v29, vcc
	s_waitcnt lgkmcnt(0)
	v_mul_f32_e32 v63, v60, v62
	s_cbranch_execz .LBB13_181
	s_branch .LBB13_182
.LBB13_180:
                                        ; implicit-def: $vgpr63
.LBB13_181:
	ds_read_b32 v63, v61
.LBB13_182:
	s_and_saveexec_b64 s[6:7], s[2:3]
	s_cbranch_execz .LBB13_192
; %bb.183:
	v_add_u32_e32 v60, -2, v0
	v_add_u32_e32 v64, -1, v0
	v_cmp_lt_u32_e32 vcc, 6, v60
	v_mov_b32_e32 v60, 1
	s_and_saveexec_b64 s[0:1], vcc
	s_cbranch_execz .LBB13_187
; %bb.184:
	v_and_b32_e32 v60, -8, v64
	v_sub_u32_e32 v62, 0, v60
	s_mov_b64 s[2:3], 8
	s_movk_i32 s10, 0x44
	s_mov_b64 s[8:9], 0
.LBB13_185:                             ; =>This Inner Loop Header: Depth=1
	s_add_i32 s11, s2, -7
	v_mov_b32_e32 v60, s10
	s_add_i32 s12, s2, -6
	s_set_gpr_idx_on s11, gpr_idx(SRC0)
	v_mov_b32_e32 v65, v16
	s_set_gpr_idx_off
	ds_read2_b32 v[66:67], v60 offset1:1
	s_add_i32 s13, s2, -5
	s_set_gpr_idx_on s12, gpr_idx(SRC0)
	v_mov_b32_e32 v72, v16
	s_set_gpr_idx_off
	s_add_i32 s14, s2, -4
	s_set_gpr_idx_on s13, gpr_idx(SRC0)
	v_mov_b32_e32 v73, v16
	s_set_gpr_idx_off
	ds_read2_b32 v[68:69], v60 offset0:2 offset1:3
	s_add_i32 s15, s2, -3
	s_set_gpr_idx_on s14, gpr_idx(SRC0)
	v_mov_b32_e32 v74, v16
	s_set_gpr_idx_off
	s_add_i32 s16, s2, -2
	s_set_gpr_idx_on s15, gpr_idx(SRC0)
	v_mov_b32_e32 v75, v16
	s_set_gpr_idx_off
	ds_read2_b32 v[70:71], v60 offset0:4 offset1:5
	s_add_i32 s17, s2, -1
	s_waitcnt lgkmcnt(2)
	v_fmac_f32_e32 v63, v65, v66
	s_set_gpr_idx_on s16, gpr_idx(SRC0)
	v_mov_b32_e32 v65, v16
	s_set_gpr_idx_off
	v_fmac_f32_e32 v63, v72, v67
	s_set_gpr_idx_on s17, gpr_idx(SRC0)
	v_mov_b32_e32 v72, v16
	s_set_gpr_idx_off
	ds_read2_b32 v[66:67], v60 offset0:6 offset1:7
	s_waitcnt lgkmcnt(2)
	v_fmac_f32_e32 v63, v73, v68
	s_set_gpr_idx_on s2, gpr_idx(SRC0)
	v_mov_b32_e32 v68, v16
	s_set_gpr_idx_off
	v_fmac_f32_e32 v63, v74, v69
	s_add_u32 s2, s2, 8
	s_waitcnt lgkmcnt(1)
	v_fmac_f32_e32 v63, v75, v70
	v_add_u32_e32 v60, s2, v62
	v_fmac_f32_e32 v63, v65, v71
	s_addc_u32 s3, s3, 0
	s_add_i32 s10, s10, 32
	s_add_i32 s11, s2, -7
	v_cmp_eq_u32_e32 vcc, 8, v60
	s_waitcnt lgkmcnt(0)
	v_fmac_f32_e32 v63, v72, v66
	v_mov_b32_e32 v60, s11
	s_or_b64 s[8:9], vcc, s[8:9]
	v_fmac_f32_e32 v63, v68, v67
	s_andn2_b64 exec, exec, s[8:9]
	s_cbranch_execnz .LBB13_185
; %bb.186:
	s_or_b64 exec, exec, s[8:9]
.LBB13_187:
	s_or_b64 exec, exec, s[0:1]
	v_and_b32_e32 v30, 7, v64
	v_cmp_ne_u32_e32 vcc, 0, v30
	s_and_saveexec_b64 s[2:3], vcc
	s_cbranch_execz .LBB13_191
; %bb.188:
	v_lshl_add_u32 v62, v60, 2, 64
	v_mov_b32_e32 v31, 0
	s_mov_b64 s[8:9], 0
.LBB13_189:                             ; =>This Inner Loop Header: Depth=1
	v_cmp_eq_u32_e32 vcc, 1, v60
	v_cndmask_b32_e32 v64, v16, v17, vcc
	v_add_u32_e32 v30, -1, v30
	v_cmp_eq_u32_e32 vcc, 2, v60
	v_cndmask_b32_e32 v64, v64, v18, vcc
	v_cmp_eq_u32_e32 vcc, 0, v30
	v_cmp_eq_u32_e64 s[0:1], 3, v60
	v_cndmask_b32_e64 v64, v64, v19, s[0:1]
	s_or_b64 s[8:9], vcc, s[8:9]
	v_cmp_eq_u32_e32 vcc, 4, v60
	v_cndmask_b32_e32 v64, v64, v20, vcc
	v_cmp_eq_u32_e32 vcc, 5, v60
	v_cndmask_b32_e32 v64, v64, v21, vcc
	;; [unrolled: 2-line block ×5, first 2 shown]
	v_cmp_eq_u32_e32 vcc, 9, v60
	ds_read_b32 v65, v62
	v_cndmask_b32_e32 v64, v64, v25, vcc
	v_cmp_eq_u32_e32 vcc, 10, v60
	v_cndmask_b32_e32 v64, v64, v26, vcc
	v_cmp_eq_u32_e32 vcc, 11, v60
	;; [unrolled: 2-line block ×4, first 2 shown]
	v_add_co_u32_e64 v60, s[0:1], 1, v60
	v_cndmask_b32_e32 v64, v64, v29, vcc
	v_add_u32_e32 v62, 4, v62
	v_addc_co_u32_e64 v31, s[0:1], 0, v31, s[0:1]
	s_waitcnt lgkmcnt(0)
	v_fmac_f32_e32 v63, v64, v65
	s_andn2_b64 exec, exec, s[8:9]
	s_cbranch_execnz .LBB13_189
; %bb.190:
	s_or_b64 exec, exec, s[8:9]
.LBB13_191:
	s_or_b64 exec, exec, s[2:3]
.LBB13_192:
	s_or_b64 exec, exec, s[6:7]
	v_mov_b32_e32 v16, 0
	ds_read_b32 v16, v16
	s_waitcnt lgkmcnt(0)
	v_mul_f32_e32 v16, v63, v16
.LBB13_193:
	s_or_b64 exec, exec, s[4:5]
	s_branch .LBB13_329
.LBB13_194:
	v_cmp_eq_u32_e64 s[2:3], 0, v0
	s_waitcnt vmcnt(13)
	ds_write_b32 v61, v3
	s_waitcnt lgkmcnt(0)
	; wave barrier
	s_waitcnt lgkmcnt(0)
	s_and_saveexec_b64 s[0:1], s[2:3]
	s_cbranch_execz .LBB13_200
; %bb.195:
	s_and_b64 vcc, exec, s[28:29]
	s_cbranch_vccz .LBB13_197
; %bb.196:
	v_cmp_eq_u32_e32 vcc, 1, v0
	s_waitcnt vmcnt(1)
	v_cndmask_b32_e32 v3, v2, v3, vcc
	v_cmp_eq_u32_e32 vcc, 2, v0
	v_cndmask_b32_e32 v3, v3, v4, vcc
	v_cmp_eq_u32_e32 vcc, 3, v0
	;; [unrolled: 2-line block ×9, first 2 shown]
	ds_read_b32 v16, v61
	v_cndmask_b32_e32 v3, v3, v12, vcc
	v_cmp_eq_u32_e32 vcc, 11, v0
	v_cndmask_b32_e32 v3, v3, v13, vcc
	v_cmp_eq_u32_e32 vcc, 12, v0
	;; [unrolled: 2-line block ×3, first 2 shown]
	s_waitcnt vmcnt(0)
	v_cndmask_b32_e32 v3, v3, v15, vcc
	s_waitcnt lgkmcnt(0)
	v_mul_f32_e32 v3, v3, v16
	s_cbranch_execz .LBB13_198
	s_branch .LBB13_199
.LBB13_197:
                                        ; implicit-def: $vgpr3
.LBB13_198:
	ds_read_b32 v3, v61
.LBB13_199:
	v_mov_b32_e32 v16, 0
	ds_read_b32 v16, v16 offset:4
	s_waitcnt lgkmcnt(0)
	v_mul_f32_e32 v3, v3, v16
.LBB13_200:
	s_or_b64 exec, exec, s[0:1]
	v_cndmask_b32_e64 v16, 0, 1, s[28:29]
	v_add_u32_e32 v18, 1, v0
	v_cmp_gt_u32_e32 vcc, 2, v0
	v_cmp_ne_u32_e64 s[0:1], 1, v16
	s_waitcnt vmcnt(12)
	ds_write_b32 v61, v4
	s_waitcnt lgkmcnt(0)
	; wave barrier
	s_waitcnt lgkmcnt(0)
	s_and_saveexec_b64 s[4:5], vcc
	s_cbranch_execz .LBB13_208
; %bb.201:
	s_and_b64 vcc, exec, s[0:1]
	s_cbranch_vccnz .LBB13_203
; %bb.202:
	v_cmp_eq_u32_e32 vcc, 1, v0
	s_waitcnt vmcnt(1)
	v_cndmask_b32_e32 v16, v2, v3, vcc
	v_cmp_eq_u32_e32 vcc, 2, v0
	v_cndmask_b32_e32 v16, v16, v4, vcc
	v_cmp_eq_u32_e32 vcc, 3, v0
	;; [unrolled: 2-line block ×9, first 2 shown]
	ds_read_b32 v17, v61
	v_cndmask_b32_e32 v16, v16, v12, vcc
	v_cmp_eq_u32_e32 vcc, 11, v0
	v_cndmask_b32_e32 v16, v16, v13, vcc
	v_cmp_eq_u32_e32 vcc, 12, v0
	;; [unrolled: 2-line block ×3, first 2 shown]
	s_waitcnt vmcnt(0)
	v_cndmask_b32_e32 v16, v16, v15, vcc
	s_waitcnt lgkmcnt(0)
	v_mul_f32_e32 v16, v16, v17
	s_cbranch_execz .LBB13_204
	s_branch .LBB13_205
.LBB13_203:
                                        ; implicit-def: $vgpr16
.LBB13_204:
	ds_read_b32 v16, v61
.LBB13_205:
	s_and_saveexec_b64 s[6:7], s[2:3]
	s_cbranch_execz .LBB13_207
; %bb.206:
	v_cmp_eq_u32_e32 vcc, 1, v18
	s_waitcnt vmcnt(1)
	v_cndmask_b32_e32 v17, v2, v3, vcc
	v_cmp_eq_u32_e32 vcc, 2, v18
	v_cndmask_b32_e32 v4, v17, v4, vcc
	v_cmp_eq_u32_e32 vcc, 3, v18
	;; [unrolled: 2-line block ×9, first 2 shown]
	ds_read_b32 v17, v61 offset:4
	v_cndmask_b32_e32 v4, v4, v12, vcc
	v_cmp_eq_u32_e32 vcc, 11, v18
	v_cndmask_b32_e32 v4, v4, v13, vcc
	v_cmp_eq_u32_e32 vcc, 12, v18
	;; [unrolled: 2-line block ×3, first 2 shown]
	s_waitcnt vmcnt(0)
	v_cndmask_b32_e32 v4, v4, v15, vcc
	s_waitcnt lgkmcnt(0)
	v_fmac_f32_e32 v16, v4, v17
.LBB13_207:
	s_or_b64 exec, exec, s[6:7]
	v_mov_b32_e32 v4, 0
	ds_read_b32 v4, v4 offset:8
	s_waitcnt lgkmcnt(0)
	v_mul_f32_e32 v4, v16, v4
.LBB13_208:
	s_or_b64 exec, exec, s[4:5]
	v_cmp_gt_u32_e64 s[4:5], 3, v0
	s_waitcnt vmcnt(11)
	ds_write_b32 v61, v5
	s_waitcnt lgkmcnt(0)
	; wave barrier
	s_waitcnt lgkmcnt(0)
	s_and_saveexec_b64 s[6:7], s[4:5]
	s_cbranch_execz .LBB13_216
; %bb.209:
	s_and_b64 vcc, exec, s[0:1]
	s_cbranch_vccnz .LBB13_211
; %bb.210:
	v_cmp_eq_u32_e32 vcc, 1, v0
	s_waitcnt vmcnt(1)
	v_cndmask_b32_e32 v16, v2, v3, vcc
	v_cmp_eq_u32_e32 vcc, 2, v0
	v_cndmask_b32_e32 v16, v16, v4, vcc
	v_cmp_eq_u32_e32 vcc, 3, v0
	;; [unrolled: 2-line block ×9, first 2 shown]
	ds_read_b32 v17, v61
	v_cndmask_b32_e32 v16, v16, v12, vcc
	v_cmp_eq_u32_e32 vcc, 11, v0
	v_cndmask_b32_e32 v16, v16, v13, vcc
	v_cmp_eq_u32_e32 vcc, 12, v0
	;; [unrolled: 2-line block ×3, first 2 shown]
	s_waitcnt vmcnt(0)
	v_cndmask_b32_e32 v16, v16, v15, vcc
	s_waitcnt lgkmcnt(0)
	v_mul_f32_e32 v16, v16, v17
	s_cbranch_execz .LBB13_212
	s_branch .LBB13_213
.LBB13_211:
                                        ; implicit-def: $vgpr16
.LBB13_212:
	ds_read_b32 v16, v61
.LBB13_213:
	v_cmp_ne_u32_e32 vcc, 2, v0
	s_and_saveexec_b64 s[8:9], vcc
	s_cbranch_execz .LBB13_215
; %bb.214:
	v_cmp_eq_u32_e32 vcc, 1, v18
	s_waitcnt vmcnt(1)
	v_cndmask_b32_e32 v17, v2, v3, vcc
	v_cmp_eq_u32_e32 vcc, 2, v18
	v_cndmask_b32_e32 v17, v17, v4, vcc
	v_cmp_eq_u32_e32 vcc, 3, v18
	;; [unrolled: 2-line block ×9, first 2 shown]
	v_mov_b32_e32 v17, 0
	v_cndmask_b32_e32 v5, v5, v12, vcc
	v_cmp_eq_u32_e32 vcc, 11, v18
	ds_read_b32 v19, v61 offset:4
	ds_read_b32 v17, v17 offset:72
	v_cndmask_b32_e32 v5, v5, v13, vcc
	v_cmp_eq_u32_e32 vcc, 12, v18
	v_cndmask_b32_e32 v5, v5, v14, vcc
	v_cmp_eq_u32_e32 vcc, 13, v18
	s_waitcnt vmcnt(0)
	v_cndmask_b32_e32 v5, v5, v15, vcc
	s_waitcnt lgkmcnt(1)
	v_fmac_f32_e32 v16, v5, v19
	s_waitcnt lgkmcnt(0)
	v_fma_f32 v5, v4, v17, v16
	v_cndmask_b32_e64 v16, v16, v5, s[2:3]
.LBB13_215:
	s_or_b64 exec, exec, s[8:9]
	v_mov_b32_e32 v5, 0
	ds_read_b32 v5, v5 offset:12
	s_waitcnt lgkmcnt(0)
	v_mul_f32_e32 v5, v16, v5
.LBB13_216:
	s_or_b64 exec, exec, s[6:7]
	v_cmp_gt_u32_e32 vcc, 4, v0
	s_waitcnt vmcnt(10)
	ds_write_b32 v61, v6
	s_waitcnt lgkmcnt(0)
	; wave barrier
	s_waitcnt lgkmcnt(0)
	s_and_saveexec_b64 s[8:9], vcc
	s_cbranch_execz .LBB13_226
; %bb.217:
	s_and_b64 vcc, exec, s[0:1]
	s_cbranch_vccnz .LBB13_219
; %bb.218:
	v_cmp_eq_u32_e32 vcc, 1, v0
	s_waitcnt vmcnt(1)
	v_cndmask_b32_e32 v16, v2, v3, vcc
	v_cmp_eq_u32_e32 vcc, 2, v0
	v_cndmask_b32_e32 v16, v16, v4, vcc
	v_cmp_eq_u32_e32 vcc, 3, v0
	;; [unrolled: 2-line block ×9, first 2 shown]
	ds_read_b32 v17, v61
	v_cndmask_b32_e32 v16, v16, v12, vcc
	v_cmp_eq_u32_e32 vcc, 11, v0
	v_cndmask_b32_e32 v16, v16, v13, vcc
	v_cmp_eq_u32_e32 vcc, 12, v0
	;; [unrolled: 2-line block ×3, first 2 shown]
	s_waitcnt vmcnt(0)
	v_cndmask_b32_e32 v16, v16, v15, vcc
	s_waitcnt lgkmcnt(0)
	v_mul_f32_e32 v19, v16, v17
	s_cbranch_execz .LBB13_220
	s_branch .LBB13_221
.LBB13_219:
                                        ; implicit-def: $vgpr19
.LBB13_220:
	ds_read_b32 v19, v61
.LBB13_221:
	v_cmp_ne_u32_e32 vcc, 3, v0
	s_and_saveexec_b64 s[10:11], vcc
	s_cbranch_execz .LBB13_225
; %bb.222:
	v_mov_b32_e32 v16, 0x44
	v_lshl_add_u32 v20, v0, 2, v16
	s_mov_b64 s[12:13], 0
	v_pk_mov_b32 v[16:17], v[0:1], v[0:1] op_sel:[0,1]
.LBB13_223:                             ; =>This Inner Loop Header: Depth=1
	v_add_co_u32_e32 v16, vcc, 1, v16
	v_addc_co_u32_e32 v17, vcc, 0, v17, vcc
	v_cmp_eq_u32_e32 vcc, 1, v16
	s_waitcnt vmcnt(1)
	v_cndmask_b32_e32 v22, v2, v3, vcc
	v_cmp_lt_u32_e32 vcc, 2, v16
	v_cmp_eq_u32_e64 s[6:7], 2, v16
	v_cndmask_b32_e64 v22, v22, v4, s[6:7]
	s_or_b64 s[12:13], vcc, s[12:13]
	v_cmp_eq_u32_e32 vcc, 3, v16
	v_cndmask_b32_e32 v22, v22, v5, vcc
	v_cmp_eq_u32_e32 vcc, 4, v16
	v_cndmask_b32_e32 v22, v22, v6, vcc
	;; [unrolled: 2-line block ×6, first 2 shown]
	v_cmp_eq_u32_e32 vcc, 9, v16
	ds_read_b32 v21, v20
	v_cndmask_b32_e32 v22, v22, v11, vcc
	v_cmp_eq_u32_e32 vcc, 10, v16
	v_cndmask_b32_e32 v22, v22, v12, vcc
	v_cmp_eq_u32_e32 vcc, 11, v16
	;; [unrolled: 2-line block ×4, first 2 shown]
	s_waitcnt vmcnt(0)
	v_cndmask_b32_e32 v22, v22, v15, vcc
	v_add_u32_e32 v20, 4, v20
	s_waitcnt lgkmcnt(0)
	v_fmac_f32_e32 v19, v22, v21
	s_andn2_b64 exec, exec, s[12:13]
	s_cbranch_execnz .LBB13_223
; %bb.224:
	s_or_b64 exec, exec, s[12:13]
.LBB13_225:
	s_or_b64 exec, exec, s[10:11]
	v_mov_b32_e32 v6, 0
	ds_read_b32 v6, v6 offset:16
	s_waitcnt lgkmcnt(0)
	v_mul_f32_e32 v6, v19, v6
.LBB13_226:
	s_or_b64 exec, exec, s[8:9]
	v_cmp_gt_u32_e64 s[6:7], 5, v0
	s_waitcnt vmcnt(9)
	ds_write_b32 v61, v7
	s_waitcnt lgkmcnt(0)
	; wave barrier
	s_waitcnt lgkmcnt(0)
	s_and_saveexec_b64 s[10:11], s[6:7]
	s_cbranch_execz .LBB13_236
; %bb.227:
	s_and_b64 vcc, exec, s[0:1]
	s_cbranch_vccnz .LBB13_229
; %bb.228:
	v_cmp_eq_u32_e32 vcc, 1, v0
	s_waitcnt vmcnt(1)
	v_cndmask_b32_e32 v16, v2, v3, vcc
	v_cmp_eq_u32_e32 vcc, 2, v0
	v_cndmask_b32_e32 v16, v16, v4, vcc
	v_cmp_eq_u32_e32 vcc, 3, v0
	v_cndmask_b32_e32 v16, v16, v5, vcc
	v_cmp_eq_u32_e32 vcc, 4, v0
	v_cndmask_b32_e32 v16, v16, v6, vcc
	v_cmp_eq_u32_e32 vcc, 5, v0
	v_cndmask_b32_e32 v16, v16, v7, vcc
	v_cmp_eq_u32_e32 vcc, 6, v0
	v_cndmask_b32_e32 v16, v16, v8, vcc
	v_cmp_eq_u32_e32 vcc, 7, v0
	v_cndmask_b32_e32 v16, v16, v9, vcc
	v_cmp_eq_u32_e32 vcc, 8, v0
	v_cndmask_b32_e32 v16, v16, v10, vcc
	v_cmp_eq_u32_e32 vcc, 9, v0
	v_cndmask_b32_e32 v16, v16, v11, vcc
	v_cmp_eq_u32_e32 vcc, 10, v0
	ds_read_b32 v17, v61
	v_cndmask_b32_e32 v16, v16, v12, vcc
	v_cmp_eq_u32_e32 vcc, 11, v0
	v_cndmask_b32_e32 v16, v16, v13, vcc
	v_cmp_eq_u32_e32 vcc, 12, v0
	v_cndmask_b32_e32 v16, v16, v14, vcc
	v_cmp_eq_u32_e32 vcc, 13, v0
	s_waitcnt vmcnt(0)
	v_cndmask_b32_e32 v16, v16, v15, vcc
	s_waitcnt lgkmcnt(0)
	v_mul_f32_e32 v19, v16, v17
	s_cbranch_execz .LBB13_230
	s_branch .LBB13_231
.LBB13_229:
                                        ; implicit-def: $vgpr19
.LBB13_230:
	ds_read_b32 v19, v61
.LBB13_231:
	v_cmp_ne_u32_e32 vcc, 4, v0
	s_and_saveexec_b64 s[12:13], vcc
	s_cbranch_execz .LBB13_235
; %bb.232:
	v_mov_b32_e32 v16, 0x44
	v_lshl_add_u32 v20, v0, 2, v16
	s_mov_b64 s[14:15], 0
	v_pk_mov_b32 v[16:17], v[0:1], v[0:1] op_sel:[0,1]
.LBB13_233:                             ; =>This Inner Loop Header: Depth=1
	v_add_co_u32_e32 v16, vcc, 1, v16
	v_addc_co_u32_e32 v17, vcc, 0, v17, vcc
	v_cmp_eq_u32_e32 vcc, 1, v16
	s_waitcnt vmcnt(1)
	v_cndmask_b32_e32 v22, v2, v3, vcc
	v_cmp_lt_u32_e32 vcc, 3, v16
	v_cmp_eq_u32_e64 s[8:9], 2, v16
	v_cndmask_b32_e64 v22, v22, v4, s[8:9]
	s_or_b64 s[14:15], vcc, s[14:15]
	v_cmp_eq_u32_e32 vcc, 3, v16
	v_cndmask_b32_e32 v22, v22, v5, vcc
	v_cmp_eq_u32_e32 vcc, 4, v16
	v_cndmask_b32_e32 v22, v22, v6, vcc
	;; [unrolled: 2-line block ×6, first 2 shown]
	v_cmp_eq_u32_e32 vcc, 9, v16
	ds_read_b32 v21, v20
	v_cndmask_b32_e32 v22, v22, v11, vcc
	v_cmp_eq_u32_e32 vcc, 10, v16
	v_cndmask_b32_e32 v22, v22, v12, vcc
	v_cmp_eq_u32_e32 vcc, 11, v16
	;; [unrolled: 2-line block ×4, first 2 shown]
	s_waitcnt vmcnt(0)
	v_cndmask_b32_e32 v22, v22, v15, vcc
	v_add_u32_e32 v20, 4, v20
	s_waitcnt lgkmcnt(0)
	v_fmac_f32_e32 v19, v22, v21
	s_andn2_b64 exec, exec, s[14:15]
	s_cbranch_execnz .LBB13_233
; %bb.234:
	s_or_b64 exec, exec, s[14:15]
.LBB13_235:
	s_or_b64 exec, exec, s[12:13]
	v_mov_b32_e32 v7, 0
	ds_read_b32 v7, v7 offset:20
	s_waitcnt lgkmcnt(0)
	v_mul_f32_e32 v7, v19, v7
.LBB13_236:
	s_or_b64 exec, exec, s[10:11]
	v_cmp_gt_u32_e32 vcc, 6, v0
	s_waitcnt vmcnt(8)
	ds_write_b32 v61, v8
	s_waitcnt lgkmcnt(0)
	; wave barrier
	s_waitcnt lgkmcnt(0)
	s_and_saveexec_b64 s[10:11], vcc
	s_cbranch_execz .LBB13_246
; %bb.237:
	s_and_b64 vcc, exec, s[0:1]
	s_cbranch_vccnz .LBB13_239
; %bb.238:
	v_cmp_eq_u32_e32 vcc, 1, v0
	s_waitcnt vmcnt(1)
	v_cndmask_b32_e32 v16, v2, v3, vcc
	v_cmp_eq_u32_e32 vcc, 2, v0
	v_cndmask_b32_e32 v16, v16, v4, vcc
	v_cmp_eq_u32_e32 vcc, 3, v0
	;; [unrolled: 2-line block ×9, first 2 shown]
	ds_read_b32 v17, v61
	v_cndmask_b32_e32 v16, v16, v12, vcc
	v_cmp_eq_u32_e32 vcc, 11, v0
	v_cndmask_b32_e32 v16, v16, v13, vcc
	v_cmp_eq_u32_e32 vcc, 12, v0
	;; [unrolled: 2-line block ×3, first 2 shown]
	s_waitcnt vmcnt(0)
	v_cndmask_b32_e32 v16, v16, v15, vcc
	s_waitcnt lgkmcnt(0)
	v_mul_f32_e32 v19, v16, v17
	s_cbranch_execz .LBB13_240
	s_branch .LBB13_241
.LBB13_239:
                                        ; implicit-def: $vgpr19
.LBB13_240:
	ds_read_b32 v19, v61
.LBB13_241:
	v_cmp_ne_u32_e32 vcc, 5, v0
	s_and_saveexec_b64 s[12:13], vcc
	s_cbranch_execz .LBB13_245
; %bb.242:
	v_mov_b32_e32 v16, 0x44
	v_lshl_add_u32 v20, v0, 2, v16
	s_mov_b64 s[14:15], 0
	v_pk_mov_b32 v[16:17], v[0:1], v[0:1] op_sel:[0,1]
.LBB13_243:                             ; =>This Inner Loop Header: Depth=1
	v_add_co_u32_e32 v16, vcc, 1, v16
	v_addc_co_u32_e32 v17, vcc, 0, v17, vcc
	v_cmp_eq_u32_e32 vcc, 1, v16
	s_waitcnt vmcnt(1)
	v_cndmask_b32_e32 v22, v2, v3, vcc
	v_cmp_lt_u32_e32 vcc, 4, v16
	v_cmp_eq_u32_e64 s[8:9], 2, v16
	v_cndmask_b32_e64 v22, v22, v4, s[8:9]
	s_or_b64 s[14:15], vcc, s[14:15]
	v_cmp_eq_u32_e32 vcc, 3, v16
	v_cndmask_b32_e32 v22, v22, v5, vcc
	v_cmp_eq_u32_e32 vcc, 4, v16
	v_cndmask_b32_e32 v22, v22, v6, vcc
	;; [unrolled: 2-line block ×6, first 2 shown]
	v_cmp_eq_u32_e32 vcc, 9, v16
	ds_read_b32 v21, v20
	v_cndmask_b32_e32 v22, v22, v11, vcc
	v_cmp_eq_u32_e32 vcc, 10, v16
	v_cndmask_b32_e32 v22, v22, v12, vcc
	v_cmp_eq_u32_e32 vcc, 11, v16
	;; [unrolled: 2-line block ×4, first 2 shown]
	s_waitcnt vmcnt(0)
	v_cndmask_b32_e32 v22, v22, v15, vcc
	v_add_u32_e32 v20, 4, v20
	s_waitcnt lgkmcnt(0)
	v_fmac_f32_e32 v19, v22, v21
	s_andn2_b64 exec, exec, s[14:15]
	s_cbranch_execnz .LBB13_243
; %bb.244:
	s_or_b64 exec, exec, s[14:15]
.LBB13_245:
	s_or_b64 exec, exec, s[12:13]
	v_mov_b32_e32 v8, 0
	ds_read_b32 v8, v8 offset:24
	s_waitcnt lgkmcnt(0)
	v_mul_f32_e32 v8, v19, v8
.LBB13_246:
	s_or_b64 exec, exec, s[10:11]
	v_cmp_gt_u32_e64 s[8:9], 7, v0
	s_waitcnt vmcnt(7)
	ds_write_b32 v61, v9
	s_waitcnt lgkmcnt(0)
	; wave barrier
	s_waitcnt lgkmcnt(0)
	s_and_saveexec_b64 s[12:13], s[8:9]
	s_cbranch_execz .LBB13_256
; %bb.247:
	s_and_b64 vcc, exec, s[0:1]
	s_cbranch_vccnz .LBB13_249
; %bb.248:
	v_cmp_eq_u32_e32 vcc, 1, v0
	s_waitcnt vmcnt(1)
	v_cndmask_b32_e32 v16, v2, v3, vcc
	v_cmp_eq_u32_e32 vcc, 2, v0
	v_cndmask_b32_e32 v16, v16, v4, vcc
	v_cmp_eq_u32_e32 vcc, 3, v0
	;; [unrolled: 2-line block ×9, first 2 shown]
	ds_read_b32 v17, v61
	v_cndmask_b32_e32 v16, v16, v12, vcc
	v_cmp_eq_u32_e32 vcc, 11, v0
	v_cndmask_b32_e32 v16, v16, v13, vcc
	v_cmp_eq_u32_e32 vcc, 12, v0
	;; [unrolled: 2-line block ×3, first 2 shown]
	s_waitcnt vmcnt(0)
	v_cndmask_b32_e32 v16, v16, v15, vcc
	s_waitcnt lgkmcnt(0)
	v_mul_f32_e32 v19, v16, v17
	s_cbranch_execz .LBB13_250
	s_branch .LBB13_251
.LBB13_249:
                                        ; implicit-def: $vgpr19
.LBB13_250:
	ds_read_b32 v19, v61
.LBB13_251:
	v_cmp_ne_u32_e32 vcc, 6, v0
	s_and_saveexec_b64 s[14:15], vcc
	s_cbranch_execz .LBB13_255
; %bb.252:
	v_mov_b32_e32 v16, 0x44
	v_lshl_add_u32 v20, v0, 2, v16
	s_mov_b64 s[16:17], 0
	v_pk_mov_b32 v[16:17], v[0:1], v[0:1] op_sel:[0,1]
.LBB13_253:                             ; =>This Inner Loop Header: Depth=1
	v_add_co_u32_e32 v16, vcc, 1, v16
	v_addc_co_u32_e32 v17, vcc, 0, v17, vcc
	v_cmp_eq_u32_e32 vcc, 1, v16
	s_waitcnt vmcnt(1)
	v_cndmask_b32_e32 v22, v2, v3, vcc
	v_cmp_lt_u32_e32 vcc, 5, v16
	v_cmp_eq_u32_e64 s[10:11], 2, v16
	v_cndmask_b32_e64 v22, v22, v4, s[10:11]
	s_or_b64 s[16:17], vcc, s[16:17]
	v_cmp_eq_u32_e32 vcc, 3, v16
	v_cndmask_b32_e32 v22, v22, v5, vcc
	v_cmp_eq_u32_e32 vcc, 4, v16
	v_cndmask_b32_e32 v22, v22, v6, vcc
	;; [unrolled: 2-line block ×6, first 2 shown]
	v_cmp_eq_u32_e32 vcc, 9, v16
	ds_read_b32 v21, v20
	v_cndmask_b32_e32 v22, v22, v11, vcc
	v_cmp_eq_u32_e32 vcc, 10, v16
	v_cndmask_b32_e32 v22, v22, v12, vcc
	v_cmp_eq_u32_e32 vcc, 11, v16
	v_cndmask_b32_e32 v22, v22, v13, vcc
	v_cmp_eq_u32_e32 vcc, 12, v16
	v_cndmask_b32_e32 v22, v22, v14, vcc
	v_cmp_eq_u32_e32 vcc, 13, v16
	s_waitcnt vmcnt(0)
	v_cndmask_b32_e32 v22, v22, v15, vcc
	v_add_u32_e32 v20, 4, v20
	s_waitcnt lgkmcnt(0)
	v_fmac_f32_e32 v19, v22, v21
	s_andn2_b64 exec, exec, s[16:17]
	s_cbranch_execnz .LBB13_253
; %bb.254:
	s_or_b64 exec, exec, s[16:17]
.LBB13_255:
	s_or_b64 exec, exec, s[14:15]
	v_mov_b32_e32 v9, 0
	ds_read_b32 v9, v9 offset:28
	s_waitcnt lgkmcnt(0)
	v_mul_f32_e32 v9, v19, v9
.LBB13_256:
	s_or_b64 exec, exec, s[12:13]
	v_cmp_gt_u32_e32 vcc, 8, v0
	s_waitcnt vmcnt(6)
	ds_write_b32 v61, v10
	s_waitcnt lgkmcnt(0)
	; wave barrier
	s_waitcnt lgkmcnt(0)
	s_and_saveexec_b64 s[12:13], vcc
	s_cbranch_execz .LBB13_266
; %bb.257:
	s_and_b64 vcc, exec, s[0:1]
	s_cbranch_vccnz .LBB13_259
; %bb.258:
	v_cmp_eq_u32_e32 vcc, 1, v0
	s_waitcnt vmcnt(1)
	v_cndmask_b32_e32 v16, v2, v3, vcc
	v_cmp_eq_u32_e32 vcc, 2, v0
	v_cndmask_b32_e32 v16, v16, v4, vcc
	v_cmp_eq_u32_e32 vcc, 3, v0
	;; [unrolled: 2-line block ×9, first 2 shown]
	ds_read_b32 v17, v61
	v_cndmask_b32_e32 v16, v16, v12, vcc
	v_cmp_eq_u32_e32 vcc, 11, v0
	v_cndmask_b32_e32 v16, v16, v13, vcc
	v_cmp_eq_u32_e32 vcc, 12, v0
	;; [unrolled: 2-line block ×3, first 2 shown]
	s_waitcnt vmcnt(0)
	v_cndmask_b32_e32 v16, v16, v15, vcc
	s_waitcnt lgkmcnt(0)
	v_mul_f32_e32 v19, v16, v17
	s_cbranch_execz .LBB13_260
	s_branch .LBB13_261
.LBB13_259:
                                        ; implicit-def: $vgpr19
.LBB13_260:
	ds_read_b32 v19, v61
.LBB13_261:
	v_cmp_ne_u32_e32 vcc, 7, v0
	s_and_saveexec_b64 s[14:15], vcc
	s_cbranch_execz .LBB13_265
; %bb.262:
	v_mov_b32_e32 v16, 0x44
	v_lshl_add_u32 v20, v0, 2, v16
	s_mov_b64 s[16:17], 0
	v_pk_mov_b32 v[16:17], v[0:1], v[0:1] op_sel:[0,1]
.LBB13_263:                             ; =>This Inner Loop Header: Depth=1
	v_add_co_u32_e32 v16, vcc, 1, v16
	v_addc_co_u32_e32 v17, vcc, 0, v17, vcc
	v_cmp_eq_u32_e32 vcc, 1, v16
	s_waitcnt vmcnt(1)
	v_cndmask_b32_e32 v22, v2, v3, vcc
	v_cmp_lt_u32_e32 vcc, 6, v16
	v_cmp_eq_u32_e64 s[10:11], 2, v16
	v_cndmask_b32_e64 v22, v22, v4, s[10:11]
	s_or_b64 s[16:17], vcc, s[16:17]
	v_cmp_eq_u32_e32 vcc, 3, v16
	v_cndmask_b32_e32 v22, v22, v5, vcc
	v_cmp_eq_u32_e32 vcc, 4, v16
	v_cndmask_b32_e32 v22, v22, v6, vcc
	;; [unrolled: 2-line block ×6, first 2 shown]
	v_cmp_eq_u32_e32 vcc, 9, v16
	ds_read_b32 v21, v20
	v_cndmask_b32_e32 v22, v22, v11, vcc
	v_cmp_eq_u32_e32 vcc, 10, v16
	v_cndmask_b32_e32 v22, v22, v12, vcc
	v_cmp_eq_u32_e32 vcc, 11, v16
	;; [unrolled: 2-line block ×4, first 2 shown]
	s_waitcnt vmcnt(0)
	v_cndmask_b32_e32 v22, v22, v15, vcc
	v_add_u32_e32 v20, 4, v20
	s_waitcnt lgkmcnt(0)
	v_fmac_f32_e32 v19, v22, v21
	s_andn2_b64 exec, exec, s[16:17]
	s_cbranch_execnz .LBB13_263
; %bb.264:
	s_or_b64 exec, exec, s[16:17]
.LBB13_265:
	s_or_b64 exec, exec, s[14:15]
	v_mov_b32_e32 v10, 0
	ds_read_b32 v10, v10 offset:32
	s_waitcnt lgkmcnt(0)
	v_mul_f32_e32 v10, v19, v10
.LBB13_266:
	s_or_b64 exec, exec, s[12:13]
	v_cmp_gt_u32_e32 vcc, 9, v0
	s_waitcnt vmcnt(5)
	ds_write_b32 v61, v11
	s_waitcnt lgkmcnt(0)
	; wave barrier
	s_waitcnt lgkmcnt(0)
	s_and_saveexec_b64 s[10:11], vcc
	s_cbranch_execz .LBB13_288
; %bb.267:
	s_and_b64 vcc, exec, s[0:1]
	s_cbranch_vccnz .LBB13_269
; %bb.268:
	v_cmp_eq_u32_e32 vcc, 1, v0
	s_waitcnt vmcnt(1)
	v_cndmask_b32_e32 v16, v2, v3, vcc
	v_cmp_eq_u32_e32 vcc, 2, v0
	v_cndmask_b32_e32 v16, v16, v4, vcc
	v_cmp_eq_u32_e32 vcc, 3, v0
	;; [unrolled: 2-line block ×9, first 2 shown]
	ds_read_b32 v17, v61
	v_cndmask_b32_e32 v16, v16, v12, vcc
	v_cmp_eq_u32_e32 vcc, 11, v0
	v_cndmask_b32_e32 v16, v16, v13, vcc
	v_cmp_eq_u32_e32 vcc, 12, v0
	;; [unrolled: 2-line block ×3, first 2 shown]
	s_waitcnt vmcnt(0)
	v_cndmask_b32_e32 v16, v16, v15, vcc
	s_waitcnt lgkmcnt(0)
	v_mul_f32_e32 v16, v16, v17
	s_cbranch_execz .LBB13_270
	s_branch .LBB13_271
.LBB13_269:
                                        ; implicit-def: $vgpr16
.LBB13_270:
	ds_read_b32 v16, v61
.LBB13_271:
	v_cmp_ne_u32_e32 vcc, 8, v0
	s_and_saveexec_b64 s[12:13], vcc
	s_cbranch_execz .LBB13_287
; %bb.272:
	v_cmp_eq_u32_e32 vcc, 1, v18
	s_waitcnt vmcnt(1)
	v_cndmask_b32_e32 v17, v2, v3, vcc
	v_cmp_eq_u32_e32 vcc, 2, v18
	v_cndmask_b32_e32 v17, v17, v4, vcc
	v_cmp_eq_u32_e32 vcc, 3, v18
	;; [unrolled: 2-line block ×9, first 2 shown]
	ds_read_b32 v19, v61 offset:4
	v_cndmask_b32_e32 v17, v17, v12, vcc
	v_cmp_eq_u32_e32 vcc, 11, v18
	v_cndmask_b32_e32 v17, v17, v13, vcc
	v_cmp_eq_u32_e32 vcc, 12, v18
	;; [unrolled: 2-line block ×3, first 2 shown]
	s_waitcnt vmcnt(0)
	v_cndmask_b32_e32 v17, v17, v15, vcc
	s_waitcnt lgkmcnt(0)
	v_fmac_f32_e32 v16, v17, v19
	s_and_saveexec_b64 s[14:15], s[8:9]
	s_cbranch_execz .LBB13_286
; %bb.273:
	v_add_u32_e32 v17, 2, v0
	v_cmp_eq_u32_e32 vcc, 1, v17
	v_cndmask_b32_e32 v18, v2, v3, vcc
	v_cmp_eq_u32_e32 vcc, 2, v17
	v_cndmask_b32_e32 v18, v18, v4, vcc
	;; [unrolled: 2-line block ×9, first 2 shown]
	v_cmp_eq_u32_e32 vcc, 10, v17
	ds_read_b32 v19, v61 offset:8
	v_cndmask_b32_e32 v18, v18, v12, vcc
	v_cmp_eq_u32_e32 vcc, 11, v17
	v_cndmask_b32_e32 v18, v18, v13, vcc
	v_cmp_eq_u32_e32 vcc, 12, v17
	;; [unrolled: 2-line block ×3, first 2 shown]
	v_cndmask_b32_e32 v17, v18, v15, vcc
	s_waitcnt lgkmcnt(0)
	v_fmac_f32_e32 v16, v17, v19
	v_cmp_ne_u32_e32 vcc, 6, v0
	s_and_saveexec_b64 s[8:9], vcc
	s_cbranch_execz .LBB13_285
; %bb.274:
	v_add_u32_e32 v17, 3, v0
	v_cmp_eq_u32_e32 vcc, 1, v17
	v_cndmask_b32_e32 v18, v2, v3, vcc
	v_cmp_eq_u32_e32 vcc, 2, v17
	v_cndmask_b32_e32 v18, v18, v4, vcc
	;; [unrolled: 2-line block ×9, first 2 shown]
	v_cmp_eq_u32_e32 vcc, 10, v17
	ds_read_b32 v19, v61 offset:12
	v_cndmask_b32_e32 v18, v18, v12, vcc
	v_cmp_eq_u32_e32 vcc, 11, v17
	v_cndmask_b32_e32 v18, v18, v13, vcc
	v_cmp_eq_u32_e32 vcc, 12, v17
	;; [unrolled: 2-line block ×3, first 2 shown]
	v_cndmask_b32_e32 v17, v18, v15, vcc
	s_waitcnt lgkmcnt(0)
	v_fmac_f32_e32 v16, v17, v19
	s_and_saveexec_b64 s[16:17], s[6:7]
	s_cbranch_execz .LBB13_284
; %bb.275:
	v_add_u32_e32 v17, 4, v0
	v_cmp_eq_u32_e32 vcc, 1, v17
	v_cndmask_b32_e32 v18, v2, v3, vcc
	v_cmp_eq_u32_e32 vcc, 2, v17
	v_cndmask_b32_e32 v18, v18, v4, vcc
	;; [unrolled: 2-line block ×9, first 2 shown]
	v_cmp_eq_u32_e32 vcc, 10, v17
	ds_read_b32 v19, v61 offset:16
	v_cndmask_b32_e32 v18, v18, v12, vcc
	v_cmp_eq_u32_e32 vcc, 11, v17
	v_cndmask_b32_e32 v18, v18, v13, vcc
	v_cmp_eq_u32_e32 vcc, 12, v17
	;; [unrolled: 2-line block ×3, first 2 shown]
	v_cndmask_b32_e32 v17, v18, v15, vcc
	s_waitcnt lgkmcnt(0)
	v_fmac_f32_e32 v16, v17, v19
	v_cmp_ne_u32_e32 vcc, 4, v0
	s_and_saveexec_b64 s[6:7], vcc
	s_cbranch_execz .LBB13_283
; %bb.276:
	v_add_u32_e32 v17, 5, v0
	v_cmp_eq_u32_e32 vcc, 1, v17
	v_cndmask_b32_e32 v18, v2, v3, vcc
	v_cmp_eq_u32_e32 vcc, 2, v17
	v_cndmask_b32_e32 v18, v18, v4, vcc
	;; [unrolled: 2-line block ×9, first 2 shown]
	v_cmp_eq_u32_e32 vcc, 10, v17
	ds_read_b32 v19, v61 offset:20
	v_cndmask_b32_e32 v18, v18, v12, vcc
	v_cmp_eq_u32_e32 vcc, 11, v17
	v_cndmask_b32_e32 v18, v18, v13, vcc
	v_cmp_eq_u32_e32 vcc, 12, v17
	;; [unrolled: 2-line block ×3, first 2 shown]
	v_cndmask_b32_e32 v17, v18, v15, vcc
	s_waitcnt lgkmcnt(0)
	v_fmac_f32_e32 v16, v17, v19
	s_and_saveexec_b64 s[18:19], s[4:5]
	s_cbranch_execz .LBB13_282
; %bb.277:
	v_add_u32_e32 v17, 6, v0
	v_cmp_eq_u32_e32 vcc, 1, v17
	v_cndmask_b32_e32 v18, v2, v3, vcc
	v_cmp_eq_u32_e32 vcc, 2, v17
	v_cndmask_b32_e32 v18, v18, v4, vcc
	;; [unrolled: 2-line block ×9, first 2 shown]
	v_cmp_eq_u32_e32 vcc, 10, v17
	ds_read_b32 v19, v61 offset:24
	v_cndmask_b32_e32 v18, v18, v12, vcc
	v_cmp_eq_u32_e32 vcc, 11, v17
	v_cndmask_b32_e32 v18, v18, v13, vcc
	v_cmp_eq_u32_e32 vcc, 12, v17
	;; [unrolled: 2-line block ×3, first 2 shown]
	v_cndmask_b32_e32 v17, v18, v15, vcc
	s_waitcnt lgkmcnt(0)
	v_fmac_f32_e32 v16, v17, v19
	v_cmp_ne_u32_e32 vcc, 2, v0
	s_and_saveexec_b64 s[4:5], vcc
	s_cbranch_execz .LBB13_281
; %bb.278:
	v_add_u32_e32 v17, 7, v0
	v_cmp_eq_u32_e32 vcc, 1, v17
	v_cndmask_b32_e32 v18, v2, v3, vcc
	v_cmp_eq_u32_e32 vcc, 2, v17
	v_cndmask_b32_e32 v18, v18, v4, vcc
	;; [unrolled: 2-line block ×9, first 2 shown]
	v_cmp_eq_u32_e32 vcc, 10, v17
	ds_read_b32 v18, v61 offset:28
	v_cndmask_b32_e32 v11, v11, v12, vcc
	v_cmp_eq_u32_e32 vcc, 11, v17
	v_cndmask_b32_e32 v11, v11, v13, vcc
	v_cmp_eq_u32_e32 vcc, 12, v17
	v_cndmask_b32_e32 v11, v11, v14, vcc
	v_cmp_eq_u32_e32 vcc, 13, v17
	v_cndmask_b32_e32 v11, v11, v15, vcc
	s_waitcnt lgkmcnt(0)
	v_fmac_f32_e32 v16, v11, v18
	s_and_saveexec_b64 s[20:21], s[2:3]
	s_cbranch_execz .LBB13_280
; %bb.279:
	ds_read_b32 v11, v61 offset:32
	s_waitcnt lgkmcnt(0)
	v_fmac_f32_e32 v16, v10, v11
.LBB13_280:
	s_or_b64 exec, exec, s[20:21]
.LBB13_281:
	s_or_b64 exec, exec, s[4:5]
.LBB13_282:
	s_or_b64 exec, exec, s[18:19]
.LBB13_283:
	s_or_b64 exec, exec, s[6:7]
.LBB13_284:
	s_or_b64 exec, exec, s[16:17]
.LBB13_285:
	s_or_b64 exec, exec, s[8:9]
.LBB13_286:
	s_or_b64 exec, exec, s[14:15]
.LBB13_287:
	s_or_b64 exec, exec, s[12:13]
	v_mov_b32_e32 v11, 0
	ds_read_b32 v11, v11 offset:36
	s_waitcnt lgkmcnt(0)
	v_mul_f32_e32 v11, v16, v11
.LBB13_288:
	s_or_b64 exec, exec, s[10:11]
	v_cmp_gt_u32_e32 vcc, 10, v0
	s_waitcnt vmcnt(4)
	ds_write_b32 v61, v12
	s_waitcnt lgkmcnt(0)
	; wave barrier
	s_waitcnt lgkmcnt(0)
	s_and_saveexec_b64 s[4:5], vcc
	s_cbranch_execz .LBB13_298
; %bb.289:
	s_and_b64 vcc, exec, s[0:1]
	s_cbranch_vccnz .LBB13_291
; %bb.290:
	v_cmp_eq_u32_e32 vcc, 1, v0
	s_waitcnt vmcnt(1)
	v_cndmask_b32_e32 v16, v2, v3, vcc
	v_cmp_eq_u32_e32 vcc, 2, v0
	v_cndmask_b32_e32 v16, v16, v4, vcc
	v_cmp_eq_u32_e32 vcc, 3, v0
	;; [unrolled: 2-line block ×9, first 2 shown]
	ds_read_b32 v17, v61
	v_cndmask_b32_e32 v16, v16, v12, vcc
	v_cmp_eq_u32_e32 vcc, 11, v0
	v_cndmask_b32_e32 v16, v16, v13, vcc
	v_cmp_eq_u32_e32 vcc, 12, v0
	;; [unrolled: 2-line block ×3, first 2 shown]
	s_waitcnt vmcnt(0)
	v_cndmask_b32_e32 v16, v16, v15, vcc
	s_waitcnt lgkmcnt(0)
	v_mul_f32_e32 v18, v16, v17
	s_cbranch_execz .LBB13_292
	s_branch .LBB13_293
.LBB13_291:
                                        ; implicit-def: $vgpr18
.LBB13_292:
	ds_read_b32 v18, v61
.LBB13_293:
	v_cmp_ne_u32_e32 vcc, 9, v0
	s_and_saveexec_b64 s[6:7], vcc
	s_cbranch_execz .LBB13_297
; %bb.294:
	v_mov_b32_e32 v16, 0x44
	v_lshl_add_u32 v19, v0, 2, v16
	s_mov_b64 s[8:9], 0
	v_pk_mov_b32 v[16:17], v[0:1], v[0:1] op_sel:[0,1]
.LBB13_295:                             ; =>This Inner Loop Header: Depth=1
	v_add_co_u32_e32 v16, vcc, 1, v16
	v_addc_co_u32_e32 v17, vcc, 0, v17, vcc
	v_cmp_eq_u32_e32 vcc, 1, v16
	s_waitcnt vmcnt(1)
	v_cndmask_b32_e32 v21, v2, v3, vcc
	v_cmp_lt_u32_e32 vcc, 8, v16
	v_cmp_eq_u32_e64 s[2:3], 2, v16
	v_cndmask_b32_e64 v21, v21, v4, s[2:3]
	s_or_b64 s[8:9], vcc, s[8:9]
	v_cmp_eq_u32_e32 vcc, 3, v16
	v_cndmask_b32_e32 v21, v21, v5, vcc
	v_cmp_eq_u32_e32 vcc, 4, v16
	v_cndmask_b32_e32 v21, v21, v6, vcc
	;; [unrolled: 2-line block ×6, first 2 shown]
	v_cmp_eq_u32_e32 vcc, 9, v16
	ds_read_b32 v20, v19
	v_cndmask_b32_e32 v21, v21, v11, vcc
	v_cmp_eq_u32_e32 vcc, 10, v16
	v_cndmask_b32_e32 v21, v21, v12, vcc
	v_cmp_eq_u32_e32 vcc, 11, v16
	;; [unrolled: 2-line block ×4, first 2 shown]
	s_waitcnt vmcnt(0)
	v_cndmask_b32_e32 v21, v21, v15, vcc
	v_add_u32_e32 v19, 4, v19
	s_waitcnt lgkmcnt(0)
	v_fmac_f32_e32 v18, v21, v20
	s_andn2_b64 exec, exec, s[8:9]
	s_cbranch_execnz .LBB13_295
; %bb.296:
	s_or_b64 exec, exec, s[8:9]
.LBB13_297:
	s_or_b64 exec, exec, s[6:7]
	v_mov_b32_e32 v12, 0
	ds_read_b32 v12, v12 offset:40
	s_waitcnt lgkmcnt(0)
	v_mul_f32_e32 v12, v18, v12
.LBB13_298:
	s_or_b64 exec, exec, s[4:5]
	v_cmp_gt_u32_e32 vcc, 11, v0
	s_waitcnt vmcnt(3)
	ds_write_b32 v61, v13
	s_waitcnt lgkmcnt(0)
	; wave barrier
	s_waitcnt lgkmcnt(0)
	s_and_saveexec_b64 s[4:5], vcc
	s_cbranch_execz .LBB13_308
; %bb.299:
	s_and_b64 vcc, exec, s[0:1]
	s_cbranch_vccnz .LBB13_301
; %bb.300:
	v_cmp_eq_u32_e32 vcc, 1, v0
	s_waitcnt vmcnt(1)
	v_cndmask_b32_e32 v16, v2, v3, vcc
	v_cmp_eq_u32_e32 vcc, 2, v0
	v_cndmask_b32_e32 v16, v16, v4, vcc
	v_cmp_eq_u32_e32 vcc, 3, v0
	;; [unrolled: 2-line block ×9, first 2 shown]
	ds_read_b32 v17, v61
	v_cndmask_b32_e32 v16, v16, v12, vcc
	v_cmp_eq_u32_e32 vcc, 11, v0
	v_cndmask_b32_e32 v16, v16, v13, vcc
	v_cmp_eq_u32_e32 vcc, 12, v0
	;; [unrolled: 2-line block ×3, first 2 shown]
	s_waitcnt vmcnt(0)
	v_cndmask_b32_e32 v16, v16, v15, vcc
	s_waitcnt lgkmcnt(0)
	v_mul_f32_e32 v18, v16, v17
	s_cbranch_execz .LBB13_302
	s_branch .LBB13_303
.LBB13_301:
                                        ; implicit-def: $vgpr18
.LBB13_302:
	ds_read_b32 v18, v61
.LBB13_303:
	v_cmp_ne_u32_e32 vcc, 10, v0
	s_and_saveexec_b64 s[6:7], vcc
	s_cbranch_execz .LBB13_307
; %bb.304:
	v_mov_b32_e32 v16, 0x44
	v_lshl_add_u32 v19, v0, 2, v16
	s_mov_b64 s[8:9], 0
	v_pk_mov_b32 v[16:17], v[0:1], v[0:1] op_sel:[0,1]
.LBB13_305:                             ; =>This Inner Loop Header: Depth=1
	v_add_co_u32_e32 v16, vcc, 1, v16
	v_addc_co_u32_e32 v17, vcc, 0, v17, vcc
	v_cmp_eq_u32_e32 vcc, 1, v16
	s_waitcnt vmcnt(1)
	v_cndmask_b32_e32 v21, v2, v3, vcc
	v_cmp_lt_u32_e32 vcc, 9, v16
	v_cmp_eq_u32_e64 s[2:3], 2, v16
	v_cndmask_b32_e64 v21, v21, v4, s[2:3]
	s_or_b64 s[8:9], vcc, s[8:9]
	v_cmp_eq_u32_e32 vcc, 3, v16
	v_cndmask_b32_e32 v21, v21, v5, vcc
	v_cmp_eq_u32_e32 vcc, 4, v16
	v_cndmask_b32_e32 v21, v21, v6, vcc
	;; [unrolled: 2-line block ×6, first 2 shown]
	v_cmp_eq_u32_e32 vcc, 9, v16
	ds_read_b32 v20, v19
	v_cndmask_b32_e32 v21, v21, v11, vcc
	v_cmp_eq_u32_e32 vcc, 10, v16
	v_cndmask_b32_e32 v21, v21, v12, vcc
	v_cmp_eq_u32_e32 vcc, 11, v16
	v_cndmask_b32_e32 v21, v21, v13, vcc
	v_cmp_eq_u32_e32 vcc, 12, v16
	v_cndmask_b32_e32 v21, v21, v14, vcc
	v_cmp_eq_u32_e32 vcc, 13, v16
	s_waitcnt vmcnt(0)
	v_cndmask_b32_e32 v21, v21, v15, vcc
	v_add_u32_e32 v19, 4, v19
	s_waitcnt lgkmcnt(0)
	v_fmac_f32_e32 v18, v21, v20
	s_andn2_b64 exec, exec, s[8:9]
	s_cbranch_execnz .LBB13_305
; %bb.306:
	s_or_b64 exec, exec, s[8:9]
.LBB13_307:
	s_or_b64 exec, exec, s[6:7]
	v_mov_b32_e32 v13, 0
	ds_read_b32 v13, v13 offset:44
	s_waitcnt lgkmcnt(0)
	v_mul_f32_e32 v13, v18, v13
.LBB13_308:
	s_or_b64 exec, exec, s[4:5]
	v_cmp_gt_u32_e64 s[2:3], 12, v0
	s_waitcnt vmcnt(2)
	ds_write_b32 v61, v14
	s_waitcnt lgkmcnt(0)
	; wave barrier
	s_waitcnt lgkmcnt(0)
	s_and_saveexec_b64 s[6:7], s[2:3]
	s_cbranch_execz .LBB13_318
; %bb.309:
	s_and_b64 vcc, exec, s[0:1]
	s_cbranch_vccnz .LBB13_311
; %bb.310:
	v_cmp_eq_u32_e32 vcc, 1, v0
	s_waitcnt vmcnt(1)
	v_cndmask_b32_e32 v16, v2, v3, vcc
	v_cmp_eq_u32_e32 vcc, 2, v0
	v_cndmask_b32_e32 v16, v16, v4, vcc
	v_cmp_eq_u32_e32 vcc, 3, v0
	;; [unrolled: 2-line block ×9, first 2 shown]
	ds_read_b32 v17, v61
	v_cndmask_b32_e32 v16, v16, v12, vcc
	v_cmp_eq_u32_e32 vcc, 11, v0
	v_cndmask_b32_e32 v16, v16, v13, vcc
	v_cmp_eq_u32_e32 vcc, 12, v0
	;; [unrolled: 2-line block ×3, first 2 shown]
	s_waitcnt vmcnt(0)
	v_cndmask_b32_e32 v16, v16, v15, vcc
	s_waitcnt lgkmcnt(0)
	v_mul_f32_e32 v18, v16, v17
	s_cbranch_execz .LBB13_312
	s_branch .LBB13_313
.LBB13_311:
                                        ; implicit-def: $vgpr18
.LBB13_312:
	ds_read_b32 v18, v61
.LBB13_313:
	v_cmp_ne_u32_e32 vcc, 11, v0
	s_and_saveexec_b64 s[8:9], vcc
	s_cbranch_execz .LBB13_317
; %bb.314:
	v_mov_b32_e32 v16, 0x44
	v_lshl_add_u32 v19, v0, 2, v16
	s_mov_b64 s[10:11], 0
	v_pk_mov_b32 v[16:17], v[0:1], v[0:1] op_sel:[0,1]
.LBB13_315:                             ; =>This Inner Loop Header: Depth=1
	v_add_co_u32_e32 v16, vcc, 1, v16
	v_addc_co_u32_e32 v17, vcc, 0, v17, vcc
	v_cmp_eq_u32_e32 vcc, 1, v16
	s_waitcnt vmcnt(1)
	v_cndmask_b32_e32 v21, v2, v3, vcc
	v_cmp_lt_u32_e32 vcc, 10, v16
	v_cmp_eq_u32_e64 s[4:5], 2, v16
	v_cndmask_b32_e64 v21, v21, v4, s[4:5]
	s_or_b64 s[10:11], vcc, s[10:11]
	v_cmp_eq_u32_e32 vcc, 3, v16
	v_cndmask_b32_e32 v21, v21, v5, vcc
	v_cmp_eq_u32_e32 vcc, 4, v16
	v_cndmask_b32_e32 v21, v21, v6, vcc
	;; [unrolled: 2-line block ×6, first 2 shown]
	v_cmp_eq_u32_e32 vcc, 9, v16
	ds_read_b32 v20, v19
	v_cndmask_b32_e32 v21, v21, v11, vcc
	v_cmp_eq_u32_e32 vcc, 10, v16
	v_cndmask_b32_e32 v21, v21, v12, vcc
	v_cmp_eq_u32_e32 vcc, 11, v16
	;; [unrolled: 2-line block ×4, first 2 shown]
	s_waitcnt vmcnt(0)
	v_cndmask_b32_e32 v21, v21, v15, vcc
	v_add_u32_e32 v19, 4, v19
	s_waitcnt lgkmcnt(0)
	v_fmac_f32_e32 v18, v21, v20
	s_andn2_b64 exec, exec, s[10:11]
	s_cbranch_execnz .LBB13_315
; %bb.316:
	s_or_b64 exec, exec, s[10:11]
.LBB13_317:
	s_or_b64 exec, exec, s[8:9]
	v_mov_b32_e32 v14, 0
	ds_read_b32 v14, v14 offset:48
	s_waitcnt lgkmcnt(0)
	v_mul_f32_e32 v14, v18, v14
.LBB13_318:
	s_or_b64 exec, exec, s[6:7]
	v_cmp_ne_u32_e32 vcc, 13, v0
	s_waitcnt vmcnt(0)
	ds_write_b32 v61, v15
	s_waitcnt lgkmcnt(0)
	; wave barrier
	s_waitcnt lgkmcnt(0)
	s_and_saveexec_b64 s[4:5], vcc
	s_cbranch_execz .LBB13_328
; %bb.319:
	s_and_b64 vcc, exec, s[0:1]
	s_cbranch_vccnz .LBB13_321
; %bb.320:
	v_cmp_eq_u32_e32 vcc, 1, v0
	v_cndmask_b32_e32 v16, v2, v3, vcc
	v_cmp_eq_u32_e32 vcc, 2, v0
	v_cndmask_b32_e32 v16, v16, v4, vcc
	;; [unrolled: 2-line block ×9, first 2 shown]
	v_cmp_eq_u32_e32 vcc, 10, v0
	ds_read_b32 v17, v61
	v_cndmask_b32_e32 v16, v16, v12, vcc
	v_cmp_eq_u32_e32 vcc, 11, v0
	v_cndmask_b32_e32 v16, v16, v13, vcc
	v_cmp_eq_u32_e32 vcc, 12, v0
	;; [unrolled: 2-line block ×3, first 2 shown]
	v_cndmask_b32_e32 v16, v16, v15, vcc
	s_waitcnt lgkmcnt(0)
	v_mul_f32_e32 v16, v16, v17
	s_cbranch_execz .LBB13_322
	s_branch .LBB13_323
.LBB13_321:
                                        ; implicit-def: $vgpr16
.LBB13_322:
	ds_read_b32 v16, v61
.LBB13_323:
	s_and_saveexec_b64 s[6:7], s[2:3]
	s_cbranch_execz .LBB13_327
; %bb.324:
	v_mov_b32_e32 v17, 0x44
	v_lshl_add_u32 v17, v0, 2, v17
	s_mov_b64 s[2:3], 0
.LBB13_325:                             ; =>This Inner Loop Header: Depth=1
	v_add_co_u32_e32 v0, vcc, 1, v0
	v_addc_co_u32_e32 v1, vcc, 0, v1, vcc
	v_cmp_eq_u32_e32 vcc, 1, v0
	v_cndmask_b32_e32 v19, v2, v3, vcc
	v_cmp_lt_u32_e32 vcc, 11, v0
	v_cmp_eq_u32_e64 s[0:1], 2, v0
	v_cndmask_b32_e64 v19, v19, v4, s[0:1]
	s_or_b64 s[2:3], vcc, s[2:3]
	v_cmp_eq_u32_e32 vcc, 3, v0
	v_cndmask_b32_e32 v19, v19, v5, vcc
	v_cmp_eq_u32_e32 vcc, 4, v0
	v_cndmask_b32_e32 v19, v19, v6, vcc
	v_cmp_eq_u32_e32 vcc, 5, v0
	v_cndmask_b32_e32 v19, v19, v7, vcc
	v_cmp_eq_u32_e32 vcc, 6, v0
	v_cndmask_b32_e32 v19, v19, v8, vcc
	v_cmp_eq_u32_e32 vcc, 7, v0
	v_cndmask_b32_e32 v19, v19, v9, vcc
	v_cmp_eq_u32_e32 vcc, 8, v0
	v_cndmask_b32_e32 v19, v19, v10, vcc
	v_cmp_eq_u32_e32 vcc, 9, v0
	ds_read_b32 v18, v17
	v_cndmask_b32_e32 v19, v19, v11, vcc
	v_cmp_eq_u32_e32 vcc, 10, v0
	v_cndmask_b32_e32 v19, v19, v12, vcc
	v_cmp_eq_u32_e32 vcc, 11, v0
	v_cndmask_b32_e32 v19, v19, v13, vcc
	v_cmp_eq_u32_e32 vcc, 12, v0
	v_cndmask_b32_e32 v19, v19, v14, vcc
	v_cmp_eq_u32_e32 vcc, 13, v0
	v_cndmask_b32_e32 v19, v19, v15, vcc
	v_add_u32_e32 v17, 4, v17
	s_waitcnt lgkmcnt(0)
	v_fmac_f32_e32 v16, v19, v18
	s_andn2_b64 exec, exec, s[2:3]
	s_cbranch_execnz .LBB13_325
; %bb.326:
	s_or_b64 exec, exec, s[2:3]
.LBB13_327:
	s_or_b64 exec, exec, s[6:7]
	v_mov_b32_e32 v0, 0
	ds_read_b32 v0, v0 offset:52
	s_waitcnt lgkmcnt(0)
	v_mul_f32_e32 v15, v16, v0
.LBB13_328:
	s_or_b64 exec, exec, s[4:5]
	v_pk_mov_b32 v[30:31], v[16:17], v[16:17] op_sel:[0,1]
	v_pk_mov_b32 v[28:29], v[14:15], v[14:15] op_sel:[0,1]
	;; [unrolled: 1-line block ×8, first 2 shown]
.LBB13_329:
	global_store_dword v[32:33], v16, off
	global_store_dword v[34:35], v17, off
	;; [unrolled: 1-line block ×14, first 2 shown]
.LBB13_330:
	s_endpgm
	.section	.rodata,"a",@progbits
	.p2align	6, 0x0
	.amdhsa_kernel _ZN9rocsolver6v33100L18trti2_kernel_smallILi14EfPfEEv13rocblas_fill_17rocblas_diagonal_T1_iil
		.amdhsa_group_segment_fixed_size 120
		.amdhsa_private_segment_fixed_size 0
		.amdhsa_kernarg_size 32
		.amdhsa_user_sgpr_count 6
		.amdhsa_user_sgpr_private_segment_buffer 1
		.amdhsa_user_sgpr_dispatch_ptr 0
		.amdhsa_user_sgpr_queue_ptr 0
		.amdhsa_user_sgpr_kernarg_segment_ptr 1
		.amdhsa_user_sgpr_dispatch_id 0
		.amdhsa_user_sgpr_flat_scratch_init 0
		.amdhsa_user_sgpr_kernarg_preload_length 0
		.amdhsa_user_sgpr_kernarg_preload_offset 0
		.amdhsa_user_sgpr_private_segment_size 0
		.amdhsa_uses_dynamic_stack 0
		.amdhsa_system_sgpr_private_segment_wavefront_offset 0
		.amdhsa_system_sgpr_workgroup_id_x 1
		.amdhsa_system_sgpr_workgroup_id_y 0
		.amdhsa_system_sgpr_workgroup_id_z 0
		.amdhsa_system_sgpr_workgroup_info 0
		.amdhsa_system_vgpr_workitem_id 0
		.amdhsa_next_free_vgpr 78
		.amdhsa_next_free_sgpr 44
		.amdhsa_accum_offset 80
		.amdhsa_reserve_vcc 1
		.amdhsa_reserve_flat_scratch 0
		.amdhsa_float_round_mode_32 0
		.amdhsa_float_round_mode_16_64 0
		.amdhsa_float_denorm_mode_32 3
		.amdhsa_float_denorm_mode_16_64 3
		.amdhsa_dx10_clamp 1
		.amdhsa_ieee_mode 1
		.amdhsa_fp16_overflow 0
		.amdhsa_tg_split 0
		.amdhsa_exception_fp_ieee_invalid_op 0
		.amdhsa_exception_fp_denorm_src 0
		.amdhsa_exception_fp_ieee_div_zero 0
		.amdhsa_exception_fp_ieee_overflow 0
		.amdhsa_exception_fp_ieee_underflow 0
		.amdhsa_exception_fp_ieee_inexact 0
		.amdhsa_exception_int_div_zero 0
	.end_amdhsa_kernel
	.section	.text._ZN9rocsolver6v33100L18trti2_kernel_smallILi14EfPfEEv13rocblas_fill_17rocblas_diagonal_T1_iil,"axG",@progbits,_ZN9rocsolver6v33100L18trti2_kernel_smallILi14EfPfEEv13rocblas_fill_17rocblas_diagonal_T1_iil,comdat
.Lfunc_end13:
	.size	_ZN9rocsolver6v33100L18trti2_kernel_smallILi14EfPfEEv13rocblas_fill_17rocblas_diagonal_T1_iil, .Lfunc_end13-_ZN9rocsolver6v33100L18trti2_kernel_smallILi14EfPfEEv13rocblas_fill_17rocblas_diagonal_T1_iil
                                        ; -- End function
	.section	.AMDGPU.csdata,"",@progbits
; Kernel info:
; codeLenInByte = 15452
; NumSgprs: 48
; NumVgprs: 78
; NumAgprs: 0
; TotalNumVgprs: 78
; ScratchSize: 0
; MemoryBound: 0
; FloatMode: 240
; IeeeMode: 1
; LDSByteSize: 120 bytes/workgroup (compile time only)
; SGPRBlocks: 5
; VGPRBlocks: 9
; NumSGPRsForWavesPerEU: 48
; NumVGPRsForWavesPerEU: 78
; AccumOffset: 80
; Occupancy: 6
; WaveLimiterHint : 0
; COMPUTE_PGM_RSRC2:SCRATCH_EN: 0
; COMPUTE_PGM_RSRC2:USER_SGPR: 6
; COMPUTE_PGM_RSRC2:TRAP_HANDLER: 0
; COMPUTE_PGM_RSRC2:TGID_X_EN: 1
; COMPUTE_PGM_RSRC2:TGID_Y_EN: 0
; COMPUTE_PGM_RSRC2:TGID_Z_EN: 0
; COMPUTE_PGM_RSRC2:TIDIG_COMP_CNT: 0
; COMPUTE_PGM_RSRC3_GFX90A:ACCUM_OFFSET: 19
; COMPUTE_PGM_RSRC3_GFX90A:TG_SPLIT: 0
	.section	.text._ZN9rocsolver6v33100L18trti2_kernel_smallILi15EfPfEEv13rocblas_fill_17rocblas_diagonal_T1_iil,"axG",@progbits,_ZN9rocsolver6v33100L18trti2_kernel_smallILi15EfPfEEv13rocblas_fill_17rocblas_diagonal_T1_iil,comdat
	.globl	_ZN9rocsolver6v33100L18trti2_kernel_smallILi15EfPfEEv13rocblas_fill_17rocblas_diagonal_T1_iil ; -- Begin function _ZN9rocsolver6v33100L18trti2_kernel_smallILi15EfPfEEv13rocblas_fill_17rocblas_diagonal_T1_iil
	.p2align	8
	.type	_ZN9rocsolver6v33100L18trti2_kernel_smallILi15EfPfEEv13rocblas_fill_17rocblas_diagonal_T1_iil,@function
_ZN9rocsolver6v33100L18trti2_kernel_smallILi15EfPfEEv13rocblas_fill_17rocblas_diagonal_T1_iil: ; @_ZN9rocsolver6v33100L18trti2_kernel_smallILi15EfPfEEv13rocblas_fill_17rocblas_diagonal_T1_iil
; %bb.0:
	v_cmp_gt_u32_e32 vcc, 15, v0
	s_and_saveexec_b64 s[0:1], vcc
	s_cbranch_execz .LBB14_356
; %bb.1:
	s_load_dwordx8 s[36:43], s[4:5], 0x0
	s_ashr_i32 s2, s6, 31
	v_lshlrev_b32_e32 v17, 2, v0
	s_waitcnt lgkmcnt(0)
	s_mul_i32 s3, s6, s43
	s_mul_hi_u32 s4, s6, s42
	s_add_i32 s3, s4, s3
	s_mul_i32 s2, s2, s42
	s_add_i32 s3, s3, s2
	s_mul_i32 s2, s6, s42
	s_ashr_i32 s1, s40, 31
	s_lshl_b64 s[2:3], s[2:3], 2
	s_mov_b32 s0, s40
	s_add_u32 s2, s38, s2
	s_addc_u32 s3, s39, s3
	s_lshl_b64 s[0:1], s[0:1], 2
	s_add_u32 s0, s2, s0
	s_addc_u32 s1, s3, s1
	v_mov_b32_e32 v1, s1
	v_add_co_u32_e32 v34, vcc, s0, v17
	s_ashr_i32 s3, s41, 31
	s_mov_b32 s2, s41
	v_addc_co_u32_e32 v35, vcc, 0, v1, vcc
	s_lshl_b64 s[2:3], s[2:3], 2
	v_add_co_u32_e32 v36, vcc, s2, v34
	s_add_i32 s2, s41, s41
	v_add_u32_e32 v2, s2, v0
	v_mov_b32_e32 v1, s3
	v_ashrrev_i32_e32 v3, 31, v2
	v_addc_co_u32_e32 v37, vcc, v35, v1, vcc
	v_lshlrev_b64 v[4:5], 2, v[2:3]
	v_add_u32_e32 v2, s41, v2
	v_mov_b32_e32 v1, s1
	v_add_co_u32_e32 v38, vcc, s0, v4
	v_ashrrev_i32_e32 v3, 31, v2
	v_addc_co_u32_e32 v39, vcc, v1, v5, vcc
	v_lshlrev_b64 v[4:5], 2, v[2:3]
	v_add_u32_e32 v2, s41, v2
	v_add_co_u32_e32 v40, vcc, s0, v4
	v_ashrrev_i32_e32 v3, 31, v2
	v_addc_co_u32_e32 v41, vcc, v1, v5, vcc
	v_lshlrev_b64 v[4:5], 2, v[2:3]
	v_add_u32_e32 v2, s41, v2
	v_add_co_u32_e32 v42, vcc, s0, v4
	v_ashrrev_i32_e32 v3, 31, v2
	v_addc_co_u32_e32 v43, vcc, v1, v5, vcc
	v_lshlrev_b64 v[4:5], 2, v[2:3]
	v_add_u32_e32 v2, s41, v2
	v_add_co_u32_e32 v44, vcc, s0, v4
	v_ashrrev_i32_e32 v3, 31, v2
	v_addc_co_u32_e32 v45, vcc, v1, v5, vcc
	v_lshlrev_b64 v[4:5], 2, v[2:3]
	v_add_u32_e32 v2, s41, v2
	v_add_co_u32_e32 v46, vcc, s0, v4
	v_ashrrev_i32_e32 v3, 31, v2
	v_addc_co_u32_e32 v47, vcc, v1, v5, vcc
	v_lshlrev_b64 v[4:5], 2, v[2:3]
	v_add_u32_e32 v2, s41, v2
	v_add_co_u32_e32 v48, vcc, s0, v4
	v_ashrrev_i32_e32 v3, 31, v2
	v_addc_co_u32_e32 v49, vcc, v1, v5, vcc
	v_lshlrev_b64 v[4:5], 2, v[2:3]
	v_add_u32_e32 v12, s41, v2
	v_add_co_u32_e32 v50, vcc, s0, v4
	v_ashrrev_i32_e32 v13, 31, v12
	v_addc_co_u32_e32 v51, vcc, v1, v5, vcc
	v_lshlrev_b64 v[14:15], 2, v[12:13]
	v_add_u32_e32 v12, s41, v12
	v_add_co_u32_e32 v52, vcc, s0, v14
	v_ashrrev_i32_e32 v13, 31, v12
	v_addc_co_u32_e32 v53, vcc, v1, v15, vcc
	v_lshlrev_b64 v[14:15], 2, v[12:13]
	v_add_u32_e32 v12, s41, v12
	v_add_co_u32_e32 v54, vcc, s0, v14
	v_ashrrev_i32_e32 v13, 31, v12
	v_addc_co_u32_e32 v55, vcc, v1, v15, vcc
	v_lshlrev_b64 v[14:15], 2, v[12:13]
	v_add_u32_e32 v12, s41, v12
	v_add_co_u32_e32 v56, vcc, s0, v14
	v_ashrrev_i32_e32 v13, 31, v12
	v_addc_co_u32_e32 v57, vcc, v1, v15, vcc
	v_lshlrev_b64 v[14:15], 2, v[12:13]
	v_add_u32_e32 v18, s41, v12
	global_load_dword v3, v[36:37], off
	global_load_dword v4, v[38:39], off
	;; [unrolled: 1-line block ×8, first 2 shown]
	v_add_co_u32_e32 v58, vcc, s0, v14
	v_ashrrev_i32_e32 v19, 31, v18
	v_addc_co_u32_e32 v59, vcc, v1, v15, vcc
	v_lshlrev_b64 v[12:13], 2, v[18:19]
	v_add_co_u32_e32 v60, vcc, s0, v12
	v_add_u32_e32 v18, s41, v18
	v_addc_co_u32_e32 v61, vcc, v1, v13, vcc
	global_load_dword v11, v[52:53], off
	global_load_dword v12, v[54:55], off
	;; [unrolled: 1-line block ×5, first 2 shown]
	v_ashrrev_i32_e32 v19, 31, v18
	v_lshlrev_b64 v[18:19], 2, v[18:19]
	v_add_co_u32_e32 v62, vcc, s0, v18
	v_addc_co_u32_e32 v63, vcc, v1, v19, vcc
	global_load_dword v2, v17, s[0:1]
	global_load_dword v16, v[62:63], off
	s_cmpk_lg_i32 s37, 0x84
	v_mov_b32_e32 v1, 0
	s_cselect_b64 s[30:31], -1, 0
	s_cmpk_eq_i32 s37, 0x84
	v_mov_b32_e32 v18, -1.0
	v_cmp_eq_u32_e64 s[0:1], 0, v0
	s_cbranch_scc1 .LBB14_3
; %bb.2:
	v_cmp_eq_u32_e64 s[2:3], 1, v0
	s_waitcnt vmcnt(1)
	v_cndmask_b32_e64 v18, v2, v3, s[2:3]
	v_cmp_eq_u32_e64 s[4:5], 2, v0
	v_cndmask_b32_e64 v18, v18, v4, s[4:5]
	v_cmp_eq_u32_e64 s[6:7], 3, v0
	;; [unrolled: 2-line block ×13, first 2 shown]
	s_waitcnt vmcnt(0)
	v_cndmask_b32_e64 v18, v18, v16, s[28:29]
	v_div_scale_f32 v19, s[34:35], v18, v18, 1.0
	v_rcp_f32_e32 v20, v19
	v_fma_f32 v21, -v19, v20, 1.0
	v_fmac_f32_e32 v20, v21, v20
	v_div_scale_f32 v21, vcc, 1.0, v18, 1.0
	v_mul_f32_e32 v22, v21, v20
	v_fma_f32 v23, -v19, v22, v21
	v_fmac_f32_e32 v22, v23, v20
	v_fma_f32 v19, -v19, v22, v21
	v_div_fmas_f32 v19, v19, v20, v22
	v_div_fixup_f32 v18, v19, v18, 1.0
	v_cndmask_b32_e64 v16, v16, v18, s[28:29]
	v_cndmask_b32_e64 v15, v15, v18, s[26:27]
	;; [unrolled: 1-line block ×15, first 2 shown]
	v_xor_b32_e32 v18, 0x80000000, v18
.LBB14_3:
	s_cmpk_eq_i32 s36, 0x79
	v_add_u32_e32 v65, 64, v17
	ds_write_b32 v17, v18
	s_cbranch_scc1 .LBB14_7
; %bb.4:
	s_waitcnt vmcnt(0)
	v_pk_mov_b32 v[32:33], v[16:17], v[16:17] op_sel:[0,1]
	v_cmp_eq_u32_e64 s[0:1], 14, v0
	v_pk_mov_b32 v[30:31], v[14:15], v[14:15] op_sel:[0,1]
	v_pk_mov_b32 v[28:29], v[12:13], v[12:13] op_sel:[0,1]
	;; [unrolled: 1-line block ×7, first 2 shown]
	ds_write_b32 v65, v15
	s_waitcnt lgkmcnt(0)
	; wave barrier
	s_waitcnt lgkmcnt(0)
	s_and_saveexec_b64 s[2:3], s[0:1]
	s_cbranch_execz .LBB14_11
; %bb.5:
	s_and_b64 vcc, exec, s[30:31]
	s_cbranch_vccz .LBB14_8
; %bb.6:
	v_cmp_eq_u32_e32 vcc, 1, v0
	v_cndmask_b32_e32 v17, v2, v3, vcc
	v_cmp_eq_u32_e32 vcc, 2, v0
	v_cndmask_b32_e32 v17, v17, v4, vcc
	;; [unrolled: 2-line block ×10, first 2 shown]
	v_cmp_eq_u32_e32 vcc, 11, v0
	ds_read_b32 v18, v65
	v_cndmask_b32_e32 v17, v17, v13, vcc
	v_cmp_eq_u32_e32 vcc, 12, v0
	v_cndmask_b32_e32 v17, v17, v14, vcc
	v_cmp_eq_u32_e32 vcc, 13, v0
	;; [unrolled: 2-line block ×3, first 2 shown]
	v_cndmask_b32_e32 v17, v17, v16, vcc
	s_waitcnt lgkmcnt(0)
	v_mul_f32_e32 v17, v17, v18
	s_cbranch_execz .LBB14_9
	s_branch .LBB14_10
.LBB14_7:
                                        ; implicit-def: $vgpr18_vgpr19_vgpr20_vgpr21_vgpr22_vgpr23_vgpr24_vgpr25_vgpr26_vgpr27_vgpr28_vgpr29_vgpr30_vgpr31_vgpr32_vgpr33
	s_cbranch_execnz .LBB14_210
	s_branch .LBB14_355
.LBB14_8:
                                        ; implicit-def: $vgpr17
.LBB14_9:
	ds_read_b32 v17, v65
.LBB14_10:
	v_mov_b32_e32 v18, 0
	ds_read_b32 v22, v18 offset:52
	v_mov_b32_e32 v18, v2
	v_mov_b32_e32 v19, v3
	;; [unrolled: 1-line block ×4, first 2 shown]
	s_waitcnt lgkmcnt(0)
	v_mul_f32_e32 v31, v17, v22
	v_mov_b32_e32 v22, v6
	v_mov_b32_e32 v23, v7
	;; [unrolled: 1-line block ×10, first 2 shown]
.LBB14_11:
	s_or_b64 exec, exec, s[2:3]
	v_cmp_lt_u32_e64 s[2:3], 12, v0
	ds_write_b32 v65, v30
	s_waitcnt lgkmcnt(0)
	; wave barrier
	s_waitcnt lgkmcnt(0)
	s_and_saveexec_b64 s[4:5], s[2:3]
	s_cbranch_execz .LBB14_17
; %bb.12:
	s_andn2_b64 vcc, exec, s[30:31]
	s_cbranch_vccnz .LBB14_14
; %bb.13:
	v_cmp_eq_u32_e32 vcc, 1, v0
	v_cndmask_b32_e32 v17, v18, v19, vcc
	v_cmp_eq_u32_e32 vcc, 2, v0
	v_cndmask_b32_e32 v17, v17, v20, vcc
	;; [unrolled: 2-line block ×12, first 2 shown]
	ds_read_b32 v30, v65
	v_cmp_eq_u32_e32 vcc, 13, v0
	v_cndmask_b32_e32 v17, v17, v31, vcc
	v_cmp_eq_u32_e32 vcc, 14, v0
	v_cndmask_b32_e32 v17, v17, v32, vcc
	s_waitcnt lgkmcnt(0)
	v_mul_f32_e32 v17, v17, v30
	s_cbranch_execz .LBB14_15
	s_branch .LBB14_16
.LBB14_14:
                                        ; implicit-def: $vgpr17
.LBB14_15:
	ds_read_b32 v17, v65
.LBB14_16:
	v_mov_b32_e32 v30, 0
	ds_read2_b32 v[66:67], v30 offset0:12 offset1:29
	s_waitcnt lgkmcnt(0)
	v_fma_f32 v30, v31, v67, v17
	v_cndmask_b32_e64 v17, v17, v30, s[0:1]
	v_mul_f32_e32 v30, v17, v66
.LBB14_17:
	s_or_b64 exec, exec, s[4:5]
	v_cmp_lt_u32_e64 s[0:1], 11, v0
	ds_write_b32 v65, v29
	s_waitcnt lgkmcnt(0)
	; wave barrier
	s_waitcnt lgkmcnt(0)
	s_and_saveexec_b64 s[4:5], s[0:1]
	s_cbranch_execz .LBB14_33
; %bb.18:
	s_andn2_b64 vcc, exec, s[30:31]
	s_cbranch_vccnz .LBB14_20
; %bb.19:
	v_cmp_eq_u32_e32 vcc, 1, v0
	v_cndmask_b32_e32 v17, v18, v19, vcc
	v_cmp_eq_u32_e32 vcc, 2, v0
	v_cndmask_b32_e32 v17, v17, v20, vcc
	;; [unrolled: 2-line block ×10, first 2 shown]
	v_cmp_eq_u32_e32 vcc, 11, v0
	ds_read_b32 v64, v65
	v_cndmask_b32_e32 v17, v17, v29, vcc
	v_cmp_eq_u32_e32 vcc, 12, v0
	v_cndmask_b32_e32 v17, v17, v30, vcc
	v_cmp_eq_u32_e32 vcc, 13, v0
	;; [unrolled: 2-line block ×3, first 2 shown]
	v_cndmask_b32_e32 v17, v17, v32, vcc
	s_waitcnt lgkmcnt(0)
	v_mul_f32_e32 v67, v17, v64
	s_cbranch_execz .LBB14_21
	s_branch .LBB14_22
.LBB14_20:
                                        ; implicit-def: $vgpr67
.LBB14_21:
	ds_read_b32 v67, v65
.LBB14_22:
	s_and_saveexec_b64 s[6:7], s[2:3]
	s_cbranch_execz .LBB14_32
; %bb.23:
	v_add_u32_e32 v64, -13, v0
	v_add_u32_e32 v17, -12, v0
	v_cmp_lt_u32_e32 vcc, 6, v64
	v_mov_b32_e32 v64, 12
	s_and_saveexec_b64 s[2:3], vcc
	s_cbranch_execz .LBB14_27
; %bb.24:
	v_and_b32_e32 v64, -8, v17
	v_sub_u32_e32 v66, 0, v64
	s_mov_b64 s[8:9], 19
	s_movk_i32 s12, 0x70
	s_mov_b64 s[10:11], 0
.LBB14_25:                              ; =>This Inner Loop Header: Depth=1
	s_add_i32 s13, s8, -7
	v_mov_b32_e32 v72, s12
	s_set_gpr_idx_on s13, gpr_idx(SRC0)
	v_mov_b32_e32 v64, v18
	s_set_gpr_idx_off
	ds_read_b128 v[68:71], v72
	ds_read_b128 v[72:75], v72 offset:16
	s_add_i32 s13, s8, -6
	s_waitcnt lgkmcnt(1)
	v_fmac_f32_e32 v67, v64, v68
	s_set_gpr_idx_on s13, gpr_idx(SRC0)
	v_mov_b32_e32 v64, v18
	s_set_gpr_idx_off
	s_add_i32 s13, s8, -5
	v_fmac_f32_e32 v67, v64, v69
	s_set_gpr_idx_on s13, gpr_idx(SRC0)
	v_mov_b32_e32 v64, v18
	s_set_gpr_idx_off
	s_add_i32 s13, s8, -4
	;; [unrolled: 5-line block ×4, first 2 shown]
	s_waitcnt lgkmcnt(0)
	v_fmac_f32_e32 v67, v64, v72
	s_set_gpr_idx_on s13, gpr_idx(SRC0)
	v_mov_b32_e32 v64, v18
	s_set_gpr_idx_off
	s_add_i32 s13, s8, -1
	v_fmac_f32_e32 v67, v64, v73
	s_set_gpr_idx_on s13, gpr_idx(SRC0)
	v_mov_b32_e32 v64, v18
	s_set_gpr_idx_off
	v_fmac_f32_e32 v67, v64, v74
	s_set_gpr_idx_on s8, gpr_idx(SRC0)
	v_mov_b32_e32 v64, v18
	s_set_gpr_idx_off
	s_add_u32 s8, s8, 8
	v_fmac_f32_e32 v67, v64, v75
	v_add_u32_e32 v64, s8, v66
	s_addc_u32 s9, s9, 0
	s_add_i32 s12, s12, 32
	v_cmp_eq_u32_e32 vcc, 19, v64
	s_add_i32 s13, s8, -7
	s_or_b64 s[10:11], vcc, s[10:11]
	v_mov_b32_e32 v64, s13
	s_andn2_b64 exec, exec, s[10:11]
	s_cbranch_execnz .LBB14_25
; %bb.26:
	s_or_b64 exec, exec, s[10:11]
.LBB14_27:
	s_or_b64 exec, exec, s[2:3]
	v_and_b32_e32 v33, 7, v17
	v_cmp_ne_u32_e32 vcc, 0, v33
	s_and_saveexec_b64 s[8:9], vcc
	s_cbranch_execz .LBB14_31
; %bb.28:
	v_lshl_add_u32 v66, v64, 2, 64
	v_mov_b32_e32 v17, 0
	s_mov_b64 s[10:11], 0
.LBB14_29:                              ; =>This Inner Loop Header: Depth=1
	v_cmp_eq_u32_e32 vcc, 1, v64
	v_cndmask_b32_e32 v68, v18, v19, vcc
	v_add_u32_e32 v33, -1, v33
	v_cmp_eq_u32_e32 vcc, 2, v64
	v_cndmask_b32_e32 v68, v68, v20, vcc
	v_cmp_eq_u32_e32 vcc, 0, v33
	v_cmp_eq_u32_e64 s[2:3], 3, v64
	v_cndmask_b32_e64 v68, v68, v21, s[2:3]
	s_or_b64 s[10:11], vcc, s[10:11]
	v_cmp_eq_u32_e32 vcc, 4, v64
	v_cndmask_b32_e32 v68, v68, v22, vcc
	v_cmp_eq_u32_e32 vcc, 5, v64
	v_cndmask_b32_e32 v68, v68, v23, vcc
	;; [unrolled: 2-line block ×6, first 2 shown]
	v_cmp_eq_u32_e32 vcc, 10, v64
	ds_read_b32 v69, v66
	v_cndmask_b32_e32 v68, v68, v28, vcc
	v_cmp_eq_u32_e32 vcc, 11, v64
	v_cndmask_b32_e32 v68, v68, v29, vcc
	v_cmp_eq_u32_e32 vcc, 12, v64
	;; [unrolled: 2-line block ×4, first 2 shown]
	v_add_co_u32_e64 v64, s[2:3], 1, v64
	v_cndmask_b32_e32 v68, v68, v32, vcc
	v_add_u32_e32 v66, 4, v66
	v_addc_co_u32_e64 v17, s[2:3], 0, v17, s[2:3]
	s_waitcnt lgkmcnt(0)
	v_fmac_f32_e32 v67, v68, v69
	s_andn2_b64 exec, exec, s[10:11]
	s_cbranch_execnz .LBB14_29
; %bb.30:
	s_or_b64 exec, exec, s[10:11]
.LBB14_31:
	s_or_b64 exec, exec, s[8:9]
.LBB14_32:
	s_or_b64 exec, exec, s[6:7]
	v_mov_b32_e32 v17, 0
	ds_read_b32 v17, v17 offset:44
	s_waitcnt lgkmcnt(0)
	v_mul_f32_e32 v29, v67, v17
.LBB14_33:
	s_or_b64 exec, exec, s[4:5]
	v_cmp_lt_u32_e64 s[2:3], 10, v0
	ds_write_b32 v65, v28
	s_waitcnt lgkmcnt(0)
	; wave barrier
	s_waitcnt lgkmcnt(0)
	s_and_saveexec_b64 s[4:5], s[2:3]
	s_cbranch_execz .LBB14_49
; %bb.34:
	s_andn2_b64 vcc, exec, s[30:31]
	s_cbranch_vccnz .LBB14_36
; %bb.35:
	v_cmp_eq_u32_e32 vcc, 1, v0
	v_cndmask_b32_e32 v17, v18, v19, vcc
	v_cmp_eq_u32_e32 vcc, 2, v0
	v_cndmask_b32_e32 v17, v17, v20, vcc
	;; [unrolled: 2-line block ×10, first 2 shown]
	v_cmp_eq_u32_e32 vcc, 11, v0
	ds_read_b32 v64, v65
	v_cndmask_b32_e32 v17, v17, v29, vcc
	v_cmp_eq_u32_e32 vcc, 12, v0
	v_cndmask_b32_e32 v17, v17, v30, vcc
	v_cmp_eq_u32_e32 vcc, 13, v0
	;; [unrolled: 2-line block ×3, first 2 shown]
	v_cndmask_b32_e32 v17, v17, v32, vcc
	s_waitcnt lgkmcnt(0)
	v_mul_f32_e32 v67, v17, v64
	s_cbranch_execz .LBB14_37
	s_branch .LBB14_38
.LBB14_36:
                                        ; implicit-def: $vgpr67
.LBB14_37:
	ds_read_b32 v67, v65
.LBB14_38:
	s_and_saveexec_b64 s[6:7], s[0:1]
	s_cbranch_execz .LBB14_48
; %bb.39:
	v_add_u32_e32 v64, -12, v0
	v_add_u32_e32 v17, -11, v0
	v_cmp_lt_u32_e32 vcc, 6, v64
	v_mov_b32_e32 v64, 11
	s_and_saveexec_b64 s[0:1], vcc
	s_cbranch_execz .LBB14_43
; %bb.40:
	v_and_b32_e32 v64, -8, v17
	v_sub_u32_e32 v66, 0, v64
	s_mov_b64 s[8:9], 18
	s_movk_i32 s12, 0x6c
	s_mov_b64 s[10:11], 0
.LBB14_41:                              ; =>This Inner Loop Header: Depth=1
	s_add_i32 s13, s8, -7
	v_mov_b32_e32 v64, s12
	s_add_i32 s14, s8, -6
	s_set_gpr_idx_on s13, gpr_idx(SRC0)
	v_mov_b32_e32 v74, v18
	s_set_gpr_idx_off
	ds_read2_b32 v[68:69], v64 offset1:1
	s_add_i32 s15, s8, -5
	s_set_gpr_idx_on s14, gpr_idx(SRC0)
	v_mov_b32_e32 v75, v18
	s_set_gpr_idx_off
	s_add_i32 s16, s8, -4
	s_set_gpr_idx_on s15, gpr_idx(SRC0)
	v_mov_b32_e32 v76, v18
	s_set_gpr_idx_off
	ds_read2_b32 v[70:71], v64 offset0:2 offset1:3
	s_add_i32 s17, s8, -3
	s_set_gpr_idx_on s16, gpr_idx(SRC0)
	v_mov_b32_e32 v77, v18
	s_set_gpr_idx_off
	s_add_i32 s18, s8, -2
	s_set_gpr_idx_on s17, gpr_idx(SRC0)
	v_mov_b32_e32 v78, v18
	s_set_gpr_idx_off
	ds_read2_b32 v[72:73], v64 offset0:4 offset1:5
	s_add_i32 s19, s8, -1
	s_waitcnt lgkmcnt(2)
	v_fmac_f32_e32 v67, v74, v68
	s_set_gpr_idx_on s18, gpr_idx(SRC0)
	v_mov_b32_e32 v74, v18
	s_set_gpr_idx_off
	v_fmac_f32_e32 v67, v75, v69
	s_set_gpr_idx_on s19, gpr_idx(SRC0)
	v_mov_b32_e32 v75, v18
	s_set_gpr_idx_off
	ds_read2_b32 v[68:69], v64 offset0:6 offset1:7
	s_waitcnt lgkmcnt(2)
	v_fmac_f32_e32 v67, v76, v70
	s_set_gpr_idx_on s8, gpr_idx(SRC0)
	v_mov_b32_e32 v70, v18
	s_set_gpr_idx_off
	v_fmac_f32_e32 v67, v77, v71
	s_add_u32 s8, s8, 8
	s_waitcnt lgkmcnt(1)
	v_fmac_f32_e32 v67, v78, v72
	v_add_u32_e32 v64, s8, v66
	v_fmac_f32_e32 v67, v74, v73
	s_addc_u32 s9, s9, 0
	s_add_i32 s12, s12, 32
	s_add_i32 s13, s8, -7
	v_cmp_eq_u32_e32 vcc, 18, v64
	s_waitcnt lgkmcnt(0)
	v_fmac_f32_e32 v67, v75, v68
	v_mov_b32_e32 v64, s13
	s_or_b64 s[10:11], vcc, s[10:11]
	v_fmac_f32_e32 v67, v70, v69
	s_andn2_b64 exec, exec, s[10:11]
	s_cbranch_execnz .LBB14_41
; %bb.42:
	s_or_b64 exec, exec, s[10:11]
.LBB14_43:
	s_or_b64 exec, exec, s[0:1]
	v_and_b32_e32 v33, 7, v17
	v_cmp_ne_u32_e32 vcc, 0, v33
	s_and_saveexec_b64 s[8:9], vcc
	s_cbranch_execz .LBB14_47
; %bb.44:
	v_lshl_add_u32 v66, v64, 2, 64
	v_mov_b32_e32 v17, 0
	s_mov_b64 s[10:11], 0
.LBB14_45:                              ; =>This Inner Loop Header: Depth=1
	v_cmp_eq_u32_e32 vcc, 1, v64
	v_cndmask_b32_e32 v68, v18, v19, vcc
	v_add_u32_e32 v33, -1, v33
	v_cmp_eq_u32_e32 vcc, 2, v64
	v_cndmask_b32_e32 v68, v68, v20, vcc
	v_cmp_eq_u32_e32 vcc, 0, v33
	v_cmp_eq_u32_e64 s[0:1], 3, v64
	v_cndmask_b32_e64 v68, v68, v21, s[0:1]
	s_or_b64 s[10:11], vcc, s[10:11]
	v_cmp_eq_u32_e32 vcc, 4, v64
	v_cndmask_b32_e32 v68, v68, v22, vcc
	v_cmp_eq_u32_e32 vcc, 5, v64
	v_cndmask_b32_e32 v68, v68, v23, vcc
	;; [unrolled: 2-line block ×6, first 2 shown]
	v_cmp_eq_u32_e32 vcc, 10, v64
	ds_read_b32 v69, v66
	v_cndmask_b32_e32 v68, v68, v28, vcc
	v_cmp_eq_u32_e32 vcc, 11, v64
	v_cndmask_b32_e32 v68, v68, v29, vcc
	v_cmp_eq_u32_e32 vcc, 12, v64
	;; [unrolled: 2-line block ×4, first 2 shown]
	v_add_co_u32_e64 v64, s[0:1], 1, v64
	v_cndmask_b32_e32 v68, v68, v32, vcc
	v_add_u32_e32 v66, 4, v66
	v_addc_co_u32_e64 v17, s[0:1], 0, v17, s[0:1]
	s_waitcnt lgkmcnt(0)
	v_fmac_f32_e32 v67, v68, v69
	s_andn2_b64 exec, exec, s[10:11]
	s_cbranch_execnz .LBB14_45
; %bb.46:
	s_or_b64 exec, exec, s[10:11]
.LBB14_47:
	s_or_b64 exec, exec, s[8:9]
.LBB14_48:
	s_or_b64 exec, exec, s[6:7]
	v_mov_b32_e32 v17, 0
	ds_read_b32 v17, v17 offset:40
	s_waitcnt lgkmcnt(0)
	v_mul_f32_e32 v28, v67, v17
.LBB14_49:
	s_or_b64 exec, exec, s[4:5]
	v_cmp_lt_u32_e64 s[0:1], 9, v0
	ds_write_b32 v65, v27
	s_waitcnt lgkmcnt(0)
	; wave barrier
	s_waitcnt lgkmcnt(0)
	s_and_saveexec_b64 s[4:5], s[0:1]
	s_cbranch_execz .LBB14_65
; %bb.50:
	s_andn2_b64 vcc, exec, s[30:31]
	s_cbranch_vccnz .LBB14_52
; %bb.51:
	v_cmp_eq_u32_e32 vcc, 1, v0
	v_cndmask_b32_e32 v17, v18, v19, vcc
	v_cmp_eq_u32_e32 vcc, 2, v0
	v_cndmask_b32_e32 v17, v17, v20, vcc
	;; [unrolled: 2-line block ×10, first 2 shown]
	v_cmp_eq_u32_e32 vcc, 11, v0
	ds_read_b32 v64, v65
	v_cndmask_b32_e32 v17, v17, v29, vcc
	v_cmp_eq_u32_e32 vcc, 12, v0
	v_cndmask_b32_e32 v17, v17, v30, vcc
	v_cmp_eq_u32_e32 vcc, 13, v0
	;; [unrolled: 2-line block ×3, first 2 shown]
	v_cndmask_b32_e32 v17, v17, v32, vcc
	s_waitcnt lgkmcnt(0)
	v_mul_f32_e32 v67, v17, v64
	s_cbranch_execz .LBB14_53
	s_branch .LBB14_54
.LBB14_52:
                                        ; implicit-def: $vgpr67
.LBB14_53:
	ds_read_b32 v67, v65
.LBB14_54:
	s_and_saveexec_b64 s[6:7], s[2:3]
	s_cbranch_execz .LBB14_64
; %bb.55:
	v_add_u32_e32 v64, -11, v0
	v_add_u32_e32 v17, -10, v0
	v_cmp_lt_u32_e32 vcc, 6, v64
	v_mov_b32_e32 v64, 10
	s_and_saveexec_b64 s[2:3], vcc
	s_cbranch_execz .LBB14_59
; %bb.56:
	v_and_b32_e32 v64, -8, v17
	v_sub_u32_e32 v66, 0, v64
	s_mov_b64 s[8:9], 17
	s_movk_i32 s12, 0x68
	s_mov_b64 s[10:11], 0
.LBB14_57:                              ; =>This Inner Loop Header: Depth=1
	s_add_i32 s13, s8, -7
	v_mov_b32_e32 v72, s12
	s_set_gpr_idx_on s13, gpr_idx(SRC0)
	v_mov_b32_e32 v64, v18
	s_set_gpr_idx_off
	ds_read2_b64 v[68:71], v72 offset1:1
	s_add_i32 s13, s8, -6
	s_waitcnt lgkmcnt(0)
	v_fmac_f32_e32 v67, v64, v68
	s_set_gpr_idx_on s13, gpr_idx(SRC0)
	v_mov_b32_e32 v64, v18
	s_set_gpr_idx_off
	s_add_i32 s13, s8, -5
	v_fmac_f32_e32 v67, v64, v69
	s_set_gpr_idx_on s13, gpr_idx(SRC0)
	v_mov_b32_e32 v64, v18
	s_set_gpr_idx_off
	s_add_i32 s13, s8, -4
	;; [unrolled: 5-line block ×3, first 2 shown]
	v_fmac_f32_e32 v67, v64, v71
	s_set_gpr_idx_on s13, gpr_idx(SRC0)
	v_mov_b32_e32 v64, v18
	s_set_gpr_idx_off
	ds_read2_b64 v[68:71], v72 offset0:2 offset1:3
	s_add_i32 s13, s8, -2
	s_waitcnt lgkmcnt(0)
	v_fmac_f32_e32 v67, v64, v68
	s_set_gpr_idx_on s13, gpr_idx(SRC0)
	v_mov_b32_e32 v64, v18
	s_set_gpr_idx_off
	s_add_i32 s13, s8, -1
	v_fmac_f32_e32 v67, v64, v69
	s_set_gpr_idx_on s13, gpr_idx(SRC0)
	v_mov_b32_e32 v64, v18
	s_set_gpr_idx_off
	v_fmac_f32_e32 v67, v64, v70
	s_set_gpr_idx_on s8, gpr_idx(SRC0)
	v_mov_b32_e32 v64, v18
	s_set_gpr_idx_off
	s_add_u32 s8, s8, 8
	v_fmac_f32_e32 v67, v64, v71
	v_add_u32_e32 v64, s8, v66
	s_addc_u32 s9, s9, 0
	s_add_i32 s12, s12, 32
	v_cmp_eq_u32_e32 vcc, 17, v64
	s_add_i32 s13, s8, -7
	s_or_b64 s[10:11], vcc, s[10:11]
	v_mov_b32_e32 v64, s13
	s_andn2_b64 exec, exec, s[10:11]
	s_cbranch_execnz .LBB14_57
; %bb.58:
	s_or_b64 exec, exec, s[10:11]
.LBB14_59:
	s_or_b64 exec, exec, s[2:3]
	v_and_b32_e32 v33, 7, v17
	v_cmp_ne_u32_e32 vcc, 0, v33
	s_and_saveexec_b64 s[8:9], vcc
	s_cbranch_execz .LBB14_63
; %bb.60:
	v_lshl_add_u32 v66, v64, 2, 64
	v_mov_b32_e32 v17, 0
	s_mov_b64 s[10:11], 0
.LBB14_61:                              ; =>This Inner Loop Header: Depth=1
	v_cmp_eq_u32_e32 vcc, 1, v64
	v_cndmask_b32_e32 v68, v18, v19, vcc
	v_add_u32_e32 v33, -1, v33
	v_cmp_eq_u32_e32 vcc, 2, v64
	v_cndmask_b32_e32 v68, v68, v20, vcc
	v_cmp_eq_u32_e32 vcc, 0, v33
	v_cmp_eq_u32_e64 s[2:3], 3, v64
	v_cndmask_b32_e64 v68, v68, v21, s[2:3]
	s_or_b64 s[10:11], vcc, s[10:11]
	v_cmp_eq_u32_e32 vcc, 4, v64
	v_cndmask_b32_e32 v68, v68, v22, vcc
	v_cmp_eq_u32_e32 vcc, 5, v64
	v_cndmask_b32_e32 v68, v68, v23, vcc
	;; [unrolled: 2-line block ×6, first 2 shown]
	v_cmp_eq_u32_e32 vcc, 10, v64
	ds_read_b32 v69, v66
	v_cndmask_b32_e32 v68, v68, v28, vcc
	v_cmp_eq_u32_e32 vcc, 11, v64
	v_cndmask_b32_e32 v68, v68, v29, vcc
	v_cmp_eq_u32_e32 vcc, 12, v64
	;; [unrolled: 2-line block ×4, first 2 shown]
	v_add_co_u32_e64 v64, s[2:3], 1, v64
	v_cndmask_b32_e32 v68, v68, v32, vcc
	v_add_u32_e32 v66, 4, v66
	v_addc_co_u32_e64 v17, s[2:3], 0, v17, s[2:3]
	s_waitcnt lgkmcnt(0)
	v_fmac_f32_e32 v67, v68, v69
	s_andn2_b64 exec, exec, s[10:11]
	s_cbranch_execnz .LBB14_61
; %bb.62:
	s_or_b64 exec, exec, s[10:11]
.LBB14_63:
	s_or_b64 exec, exec, s[8:9]
.LBB14_64:
	s_or_b64 exec, exec, s[6:7]
	v_mov_b32_e32 v17, 0
	ds_read_b32 v17, v17 offset:36
	s_waitcnt lgkmcnt(0)
	v_mul_f32_e32 v27, v67, v17
.LBB14_65:
	s_or_b64 exec, exec, s[4:5]
	v_cmp_lt_u32_e64 s[2:3], 8, v0
	ds_write_b32 v65, v26
	s_waitcnt lgkmcnt(0)
	; wave barrier
	s_waitcnt lgkmcnt(0)
	s_and_saveexec_b64 s[4:5], s[2:3]
	s_cbranch_execz .LBB14_81
; %bb.66:
	s_andn2_b64 vcc, exec, s[30:31]
	s_cbranch_vccnz .LBB14_68
; %bb.67:
	v_cmp_eq_u32_e32 vcc, 1, v0
	v_cndmask_b32_e32 v17, v18, v19, vcc
	v_cmp_eq_u32_e32 vcc, 2, v0
	v_cndmask_b32_e32 v17, v17, v20, vcc
	;; [unrolled: 2-line block ×10, first 2 shown]
	v_cmp_eq_u32_e32 vcc, 11, v0
	ds_read_b32 v64, v65
	v_cndmask_b32_e32 v17, v17, v29, vcc
	v_cmp_eq_u32_e32 vcc, 12, v0
	v_cndmask_b32_e32 v17, v17, v30, vcc
	v_cmp_eq_u32_e32 vcc, 13, v0
	v_cndmask_b32_e32 v17, v17, v31, vcc
	v_cmp_eq_u32_e32 vcc, 14, v0
	v_cndmask_b32_e32 v17, v17, v32, vcc
	s_waitcnt lgkmcnt(0)
	v_mul_f32_e32 v67, v17, v64
	s_cbranch_execz .LBB14_69
	s_branch .LBB14_70
.LBB14_68:
                                        ; implicit-def: $vgpr67
.LBB14_69:
	ds_read_b32 v67, v65
.LBB14_70:
	s_and_saveexec_b64 s[6:7], s[0:1]
	s_cbranch_execz .LBB14_80
; %bb.71:
	v_add_u32_e32 v64, -10, v0
	v_add_u32_e32 v17, -9, v0
	v_cmp_lt_u32_e32 vcc, 6, v64
	v_mov_b32_e32 v64, 9
	s_and_saveexec_b64 s[0:1], vcc
	s_cbranch_execz .LBB14_75
; %bb.72:
	v_and_b32_e32 v64, -8, v17
	v_sub_u32_e32 v66, 0, v64
	s_mov_b64 s[8:9], 16
	s_movk_i32 s12, 0x64
	s_mov_b64 s[10:11], 0
.LBB14_73:                              ; =>This Inner Loop Header: Depth=1
	s_add_i32 s13, s8, -7
	v_mov_b32_e32 v64, s12
	s_add_i32 s14, s8, -6
	s_set_gpr_idx_on s13, gpr_idx(SRC0)
	v_mov_b32_e32 v74, v18
	s_set_gpr_idx_off
	ds_read2_b32 v[68:69], v64 offset1:1
	s_add_i32 s15, s8, -5
	s_set_gpr_idx_on s14, gpr_idx(SRC0)
	v_mov_b32_e32 v75, v18
	s_set_gpr_idx_off
	s_add_i32 s16, s8, -4
	s_set_gpr_idx_on s15, gpr_idx(SRC0)
	v_mov_b32_e32 v76, v18
	s_set_gpr_idx_off
	ds_read2_b32 v[70:71], v64 offset0:2 offset1:3
	s_add_i32 s17, s8, -3
	s_set_gpr_idx_on s16, gpr_idx(SRC0)
	v_mov_b32_e32 v77, v18
	s_set_gpr_idx_off
	s_add_i32 s18, s8, -2
	s_set_gpr_idx_on s17, gpr_idx(SRC0)
	v_mov_b32_e32 v78, v18
	s_set_gpr_idx_off
	ds_read2_b32 v[72:73], v64 offset0:4 offset1:5
	s_add_i32 s19, s8, -1
	s_waitcnt lgkmcnt(2)
	v_fmac_f32_e32 v67, v74, v68
	s_set_gpr_idx_on s18, gpr_idx(SRC0)
	v_mov_b32_e32 v74, v18
	s_set_gpr_idx_off
	v_fmac_f32_e32 v67, v75, v69
	s_set_gpr_idx_on s19, gpr_idx(SRC0)
	v_mov_b32_e32 v75, v18
	s_set_gpr_idx_off
	ds_read2_b32 v[68:69], v64 offset0:6 offset1:7
	s_waitcnt lgkmcnt(2)
	v_fmac_f32_e32 v67, v76, v70
	s_set_gpr_idx_on s8, gpr_idx(SRC0)
	v_mov_b32_e32 v70, v18
	s_set_gpr_idx_off
	v_fmac_f32_e32 v67, v77, v71
	s_add_u32 s8, s8, 8
	s_waitcnt lgkmcnt(1)
	v_fmac_f32_e32 v67, v78, v72
	v_add_u32_e32 v64, s8, v66
	v_fmac_f32_e32 v67, v74, v73
	s_addc_u32 s9, s9, 0
	s_add_i32 s12, s12, 32
	s_add_i32 s13, s8, -7
	v_cmp_eq_u32_e32 vcc, 16, v64
	s_waitcnt lgkmcnt(0)
	v_fmac_f32_e32 v67, v75, v68
	v_mov_b32_e32 v64, s13
	s_or_b64 s[10:11], vcc, s[10:11]
	v_fmac_f32_e32 v67, v70, v69
	s_andn2_b64 exec, exec, s[10:11]
	s_cbranch_execnz .LBB14_73
; %bb.74:
	s_or_b64 exec, exec, s[10:11]
.LBB14_75:
	s_or_b64 exec, exec, s[0:1]
	v_and_b32_e32 v33, 7, v17
	v_cmp_ne_u32_e32 vcc, 0, v33
	s_and_saveexec_b64 s[8:9], vcc
	s_cbranch_execz .LBB14_79
; %bb.76:
	v_lshl_add_u32 v66, v64, 2, 64
	v_mov_b32_e32 v17, 0
	s_mov_b64 s[10:11], 0
.LBB14_77:                              ; =>This Inner Loop Header: Depth=1
	v_cmp_eq_u32_e32 vcc, 1, v64
	v_cndmask_b32_e32 v68, v18, v19, vcc
	v_add_u32_e32 v33, -1, v33
	v_cmp_eq_u32_e32 vcc, 2, v64
	v_cndmask_b32_e32 v68, v68, v20, vcc
	v_cmp_eq_u32_e32 vcc, 0, v33
	v_cmp_eq_u32_e64 s[0:1], 3, v64
	v_cndmask_b32_e64 v68, v68, v21, s[0:1]
	s_or_b64 s[10:11], vcc, s[10:11]
	v_cmp_eq_u32_e32 vcc, 4, v64
	v_cndmask_b32_e32 v68, v68, v22, vcc
	v_cmp_eq_u32_e32 vcc, 5, v64
	v_cndmask_b32_e32 v68, v68, v23, vcc
	;; [unrolled: 2-line block ×6, first 2 shown]
	v_cmp_eq_u32_e32 vcc, 10, v64
	ds_read_b32 v69, v66
	v_cndmask_b32_e32 v68, v68, v28, vcc
	v_cmp_eq_u32_e32 vcc, 11, v64
	v_cndmask_b32_e32 v68, v68, v29, vcc
	v_cmp_eq_u32_e32 vcc, 12, v64
	;; [unrolled: 2-line block ×4, first 2 shown]
	v_add_co_u32_e64 v64, s[0:1], 1, v64
	v_cndmask_b32_e32 v68, v68, v32, vcc
	v_add_u32_e32 v66, 4, v66
	v_addc_co_u32_e64 v17, s[0:1], 0, v17, s[0:1]
	s_waitcnt lgkmcnt(0)
	v_fmac_f32_e32 v67, v68, v69
	s_andn2_b64 exec, exec, s[10:11]
	s_cbranch_execnz .LBB14_77
; %bb.78:
	s_or_b64 exec, exec, s[10:11]
.LBB14_79:
	s_or_b64 exec, exec, s[8:9]
.LBB14_80:
	s_or_b64 exec, exec, s[6:7]
	v_mov_b32_e32 v17, 0
	ds_read_b32 v17, v17 offset:32
	s_waitcnt lgkmcnt(0)
	v_mul_f32_e32 v26, v67, v17
.LBB14_81:
	s_or_b64 exec, exec, s[4:5]
	v_cmp_lt_u32_e64 s[0:1], 7, v0
	ds_write_b32 v65, v25
	s_waitcnt lgkmcnt(0)
	; wave barrier
	s_waitcnt lgkmcnt(0)
	s_and_saveexec_b64 s[4:5], s[0:1]
	s_cbranch_execz .LBB14_97
; %bb.82:
	s_andn2_b64 vcc, exec, s[30:31]
	s_cbranch_vccnz .LBB14_84
; %bb.83:
	v_cmp_eq_u32_e32 vcc, 1, v0
	v_cndmask_b32_e32 v17, v18, v19, vcc
	v_cmp_eq_u32_e32 vcc, 2, v0
	v_cndmask_b32_e32 v17, v17, v20, vcc
	;; [unrolled: 2-line block ×10, first 2 shown]
	v_cmp_eq_u32_e32 vcc, 11, v0
	ds_read_b32 v64, v65
	v_cndmask_b32_e32 v17, v17, v29, vcc
	v_cmp_eq_u32_e32 vcc, 12, v0
	v_cndmask_b32_e32 v17, v17, v30, vcc
	v_cmp_eq_u32_e32 vcc, 13, v0
	;; [unrolled: 2-line block ×3, first 2 shown]
	v_cndmask_b32_e32 v17, v17, v32, vcc
	s_waitcnt lgkmcnt(0)
	v_mul_f32_e32 v67, v17, v64
	s_cbranch_execz .LBB14_85
	s_branch .LBB14_86
.LBB14_84:
                                        ; implicit-def: $vgpr67
.LBB14_85:
	ds_read_b32 v67, v65
.LBB14_86:
	s_and_saveexec_b64 s[6:7], s[2:3]
	s_cbranch_execz .LBB14_96
; %bb.87:
	v_add_u32_e32 v17, -9, v0
	v_cmp_lt_u32_e32 vcc, 6, v17
	v_mov_b32_e32 v64, 8
	s_and_saveexec_b64 s[2:3], vcc
	s_cbranch_execz .LBB14_91
; %bb.88:
	v_and_b32_e32 v17, 8, v0
	v_sub_u32_e32 v66, 0, v17
	s_mov_b64 s[8:9], 15
	s_movk_i32 s12, 0x60
	s_mov_b64 s[10:11], 0
.LBB14_89:                              ; =>This Inner Loop Header: Depth=1
	s_add_i32 s13, s8, -7
	v_mov_b32_e32 v17, s12
	s_add_i32 s14, s8, -6
	s_set_gpr_idx_on s13, gpr_idx(SRC0)
	v_mov_b32_e32 v64, v18
	s_set_gpr_idx_off
	s_add_i32 s15, s8, -5
	ds_read_b128 v[68:71], v17
	ds_read_b128 v[72:75], v17 offset:16
	s_set_gpr_idx_on s14, gpr_idx(SRC0)
	v_mov_b32_e32 v17, v18
	s_set_gpr_idx_off
	s_add_i32 s16, s8, -4
	s_set_gpr_idx_on s15, gpr_idx(SRC0)
	v_mov_b32_e32 v76, v18
	s_set_gpr_idx_off
	s_add_i32 s17, s8, -3
	;; [unrolled: 4-line block ×4, first 2 shown]
	s_waitcnt lgkmcnt(1)
	v_fmac_f32_e32 v67, v64, v68
	s_set_gpr_idx_on s18, gpr_idx(SRC0)
	v_mov_b32_e32 v68, v18
	s_set_gpr_idx_off
	v_fmac_f32_e32 v67, v17, v69
	s_set_gpr_idx_on s19, gpr_idx(SRC0)
	v_mov_b32_e32 v17, v18
	s_set_gpr_idx_off
	;; [unrolled: 4-line block ×3, first 2 shown]
	v_fmac_f32_e32 v67, v77, v71
	s_add_u32 s8, s8, 8
	s_waitcnt lgkmcnt(0)
	v_fmac_f32_e32 v67, v78, v72
	v_add_u32_e32 v64, s8, v66
	v_fmac_f32_e32 v67, v68, v73
	s_addc_u32 s9, s9, 0
	s_add_i32 s12, s12, 32
	s_add_i32 s13, s8, -7
	v_cmp_eq_u32_e32 vcc, 7, v64
	v_fmac_f32_e32 v67, v17, v74
	v_mov_b32_e32 v64, s13
	s_or_b64 s[10:11], vcc, s[10:11]
	v_fmac_f32_e32 v67, v69, v75
	s_andn2_b64 exec, exec, s[10:11]
	s_cbranch_execnz .LBB14_89
; %bb.90:
	s_or_b64 exec, exec, s[10:11]
.LBB14_91:
	s_or_b64 exec, exec, s[2:3]
	v_and_b32_e32 v33, 7, v0
	v_cmp_ne_u32_e32 vcc, 0, v33
	s_and_saveexec_b64 s[8:9], vcc
	s_cbranch_execz .LBB14_95
; %bb.92:
	v_lshl_add_u32 v66, v64, 2, 64
	v_mov_b32_e32 v17, 0
	s_mov_b64 s[10:11], 0
.LBB14_93:                              ; =>This Inner Loop Header: Depth=1
	v_cmp_eq_u32_e32 vcc, 1, v64
	v_cndmask_b32_e32 v68, v18, v19, vcc
	v_add_u32_e32 v33, -1, v33
	v_cmp_eq_u32_e32 vcc, 2, v64
	v_cndmask_b32_e32 v68, v68, v20, vcc
	v_cmp_eq_u32_e32 vcc, 0, v33
	v_cmp_eq_u32_e64 s[2:3], 3, v64
	v_cndmask_b32_e64 v68, v68, v21, s[2:3]
	s_or_b64 s[10:11], vcc, s[10:11]
	v_cmp_eq_u32_e32 vcc, 4, v64
	v_cndmask_b32_e32 v68, v68, v22, vcc
	v_cmp_eq_u32_e32 vcc, 5, v64
	v_cndmask_b32_e32 v68, v68, v23, vcc
	;; [unrolled: 2-line block ×6, first 2 shown]
	v_cmp_eq_u32_e32 vcc, 10, v64
	ds_read_b32 v69, v66
	v_cndmask_b32_e32 v68, v68, v28, vcc
	v_cmp_eq_u32_e32 vcc, 11, v64
	v_cndmask_b32_e32 v68, v68, v29, vcc
	v_cmp_eq_u32_e32 vcc, 12, v64
	;; [unrolled: 2-line block ×4, first 2 shown]
	v_add_co_u32_e64 v64, s[2:3], 1, v64
	v_cndmask_b32_e32 v68, v68, v32, vcc
	v_add_u32_e32 v66, 4, v66
	v_addc_co_u32_e64 v17, s[2:3], 0, v17, s[2:3]
	s_waitcnt lgkmcnt(0)
	v_fmac_f32_e32 v67, v68, v69
	s_andn2_b64 exec, exec, s[10:11]
	s_cbranch_execnz .LBB14_93
; %bb.94:
	s_or_b64 exec, exec, s[10:11]
.LBB14_95:
	s_or_b64 exec, exec, s[8:9]
.LBB14_96:
	s_or_b64 exec, exec, s[6:7]
	v_mov_b32_e32 v17, 0
	ds_read_b32 v17, v17 offset:28
	s_waitcnt lgkmcnt(0)
	v_mul_f32_e32 v25, v67, v17
.LBB14_97:
	s_or_b64 exec, exec, s[4:5]
	v_cmp_lt_u32_e64 s[2:3], 6, v0
	ds_write_b32 v65, v24
	s_waitcnt lgkmcnt(0)
	; wave barrier
	s_waitcnt lgkmcnt(0)
	s_and_saveexec_b64 s[4:5], s[2:3]
	s_cbranch_execz .LBB14_113
; %bb.98:
	s_andn2_b64 vcc, exec, s[30:31]
	s_cbranch_vccnz .LBB14_100
; %bb.99:
	v_cmp_eq_u32_e32 vcc, 1, v0
	v_cndmask_b32_e32 v17, v18, v19, vcc
	v_cmp_eq_u32_e32 vcc, 2, v0
	v_cndmask_b32_e32 v17, v17, v20, vcc
	;; [unrolled: 2-line block ×10, first 2 shown]
	v_cmp_eq_u32_e32 vcc, 11, v0
	ds_read_b32 v64, v65
	v_cndmask_b32_e32 v17, v17, v29, vcc
	v_cmp_eq_u32_e32 vcc, 12, v0
	v_cndmask_b32_e32 v17, v17, v30, vcc
	v_cmp_eq_u32_e32 vcc, 13, v0
	;; [unrolled: 2-line block ×3, first 2 shown]
	v_cndmask_b32_e32 v17, v17, v32, vcc
	s_waitcnt lgkmcnt(0)
	v_mul_f32_e32 v67, v17, v64
	s_cbranch_execz .LBB14_101
	s_branch .LBB14_102
.LBB14_100:
                                        ; implicit-def: $vgpr67
.LBB14_101:
	ds_read_b32 v67, v65
.LBB14_102:
	s_and_saveexec_b64 s[6:7], s[0:1]
	s_cbranch_execz .LBB14_112
; %bb.103:
	v_add_u32_e32 v64, -8, v0
	v_add_u32_e32 v17, -7, v0
	v_cmp_lt_u32_e32 vcc, 6, v64
	v_mov_b32_e32 v64, 7
	s_and_saveexec_b64 s[0:1], vcc
	s_cbranch_execz .LBB14_107
; %bb.104:
	v_and_b32_e32 v64, -8, v17
	v_sub_u32_e32 v66, 0, v64
	s_mov_b64 s[8:9], 14
	s_movk_i32 s12, 0x5c
	s_mov_b64 s[10:11], 0
.LBB14_105:                             ; =>This Inner Loop Header: Depth=1
	s_add_i32 s13, s8, -7
	v_mov_b32_e32 v64, s12
	s_add_i32 s14, s8, -6
	s_set_gpr_idx_on s13, gpr_idx(SRC0)
	v_mov_b32_e32 v74, v18
	s_set_gpr_idx_off
	ds_read2_b32 v[68:69], v64 offset1:1
	s_add_i32 s15, s8, -5
	s_set_gpr_idx_on s14, gpr_idx(SRC0)
	v_mov_b32_e32 v75, v18
	s_set_gpr_idx_off
	s_add_i32 s16, s8, -4
	s_set_gpr_idx_on s15, gpr_idx(SRC0)
	v_mov_b32_e32 v76, v18
	s_set_gpr_idx_off
	ds_read2_b32 v[70:71], v64 offset0:2 offset1:3
	s_add_i32 s17, s8, -3
	s_set_gpr_idx_on s16, gpr_idx(SRC0)
	v_mov_b32_e32 v77, v18
	s_set_gpr_idx_off
	s_add_i32 s18, s8, -2
	s_set_gpr_idx_on s17, gpr_idx(SRC0)
	v_mov_b32_e32 v78, v18
	s_set_gpr_idx_off
	ds_read2_b32 v[72:73], v64 offset0:4 offset1:5
	s_add_i32 s19, s8, -1
	s_waitcnt lgkmcnt(2)
	v_fmac_f32_e32 v67, v74, v68
	s_set_gpr_idx_on s18, gpr_idx(SRC0)
	v_mov_b32_e32 v74, v18
	s_set_gpr_idx_off
	v_fmac_f32_e32 v67, v75, v69
	s_set_gpr_idx_on s19, gpr_idx(SRC0)
	v_mov_b32_e32 v75, v18
	s_set_gpr_idx_off
	ds_read2_b32 v[68:69], v64 offset0:6 offset1:7
	s_waitcnt lgkmcnt(2)
	v_fmac_f32_e32 v67, v76, v70
	s_set_gpr_idx_on s8, gpr_idx(SRC0)
	v_mov_b32_e32 v70, v18
	s_set_gpr_idx_off
	v_fmac_f32_e32 v67, v77, v71
	s_add_u32 s8, s8, 8
	s_waitcnt lgkmcnt(1)
	v_fmac_f32_e32 v67, v78, v72
	v_add_u32_e32 v64, s8, v66
	v_fmac_f32_e32 v67, v74, v73
	s_addc_u32 s9, s9, 0
	s_add_i32 s12, s12, 32
	s_add_i32 s13, s8, -7
	v_cmp_eq_u32_e32 vcc, 14, v64
	s_waitcnt lgkmcnt(0)
	v_fmac_f32_e32 v67, v75, v68
	v_mov_b32_e32 v64, s13
	s_or_b64 s[10:11], vcc, s[10:11]
	v_fmac_f32_e32 v67, v70, v69
	s_andn2_b64 exec, exec, s[10:11]
	s_cbranch_execnz .LBB14_105
; %bb.106:
	s_or_b64 exec, exec, s[10:11]
.LBB14_107:
	s_or_b64 exec, exec, s[0:1]
	v_and_b32_e32 v33, 7, v17
	v_cmp_ne_u32_e32 vcc, 0, v33
	s_and_saveexec_b64 s[8:9], vcc
	s_cbranch_execz .LBB14_111
; %bb.108:
	v_lshl_add_u32 v66, v64, 2, 64
	v_mov_b32_e32 v17, 0
	s_mov_b64 s[10:11], 0
.LBB14_109:                             ; =>This Inner Loop Header: Depth=1
	v_cmp_eq_u32_e32 vcc, 1, v64
	v_cndmask_b32_e32 v68, v18, v19, vcc
	v_add_u32_e32 v33, -1, v33
	v_cmp_eq_u32_e32 vcc, 2, v64
	v_cndmask_b32_e32 v68, v68, v20, vcc
	v_cmp_eq_u32_e32 vcc, 0, v33
	v_cmp_eq_u32_e64 s[0:1], 3, v64
	v_cndmask_b32_e64 v68, v68, v21, s[0:1]
	s_or_b64 s[10:11], vcc, s[10:11]
	v_cmp_eq_u32_e32 vcc, 4, v64
	v_cndmask_b32_e32 v68, v68, v22, vcc
	v_cmp_eq_u32_e32 vcc, 5, v64
	v_cndmask_b32_e32 v68, v68, v23, vcc
	;; [unrolled: 2-line block ×6, first 2 shown]
	v_cmp_eq_u32_e32 vcc, 10, v64
	ds_read_b32 v69, v66
	v_cndmask_b32_e32 v68, v68, v28, vcc
	v_cmp_eq_u32_e32 vcc, 11, v64
	v_cndmask_b32_e32 v68, v68, v29, vcc
	v_cmp_eq_u32_e32 vcc, 12, v64
	;; [unrolled: 2-line block ×4, first 2 shown]
	v_add_co_u32_e64 v64, s[0:1], 1, v64
	v_cndmask_b32_e32 v68, v68, v32, vcc
	v_add_u32_e32 v66, 4, v66
	v_addc_co_u32_e64 v17, s[0:1], 0, v17, s[0:1]
	s_waitcnt lgkmcnt(0)
	v_fmac_f32_e32 v67, v68, v69
	s_andn2_b64 exec, exec, s[10:11]
	s_cbranch_execnz .LBB14_109
; %bb.110:
	s_or_b64 exec, exec, s[10:11]
.LBB14_111:
	s_or_b64 exec, exec, s[8:9]
.LBB14_112:
	s_or_b64 exec, exec, s[6:7]
	v_mov_b32_e32 v17, 0
	ds_read_b32 v17, v17 offset:24
	s_waitcnt lgkmcnt(0)
	v_mul_f32_e32 v24, v67, v17
.LBB14_113:
	s_or_b64 exec, exec, s[4:5]
	v_cmp_lt_u32_e64 s[0:1], 5, v0
	ds_write_b32 v65, v23
	s_waitcnt lgkmcnt(0)
	; wave barrier
	s_waitcnt lgkmcnt(0)
	s_and_saveexec_b64 s[4:5], s[0:1]
	s_cbranch_execz .LBB14_129
; %bb.114:
	s_andn2_b64 vcc, exec, s[30:31]
	s_cbranch_vccnz .LBB14_116
; %bb.115:
	v_cmp_eq_u32_e32 vcc, 1, v0
	v_cndmask_b32_e32 v17, v18, v19, vcc
	v_cmp_eq_u32_e32 vcc, 2, v0
	v_cndmask_b32_e32 v17, v17, v20, vcc
	;; [unrolled: 2-line block ×10, first 2 shown]
	v_cmp_eq_u32_e32 vcc, 11, v0
	ds_read_b32 v64, v65
	v_cndmask_b32_e32 v17, v17, v29, vcc
	v_cmp_eq_u32_e32 vcc, 12, v0
	v_cndmask_b32_e32 v17, v17, v30, vcc
	v_cmp_eq_u32_e32 vcc, 13, v0
	;; [unrolled: 2-line block ×3, first 2 shown]
	v_cndmask_b32_e32 v17, v17, v32, vcc
	s_waitcnt lgkmcnt(0)
	v_mul_f32_e32 v67, v17, v64
	s_cbranch_execz .LBB14_117
	s_branch .LBB14_118
.LBB14_116:
                                        ; implicit-def: $vgpr67
.LBB14_117:
	ds_read_b32 v67, v65
.LBB14_118:
	s_and_saveexec_b64 s[6:7], s[2:3]
	s_cbranch_execz .LBB14_128
; %bb.119:
	v_add_u32_e32 v64, -7, v0
	v_add_u32_e32 v17, -6, v0
	v_cmp_lt_u32_e32 vcc, 6, v64
	v_mov_b32_e32 v64, 6
	s_and_saveexec_b64 s[2:3], vcc
	s_cbranch_execz .LBB14_123
; %bb.120:
	v_and_b32_e32 v64, -8, v17
	v_sub_u32_e32 v66, 0, v64
	s_mov_b64 s[8:9], 13
	s_movk_i32 s12, 0x58
	s_mov_b64 s[10:11], 0
.LBB14_121:                             ; =>This Inner Loop Header: Depth=1
	s_add_i32 s13, s8, -7
	v_mov_b32_e32 v72, s12
	s_set_gpr_idx_on s13, gpr_idx(SRC0)
	v_mov_b32_e32 v64, v18
	s_set_gpr_idx_off
	ds_read2_b64 v[68:71], v72 offset1:1
	s_add_i32 s13, s8, -6
	s_waitcnt lgkmcnt(0)
	v_fmac_f32_e32 v67, v64, v68
	s_set_gpr_idx_on s13, gpr_idx(SRC0)
	v_mov_b32_e32 v64, v18
	s_set_gpr_idx_off
	s_add_i32 s13, s8, -5
	v_fmac_f32_e32 v67, v64, v69
	s_set_gpr_idx_on s13, gpr_idx(SRC0)
	v_mov_b32_e32 v64, v18
	s_set_gpr_idx_off
	s_add_i32 s13, s8, -4
	v_fmac_f32_e32 v67, v64, v70
	s_set_gpr_idx_on s13, gpr_idx(SRC0)
	v_mov_b32_e32 v64, v18
	s_set_gpr_idx_off
	s_add_i32 s13, s8, -3
	v_fmac_f32_e32 v67, v64, v71
	s_set_gpr_idx_on s13, gpr_idx(SRC0)
	v_mov_b32_e32 v64, v18
	s_set_gpr_idx_off
	ds_read2_b64 v[68:71], v72 offset0:2 offset1:3
	s_add_i32 s13, s8, -2
	s_waitcnt lgkmcnt(0)
	v_fmac_f32_e32 v67, v64, v68
	s_set_gpr_idx_on s13, gpr_idx(SRC0)
	v_mov_b32_e32 v64, v18
	s_set_gpr_idx_off
	s_add_i32 s13, s8, -1
	v_fmac_f32_e32 v67, v64, v69
	s_set_gpr_idx_on s13, gpr_idx(SRC0)
	v_mov_b32_e32 v64, v18
	s_set_gpr_idx_off
	v_fmac_f32_e32 v67, v64, v70
	s_set_gpr_idx_on s8, gpr_idx(SRC0)
	v_mov_b32_e32 v64, v18
	s_set_gpr_idx_off
	s_add_u32 s8, s8, 8
	v_fmac_f32_e32 v67, v64, v71
	v_add_u32_e32 v64, s8, v66
	s_addc_u32 s9, s9, 0
	s_add_i32 s12, s12, 32
	v_cmp_eq_u32_e32 vcc, 13, v64
	s_add_i32 s13, s8, -7
	s_or_b64 s[10:11], vcc, s[10:11]
	v_mov_b32_e32 v64, s13
	s_andn2_b64 exec, exec, s[10:11]
	s_cbranch_execnz .LBB14_121
; %bb.122:
	s_or_b64 exec, exec, s[10:11]
.LBB14_123:
	s_or_b64 exec, exec, s[2:3]
	v_and_b32_e32 v33, 7, v17
	v_cmp_ne_u32_e32 vcc, 0, v33
	s_and_saveexec_b64 s[8:9], vcc
	s_cbranch_execz .LBB14_127
; %bb.124:
	v_lshl_add_u32 v66, v64, 2, 64
	v_mov_b32_e32 v17, 0
	s_mov_b64 s[10:11], 0
.LBB14_125:                             ; =>This Inner Loop Header: Depth=1
	v_cmp_eq_u32_e32 vcc, 1, v64
	v_cndmask_b32_e32 v68, v18, v19, vcc
	v_add_u32_e32 v33, -1, v33
	v_cmp_eq_u32_e32 vcc, 2, v64
	v_cndmask_b32_e32 v68, v68, v20, vcc
	v_cmp_eq_u32_e32 vcc, 0, v33
	v_cmp_eq_u32_e64 s[2:3], 3, v64
	v_cndmask_b32_e64 v68, v68, v21, s[2:3]
	s_or_b64 s[10:11], vcc, s[10:11]
	v_cmp_eq_u32_e32 vcc, 4, v64
	v_cndmask_b32_e32 v68, v68, v22, vcc
	v_cmp_eq_u32_e32 vcc, 5, v64
	v_cndmask_b32_e32 v68, v68, v23, vcc
	;; [unrolled: 2-line block ×6, first 2 shown]
	v_cmp_eq_u32_e32 vcc, 10, v64
	ds_read_b32 v69, v66
	v_cndmask_b32_e32 v68, v68, v28, vcc
	v_cmp_eq_u32_e32 vcc, 11, v64
	v_cndmask_b32_e32 v68, v68, v29, vcc
	v_cmp_eq_u32_e32 vcc, 12, v64
	;; [unrolled: 2-line block ×4, first 2 shown]
	v_add_co_u32_e64 v64, s[2:3], 1, v64
	v_cndmask_b32_e32 v68, v68, v32, vcc
	v_add_u32_e32 v66, 4, v66
	v_addc_co_u32_e64 v17, s[2:3], 0, v17, s[2:3]
	s_waitcnt lgkmcnt(0)
	v_fmac_f32_e32 v67, v68, v69
	s_andn2_b64 exec, exec, s[10:11]
	s_cbranch_execnz .LBB14_125
; %bb.126:
	s_or_b64 exec, exec, s[10:11]
.LBB14_127:
	s_or_b64 exec, exec, s[8:9]
.LBB14_128:
	s_or_b64 exec, exec, s[6:7]
	v_mov_b32_e32 v17, 0
	ds_read_b32 v17, v17 offset:20
	s_waitcnt lgkmcnt(0)
	v_mul_f32_e32 v23, v67, v17
.LBB14_129:
	s_or_b64 exec, exec, s[4:5]
	v_cmp_lt_u32_e64 s[2:3], 4, v0
	ds_write_b32 v65, v22
	s_waitcnt lgkmcnt(0)
	; wave barrier
	s_waitcnt lgkmcnt(0)
	s_and_saveexec_b64 s[4:5], s[2:3]
	s_cbranch_execz .LBB14_145
; %bb.130:
	s_andn2_b64 vcc, exec, s[30:31]
	s_cbranch_vccnz .LBB14_132
; %bb.131:
	v_cmp_eq_u32_e32 vcc, 1, v0
	v_cndmask_b32_e32 v17, v18, v19, vcc
	v_cmp_eq_u32_e32 vcc, 2, v0
	v_cndmask_b32_e32 v17, v17, v20, vcc
	;; [unrolled: 2-line block ×10, first 2 shown]
	v_cmp_eq_u32_e32 vcc, 11, v0
	ds_read_b32 v64, v65
	v_cndmask_b32_e32 v17, v17, v29, vcc
	v_cmp_eq_u32_e32 vcc, 12, v0
	v_cndmask_b32_e32 v17, v17, v30, vcc
	v_cmp_eq_u32_e32 vcc, 13, v0
	;; [unrolled: 2-line block ×3, first 2 shown]
	v_cndmask_b32_e32 v17, v17, v32, vcc
	s_waitcnt lgkmcnt(0)
	v_mul_f32_e32 v67, v17, v64
	s_cbranch_execz .LBB14_133
	s_branch .LBB14_134
.LBB14_132:
                                        ; implicit-def: $vgpr67
.LBB14_133:
	ds_read_b32 v67, v65
.LBB14_134:
	s_and_saveexec_b64 s[6:7], s[0:1]
	s_cbranch_execz .LBB14_144
; %bb.135:
	v_add_u32_e32 v64, -6, v0
	v_add_u32_e32 v17, -5, v0
	v_cmp_lt_u32_e32 vcc, 6, v64
	v_mov_b32_e32 v64, 5
	s_and_saveexec_b64 s[0:1], vcc
	s_cbranch_execz .LBB14_139
; %bb.136:
	v_and_b32_e32 v64, -8, v17
	v_sub_u32_e32 v66, 0, v64
	s_mov_b64 s[8:9], 12
	s_movk_i32 s12, 0x54
	s_mov_b64 s[10:11], 0
.LBB14_137:                             ; =>This Inner Loop Header: Depth=1
	s_add_i32 s13, s8, -7
	v_mov_b32_e32 v64, s12
	s_add_i32 s14, s8, -6
	s_set_gpr_idx_on s13, gpr_idx(SRC0)
	v_mov_b32_e32 v74, v18
	s_set_gpr_idx_off
	ds_read2_b32 v[68:69], v64 offset1:1
	s_add_i32 s15, s8, -5
	s_set_gpr_idx_on s14, gpr_idx(SRC0)
	v_mov_b32_e32 v75, v18
	s_set_gpr_idx_off
	s_add_i32 s16, s8, -4
	s_set_gpr_idx_on s15, gpr_idx(SRC0)
	v_mov_b32_e32 v76, v18
	s_set_gpr_idx_off
	ds_read2_b32 v[70:71], v64 offset0:2 offset1:3
	s_add_i32 s17, s8, -3
	s_set_gpr_idx_on s16, gpr_idx(SRC0)
	v_mov_b32_e32 v77, v18
	s_set_gpr_idx_off
	s_add_i32 s18, s8, -2
	s_set_gpr_idx_on s17, gpr_idx(SRC0)
	v_mov_b32_e32 v78, v18
	s_set_gpr_idx_off
	ds_read2_b32 v[72:73], v64 offset0:4 offset1:5
	s_add_i32 s19, s8, -1
	s_waitcnt lgkmcnt(2)
	v_fmac_f32_e32 v67, v74, v68
	s_set_gpr_idx_on s18, gpr_idx(SRC0)
	v_mov_b32_e32 v74, v18
	s_set_gpr_idx_off
	v_fmac_f32_e32 v67, v75, v69
	s_set_gpr_idx_on s19, gpr_idx(SRC0)
	v_mov_b32_e32 v75, v18
	s_set_gpr_idx_off
	ds_read2_b32 v[68:69], v64 offset0:6 offset1:7
	s_waitcnt lgkmcnt(2)
	v_fmac_f32_e32 v67, v76, v70
	s_set_gpr_idx_on s8, gpr_idx(SRC0)
	v_mov_b32_e32 v70, v18
	s_set_gpr_idx_off
	v_fmac_f32_e32 v67, v77, v71
	s_add_u32 s8, s8, 8
	s_waitcnt lgkmcnt(1)
	v_fmac_f32_e32 v67, v78, v72
	v_add_u32_e32 v64, s8, v66
	v_fmac_f32_e32 v67, v74, v73
	s_addc_u32 s9, s9, 0
	s_add_i32 s12, s12, 32
	s_add_i32 s13, s8, -7
	v_cmp_eq_u32_e32 vcc, 12, v64
	s_waitcnt lgkmcnt(0)
	v_fmac_f32_e32 v67, v75, v68
	v_mov_b32_e32 v64, s13
	s_or_b64 s[10:11], vcc, s[10:11]
	v_fmac_f32_e32 v67, v70, v69
	s_andn2_b64 exec, exec, s[10:11]
	s_cbranch_execnz .LBB14_137
; %bb.138:
	s_or_b64 exec, exec, s[10:11]
.LBB14_139:
	s_or_b64 exec, exec, s[0:1]
	v_and_b32_e32 v33, 7, v17
	v_cmp_ne_u32_e32 vcc, 0, v33
	s_and_saveexec_b64 s[8:9], vcc
	s_cbranch_execz .LBB14_143
; %bb.140:
	v_lshl_add_u32 v66, v64, 2, 64
	v_mov_b32_e32 v17, 0
	s_mov_b64 s[10:11], 0
.LBB14_141:                             ; =>This Inner Loop Header: Depth=1
	v_cmp_eq_u32_e32 vcc, 1, v64
	v_cndmask_b32_e32 v68, v18, v19, vcc
	v_add_u32_e32 v33, -1, v33
	v_cmp_eq_u32_e32 vcc, 2, v64
	v_cndmask_b32_e32 v68, v68, v20, vcc
	v_cmp_eq_u32_e32 vcc, 0, v33
	v_cmp_eq_u32_e64 s[0:1], 3, v64
	v_cndmask_b32_e64 v68, v68, v21, s[0:1]
	s_or_b64 s[10:11], vcc, s[10:11]
	v_cmp_eq_u32_e32 vcc, 4, v64
	v_cndmask_b32_e32 v68, v68, v22, vcc
	v_cmp_eq_u32_e32 vcc, 5, v64
	v_cndmask_b32_e32 v68, v68, v23, vcc
	;; [unrolled: 2-line block ×6, first 2 shown]
	v_cmp_eq_u32_e32 vcc, 10, v64
	ds_read_b32 v69, v66
	v_cndmask_b32_e32 v68, v68, v28, vcc
	v_cmp_eq_u32_e32 vcc, 11, v64
	v_cndmask_b32_e32 v68, v68, v29, vcc
	v_cmp_eq_u32_e32 vcc, 12, v64
	;; [unrolled: 2-line block ×4, first 2 shown]
	v_add_co_u32_e64 v64, s[0:1], 1, v64
	v_cndmask_b32_e32 v68, v68, v32, vcc
	v_add_u32_e32 v66, 4, v66
	v_addc_co_u32_e64 v17, s[0:1], 0, v17, s[0:1]
	s_waitcnt lgkmcnt(0)
	v_fmac_f32_e32 v67, v68, v69
	s_andn2_b64 exec, exec, s[10:11]
	s_cbranch_execnz .LBB14_141
; %bb.142:
	s_or_b64 exec, exec, s[10:11]
.LBB14_143:
	s_or_b64 exec, exec, s[8:9]
.LBB14_144:
	s_or_b64 exec, exec, s[6:7]
	v_mov_b32_e32 v17, 0
	ds_read_b32 v17, v17 offset:16
	s_waitcnt lgkmcnt(0)
	v_mul_f32_e32 v22, v67, v17
.LBB14_145:
	s_or_b64 exec, exec, s[4:5]
	v_cmp_lt_u32_e64 s[0:1], 3, v0
	ds_write_b32 v65, v21
	s_waitcnt lgkmcnt(0)
	; wave barrier
	s_waitcnt lgkmcnt(0)
	s_and_saveexec_b64 s[4:5], s[0:1]
	s_cbranch_execz .LBB14_161
; %bb.146:
	s_andn2_b64 vcc, exec, s[30:31]
	s_cbranch_vccnz .LBB14_148
; %bb.147:
	v_cmp_eq_u32_e32 vcc, 1, v0
	v_cndmask_b32_e32 v17, v18, v19, vcc
	v_cmp_eq_u32_e32 vcc, 2, v0
	v_cndmask_b32_e32 v17, v17, v20, vcc
	;; [unrolled: 2-line block ×10, first 2 shown]
	v_cmp_eq_u32_e32 vcc, 11, v0
	ds_read_b32 v64, v65
	v_cndmask_b32_e32 v17, v17, v29, vcc
	v_cmp_eq_u32_e32 vcc, 12, v0
	v_cndmask_b32_e32 v17, v17, v30, vcc
	v_cmp_eq_u32_e32 vcc, 13, v0
	;; [unrolled: 2-line block ×3, first 2 shown]
	v_cndmask_b32_e32 v17, v17, v32, vcc
	s_waitcnt lgkmcnt(0)
	v_mul_f32_e32 v67, v17, v64
	s_cbranch_execz .LBB14_149
	s_branch .LBB14_150
.LBB14_148:
                                        ; implicit-def: $vgpr67
.LBB14_149:
	ds_read_b32 v67, v65
.LBB14_150:
	s_and_saveexec_b64 s[6:7], s[2:3]
	s_cbranch_execz .LBB14_160
; %bb.151:
	v_add_u32_e32 v64, -5, v0
	v_add_u32_e32 v17, -4, v0
	v_cmp_lt_u32_e32 vcc, 6, v64
	v_mov_b32_e32 v64, 4
	s_and_saveexec_b64 s[2:3], vcc
	s_cbranch_execz .LBB14_155
; %bb.152:
	v_and_b32_e32 v64, -8, v17
	v_sub_u32_e32 v66, 0, v64
	s_mov_b64 s[8:9], 5
	s_movk_i32 s12, 0x50
	s_mov_b64 s[10:11], 0
.LBB14_153:                             ; =>This Inner Loop Header: Depth=1
	s_add_i32 s13, s8, -1
	v_mov_b32_e32 v72, s12
	s_set_gpr_idx_on s13, gpr_idx(SRC0)
	v_mov_b32_e32 v64, v18
	s_set_gpr_idx_off
	ds_read_b128 v[68:71], v72
	ds_read_b128 v[72:75], v72 offset:16
	s_add_i32 s13, s8, 1
	s_waitcnt lgkmcnt(1)
	v_fmac_f32_e32 v67, v64, v68
	s_set_gpr_idx_on s8, gpr_idx(SRC0)
	v_mov_b32_e32 v64, v18
	s_set_gpr_idx_off
	v_fmac_f32_e32 v67, v64, v69
	s_set_gpr_idx_on s13, gpr_idx(SRC0)
	v_mov_b32_e32 v64, v18
	s_set_gpr_idx_off
	s_add_i32 s13, s8, 2
	v_fmac_f32_e32 v67, v64, v70
	s_set_gpr_idx_on s13, gpr_idx(SRC0)
	v_mov_b32_e32 v64, v18
	s_set_gpr_idx_off
	s_add_i32 s13, s8, 3
	;; [unrolled: 5-line block ×3, first 2 shown]
	s_waitcnt lgkmcnt(0)
	v_fmac_f32_e32 v67, v64, v72
	s_set_gpr_idx_on s13, gpr_idx(SRC0)
	v_mov_b32_e32 v64, v18
	s_set_gpr_idx_off
	s_add_i32 s13, s8, 5
	v_fmac_f32_e32 v67, v64, v73
	s_set_gpr_idx_on s13, gpr_idx(SRC0)
	v_mov_b32_e32 v64, v18
	s_set_gpr_idx_off
	s_add_i32 s13, s8, 6
	v_fmac_f32_e32 v67, v64, v74
	s_set_gpr_idx_on s13, gpr_idx(SRC0)
	v_mov_b32_e32 v64, v18
	s_set_gpr_idx_off
	s_add_u32 s8, s8, 8
	v_fmac_f32_e32 v67, v64, v75
	v_add_u32_e32 v64, s8, v66
	s_addc_u32 s9, s9, 0
	s_add_i32 s12, s12, 32
	v_cmp_eq_u32_e32 vcc, 5, v64
	s_add_i32 s13, s8, -1
	s_or_b64 s[10:11], vcc, s[10:11]
	v_mov_b32_e32 v64, s13
	s_andn2_b64 exec, exec, s[10:11]
	s_cbranch_execnz .LBB14_153
; %bb.154:
	s_or_b64 exec, exec, s[10:11]
.LBB14_155:
	s_or_b64 exec, exec, s[2:3]
	v_and_b32_e32 v33, 7, v17
	v_cmp_ne_u32_e32 vcc, 0, v33
	s_and_saveexec_b64 s[8:9], vcc
	s_cbranch_execz .LBB14_159
; %bb.156:
	v_lshl_add_u32 v66, v64, 2, 64
	v_mov_b32_e32 v17, 0
	s_mov_b64 s[10:11], 0
.LBB14_157:                             ; =>This Inner Loop Header: Depth=1
	v_cmp_eq_u32_e32 vcc, 1, v64
	v_cndmask_b32_e32 v68, v18, v19, vcc
	v_add_u32_e32 v33, -1, v33
	v_cmp_eq_u32_e32 vcc, 2, v64
	v_cndmask_b32_e32 v68, v68, v20, vcc
	v_cmp_eq_u32_e32 vcc, 0, v33
	v_cmp_eq_u32_e64 s[2:3], 3, v64
	v_cndmask_b32_e64 v68, v68, v21, s[2:3]
	s_or_b64 s[10:11], vcc, s[10:11]
	v_cmp_eq_u32_e32 vcc, 4, v64
	v_cndmask_b32_e32 v68, v68, v22, vcc
	v_cmp_eq_u32_e32 vcc, 5, v64
	v_cndmask_b32_e32 v68, v68, v23, vcc
	;; [unrolled: 2-line block ×6, first 2 shown]
	v_cmp_eq_u32_e32 vcc, 10, v64
	ds_read_b32 v69, v66
	v_cndmask_b32_e32 v68, v68, v28, vcc
	v_cmp_eq_u32_e32 vcc, 11, v64
	v_cndmask_b32_e32 v68, v68, v29, vcc
	v_cmp_eq_u32_e32 vcc, 12, v64
	v_cndmask_b32_e32 v68, v68, v30, vcc
	v_cmp_eq_u32_e32 vcc, 13, v64
	v_cndmask_b32_e32 v68, v68, v31, vcc
	v_cmp_eq_u32_e32 vcc, 14, v64
	v_add_co_u32_e64 v64, s[2:3], 1, v64
	v_cndmask_b32_e32 v68, v68, v32, vcc
	v_add_u32_e32 v66, 4, v66
	v_addc_co_u32_e64 v17, s[2:3], 0, v17, s[2:3]
	s_waitcnt lgkmcnt(0)
	v_fmac_f32_e32 v67, v68, v69
	s_andn2_b64 exec, exec, s[10:11]
	s_cbranch_execnz .LBB14_157
; %bb.158:
	s_or_b64 exec, exec, s[10:11]
.LBB14_159:
	s_or_b64 exec, exec, s[8:9]
.LBB14_160:
	s_or_b64 exec, exec, s[6:7]
	v_mov_b32_e32 v17, 0
	ds_read_b32 v17, v17 offset:12
	s_waitcnt lgkmcnt(0)
	v_mul_f32_e32 v21, v67, v17
.LBB14_161:
	s_or_b64 exec, exec, s[4:5]
	v_cmp_lt_u32_e64 s[2:3], 2, v0
	ds_write_b32 v65, v20
	s_waitcnt lgkmcnt(0)
	; wave barrier
	s_waitcnt lgkmcnt(0)
	s_and_saveexec_b64 s[4:5], s[2:3]
	s_cbranch_execz .LBB14_177
; %bb.162:
	s_andn2_b64 vcc, exec, s[30:31]
	s_cbranch_vccnz .LBB14_164
; %bb.163:
	v_cmp_eq_u32_e32 vcc, 1, v0
	v_cndmask_b32_e32 v17, v18, v19, vcc
	v_cmp_eq_u32_e32 vcc, 2, v0
	v_cndmask_b32_e32 v17, v17, v20, vcc
	;; [unrolled: 2-line block ×10, first 2 shown]
	v_cmp_eq_u32_e32 vcc, 11, v0
	ds_read_b32 v64, v65
	v_cndmask_b32_e32 v17, v17, v29, vcc
	v_cmp_eq_u32_e32 vcc, 12, v0
	v_cndmask_b32_e32 v17, v17, v30, vcc
	v_cmp_eq_u32_e32 vcc, 13, v0
	;; [unrolled: 2-line block ×3, first 2 shown]
	v_cndmask_b32_e32 v17, v17, v32, vcc
	s_waitcnt lgkmcnt(0)
	v_mul_f32_e32 v67, v17, v64
	s_cbranch_execz .LBB14_165
	s_branch .LBB14_166
.LBB14_164:
                                        ; implicit-def: $vgpr67
.LBB14_165:
	ds_read_b32 v67, v65
.LBB14_166:
	s_and_saveexec_b64 s[6:7], s[0:1]
	s_cbranch_execz .LBB14_176
; %bb.167:
	v_add_u32_e32 v64, -4, v0
	v_add_u32_e32 v17, -3, v0
	v_cmp_lt_u32_e32 vcc, 6, v64
	v_mov_b32_e32 v64, 3
	s_and_saveexec_b64 s[0:1], vcc
	s_cbranch_execz .LBB14_171
; %bb.168:
	v_and_b32_e32 v64, -8, v17
	v_sub_u32_e32 v66, 0, v64
	s_mov_b64 s[8:9], 10
	s_movk_i32 s12, 0x4c
	s_mov_b64 s[10:11], 0
.LBB14_169:                             ; =>This Inner Loop Header: Depth=1
	s_add_i32 s13, s8, -7
	v_mov_b32_e32 v64, s12
	s_add_i32 s14, s8, -6
	s_set_gpr_idx_on s13, gpr_idx(SRC0)
	v_mov_b32_e32 v74, v18
	s_set_gpr_idx_off
	ds_read2_b32 v[68:69], v64 offset1:1
	s_add_i32 s15, s8, -5
	s_set_gpr_idx_on s14, gpr_idx(SRC0)
	v_mov_b32_e32 v75, v18
	s_set_gpr_idx_off
	s_add_i32 s16, s8, -4
	s_set_gpr_idx_on s15, gpr_idx(SRC0)
	v_mov_b32_e32 v76, v18
	s_set_gpr_idx_off
	ds_read2_b32 v[70:71], v64 offset0:2 offset1:3
	s_add_i32 s17, s8, -3
	s_set_gpr_idx_on s16, gpr_idx(SRC0)
	v_mov_b32_e32 v77, v18
	s_set_gpr_idx_off
	s_add_i32 s18, s8, -2
	s_set_gpr_idx_on s17, gpr_idx(SRC0)
	v_mov_b32_e32 v78, v18
	s_set_gpr_idx_off
	ds_read2_b32 v[72:73], v64 offset0:4 offset1:5
	s_add_i32 s19, s8, -1
	s_waitcnt lgkmcnt(2)
	v_fmac_f32_e32 v67, v74, v68
	s_set_gpr_idx_on s18, gpr_idx(SRC0)
	v_mov_b32_e32 v74, v18
	s_set_gpr_idx_off
	v_fmac_f32_e32 v67, v75, v69
	s_set_gpr_idx_on s19, gpr_idx(SRC0)
	v_mov_b32_e32 v75, v18
	s_set_gpr_idx_off
	ds_read2_b32 v[68:69], v64 offset0:6 offset1:7
	s_waitcnt lgkmcnt(2)
	v_fmac_f32_e32 v67, v76, v70
	s_set_gpr_idx_on s8, gpr_idx(SRC0)
	v_mov_b32_e32 v70, v18
	s_set_gpr_idx_off
	v_fmac_f32_e32 v67, v77, v71
	s_add_u32 s8, s8, 8
	s_waitcnt lgkmcnt(1)
	v_fmac_f32_e32 v67, v78, v72
	v_add_u32_e32 v64, s8, v66
	v_fmac_f32_e32 v67, v74, v73
	s_addc_u32 s9, s9, 0
	s_add_i32 s12, s12, 32
	s_add_i32 s13, s8, -7
	v_cmp_eq_u32_e32 vcc, 10, v64
	s_waitcnt lgkmcnt(0)
	v_fmac_f32_e32 v67, v75, v68
	v_mov_b32_e32 v64, s13
	s_or_b64 s[10:11], vcc, s[10:11]
	v_fmac_f32_e32 v67, v70, v69
	s_andn2_b64 exec, exec, s[10:11]
	s_cbranch_execnz .LBB14_169
; %bb.170:
	s_or_b64 exec, exec, s[10:11]
.LBB14_171:
	s_or_b64 exec, exec, s[0:1]
	v_and_b32_e32 v33, 7, v17
	v_cmp_ne_u32_e32 vcc, 0, v33
	s_and_saveexec_b64 s[8:9], vcc
	s_cbranch_execz .LBB14_175
; %bb.172:
	v_lshl_add_u32 v66, v64, 2, 64
	v_mov_b32_e32 v17, 0
	s_mov_b64 s[10:11], 0
.LBB14_173:                             ; =>This Inner Loop Header: Depth=1
	v_cmp_eq_u32_e32 vcc, 1, v64
	v_cndmask_b32_e32 v68, v18, v19, vcc
	v_add_u32_e32 v33, -1, v33
	v_cmp_eq_u32_e32 vcc, 2, v64
	v_cndmask_b32_e32 v68, v68, v20, vcc
	v_cmp_eq_u32_e32 vcc, 0, v33
	v_cmp_eq_u32_e64 s[0:1], 3, v64
	v_cndmask_b32_e64 v68, v68, v21, s[0:1]
	s_or_b64 s[10:11], vcc, s[10:11]
	v_cmp_eq_u32_e32 vcc, 4, v64
	v_cndmask_b32_e32 v68, v68, v22, vcc
	v_cmp_eq_u32_e32 vcc, 5, v64
	v_cndmask_b32_e32 v68, v68, v23, vcc
	;; [unrolled: 2-line block ×6, first 2 shown]
	v_cmp_eq_u32_e32 vcc, 10, v64
	ds_read_b32 v69, v66
	v_cndmask_b32_e32 v68, v68, v28, vcc
	v_cmp_eq_u32_e32 vcc, 11, v64
	v_cndmask_b32_e32 v68, v68, v29, vcc
	v_cmp_eq_u32_e32 vcc, 12, v64
	;; [unrolled: 2-line block ×4, first 2 shown]
	v_add_co_u32_e64 v64, s[0:1], 1, v64
	v_cndmask_b32_e32 v68, v68, v32, vcc
	v_add_u32_e32 v66, 4, v66
	v_addc_co_u32_e64 v17, s[0:1], 0, v17, s[0:1]
	s_waitcnt lgkmcnt(0)
	v_fmac_f32_e32 v67, v68, v69
	s_andn2_b64 exec, exec, s[10:11]
	s_cbranch_execnz .LBB14_173
; %bb.174:
	s_or_b64 exec, exec, s[10:11]
.LBB14_175:
	s_or_b64 exec, exec, s[8:9]
.LBB14_176:
	s_or_b64 exec, exec, s[6:7]
	v_mov_b32_e32 v17, 0
	ds_read_b32 v17, v17 offset:8
	s_waitcnt lgkmcnt(0)
	v_mul_f32_e32 v20, v67, v17
.LBB14_177:
	s_or_b64 exec, exec, s[4:5]
	v_cmp_lt_u32_e64 s[0:1], 1, v0
	ds_write_b32 v65, v19
	s_waitcnt lgkmcnt(0)
	; wave barrier
	s_waitcnt lgkmcnt(0)
	s_and_saveexec_b64 s[4:5], s[0:1]
	s_cbranch_execz .LBB14_193
; %bb.178:
	s_andn2_b64 vcc, exec, s[30:31]
	s_cbranch_vccnz .LBB14_180
; %bb.179:
	v_cmp_eq_u32_e32 vcc, 1, v0
	v_cndmask_b32_e32 v17, v18, v19, vcc
	v_cmp_eq_u32_e32 vcc, 2, v0
	v_cndmask_b32_e32 v17, v17, v20, vcc
	;; [unrolled: 2-line block ×10, first 2 shown]
	v_cmp_eq_u32_e32 vcc, 11, v0
	ds_read_b32 v64, v65
	v_cndmask_b32_e32 v17, v17, v29, vcc
	v_cmp_eq_u32_e32 vcc, 12, v0
	v_cndmask_b32_e32 v17, v17, v30, vcc
	v_cmp_eq_u32_e32 vcc, 13, v0
	;; [unrolled: 2-line block ×3, first 2 shown]
	v_cndmask_b32_e32 v17, v17, v32, vcc
	s_waitcnt lgkmcnt(0)
	v_mul_f32_e32 v67, v17, v64
	s_cbranch_execz .LBB14_181
	s_branch .LBB14_182
.LBB14_180:
                                        ; implicit-def: $vgpr67
.LBB14_181:
	ds_read_b32 v67, v65
.LBB14_182:
	s_and_saveexec_b64 s[6:7], s[2:3]
	s_cbranch_execz .LBB14_192
; %bb.183:
	v_add_u32_e32 v64, -3, v0
	v_add_u32_e32 v17, -2, v0
	v_cmp_lt_u32_e32 vcc, 6, v64
	v_mov_b32_e32 v64, 2
	s_and_saveexec_b64 s[2:3], vcc
	s_cbranch_execz .LBB14_187
; %bb.184:
	v_and_b32_e32 v64, -8, v17
	v_sub_u32_e32 v66, 0, v64
	s_mov_b64 s[8:9], 9
	s_movk_i32 s12, 0x48
	s_mov_b64 s[10:11], 0
.LBB14_185:                             ; =>This Inner Loop Header: Depth=1
	s_add_i32 s13, s8, -7
	v_mov_b32_e32 v72, s12
	s_set_gpr_idx_on s13, gpr_idx(SRC0)
	v_mov_b32_e32 v64, v18
	s_set_gpr_idx_off
	ds_read2_b64 v[68:71], v72 offset1:1
	s_add_i32 s13, s8, -6
	s_waitcnt lgkmcnt(0)
	v_fmac_f32_e32 v67, v64, v68
	s_set_gpr_idx_on s13, gpr_idx(SRC0)
	v_mov_b32_e32 v64, v18
	s_set_gpr_idx_off
	s_add_i32 s13, s8, -5
	v_fmac_f32_e32 v67, v64, v69
	s_set_gpr_idx_on s13, gpr_idx(SRC0)
	v_mov_b32_e32 v64, v18
	s_set_gpr_idx_off
	s_add_i32 s13, s8, -4
	;; [unrolled: 5-line block ×3, first 2 shown]
	v_fmac_f32_e32 v67, v64, v71
	s_set_gpr_idx_on s13, gpr_idx(SRC0)
	v_mov_b32_e32 v64, v18
	s_set_gpr_idx_off
	ds_read2_b64 v[68:71], v72 offset0:2 offset1:3
	s_add_i32 s13, s8, -2
	s_waitcnt lgkmcnt(0)
	v_fmac_f32_e32 v67, v64, v68
	s_set_gpr_idx_on s13, gpr_idx(SRC0)
	v_mov_b32_e32 v64, v18
	s_set_gpr_idx_off
	s_add_i32 s13, s8, -1
	v_fmac_f32_e32 v67, v64, v69
	s_set_gpr_idx_on s13, gpr_idx(SRC0)
	v_mov_b32_e32 v64, v18
	s_set_gpr_idx_off
	v_fmac_f32_e32 v67, v64, v70
	s_set_gpr_idx_on s8, gpr_idx(SRC0)
	v_mov_b32_e32 v64, v18
	s_set_gpr_idx_off
	s_add_u32 s8, s8, 8
	v_fmac_f32_e32 v67, v64, v71
	v_add_u32_e32 v64, s8, v66
	s_addc_u32 s9, s9, 0
	s_add_i32 s12, s12, 32
	v_cmp_eq_u32_e32 vcc, 9, v64
	s_add_i32 s13, s8, -7
	s_or_b64 s[10:11], vcc, s[10:11]
	v_mov_b32_e32 v64, s13
	s_andn2_b64 exec, exec, s[10:11]
	s_cbranch_execnz .LBB14_185
; %bb.186:
	s_or_b64 exec, exec, s[10:11]
.LBB14_187:
	s_or_b64 exec, exec, s[2:3]
	v_and_b32_e32 v33, 7, v17
	v_cmp_ne_u32_e32 vcc, 0, v33
	s_and_saveexec_b64 s[8:9], vcc
	s_cbranch_execz .LBB14_191
; %bb.188:
	v_lshl_add_u32 v66, v64, 2, 64
	v_mov_b32_e32 v17, 0
	s_mov_b64 s[10:11], 0
.LBB14_189:                             ; =>This Inner Loop Header: Depth=1
	v_cmp_eq_u32_e32 vcc, 1, v64
	v_cndmask_b32_e32 v68, v18, v19, vcc
	v_add_u32_e32 v33, -1, v33
	v_cmp_eq_u32_e32 vcc, 2, v64
	v_cndmask_b32_e32 v68, v68, v20, vcc
	v_cmp_eq_u32_e32 vcc, 0, v33
	v_cmp_eq_u32_e64 s[2:3], 3, v64
	v_cndmask_b32_e64 v68, v68, v21, s[2:3]
	s_or_b64 s[10:11], vcc, s[10:11]
	v_cmp_eq_u32_e32 vcc, 4, v64
	v_cndmask_b32_e32 v68, v68, v22, vcc
	v_cmp_eq_u32_e32 vcc, 5, v64
	v_cndmask_b32_e32 v68, v68, v23, vcc
	;; [unrolled: 2-line block ×6, first 2 shown]
	v_cmp_eq_u32_e32 vcc, 10, v64
	ds_read_b32 v69, v66
	v_cndmask_b32_e32 v68, v68, v28, vcc
	v_cmp_eq_u32_e32 vcc, 11, v64
	v_cndmask_b32_e32 v68, v68, v29, vcc
	v_cmp_eq_u32_e32 vcc, 12, v64
	;; [unrolled: 2-line block ×4, first 2 shown]
	v_add_co_u32_e64 v64, s[2:3], 1, v64
	v_cndmask_b32_e32 v68, v68, v32, vcc
	v_add_u32_e32 v66, 4, v66
	v_addc_co_u32_e64 v17, s[2:3], 0, v17, s[2:3]
	s_waitcnt lgkmcnt(0)
	v_fmac_f32_e32 v67, v68, v69
	s_andn2_b64 exec, exec, s[10:11]
	s_cbranch_execnz .LBB14_189
; %bb.190:
	s_or_b64 exec, exec, s[10:11]
.LBB14_191:
	s_or_b64 exec, exec, s[8:9]
.LBB14_192:
	s_or_b64 exec, exec, s[6:7]
	v_mov_b32_e32 v17, 0
	ds_read_b32 v17, v17 offset:4
	s_waitcnt lgkmcnt(0)
	v_mul_f32_e32 v19, v67, v17
.LBB14_193:
	s_or_b64 exec, exec, s[4:5]
	v_cmp_ne_u32_e32 vcc, 0, v0
	ds_write_b32 v65, v18
	s_waitcnt lgkmcnt(0)
	; wave barrier
	s_waitcnt lgkmcnt(0)
	s_and_saveexec_b64 s[2:3], vcc
	s_cbranch_execz .LBB14_209
; %bb.194:
	s_andn2_b64 vcc, exec, s[30:31]
	s_cbranch_vccnz .LBB14_196
; %bb.195:
	v_cmp_eq_u32_e32 vcc, 1, v0
	v_cndmask_b32_e32 v17, v18, v19, vcc
	v_cmp_eq_u32_e32 vcc, 2, v0
	v_cndmask_b32_e32 v17, v17, v20, vcc
	;; [unrolled: 2-line block ×10, first 2 shown]
	v_cmp_eq_u32_e32 vcc, 11, v0
	ds_read_b32 v64, v65
	v_cndmask_b32_e32 v17, v17, v29, vcc
	v_cmp_eq_u32_e32 vcc, 12, v0
	v_cndmask_b32_e32 v17, v17, v30, vcc
	v_cmp_eq_u32_e32 vcc, 13, v0
	;; [unrolled: 2-line block ×3, first 2 shown]
	v_cndmask_b32_e32 v17, v17, v32, vcc
	s_waitcnt lgkmcnt(0)
	v_mul_f32_e32 v67, v17, v64
	s_cbranch_execz .LBB14_197
	s_branch .LBB14_198
.LBB14_196:
                                        ; implicit-def: $vgpr67
.LBB14_197:
	ds_read_b32 v67, v65
.LBB14_198:
	s_and_saveexec_b64 s[4:5], s[0:1]
	s_cbranch_execz .LBB14_208
; %bb.199:
	v_add_u32_e32 v64, -2, v0
	v_add_u32_e32 v17, -1, v0
	v_cmp_lt_u32_e32 vcc, 6, v64
	v_mov_b32_e32 v64, 1
	s_and_saveexec_b64 s[0:1], vcc
	s_cbranch_execz .LBB14_203
; %bb.200:
	v_and_b32_e32 v64, -8, v17
	v_sub_u32_e32 v66, 0, v64
	s_mov_b64 s[6:7], 8
	s_movk_i32 s10, 0x44
	s_mov_b64 s[8:9], 0
.LBB14_201:                             ; =>This Inner Loop Header: Depth=1
	s_add_i32 s11, s6, -7
	v_mov_b32_e32 v64, s10
	s_add_i32 s12, s6, -6
	s_set_gpr_idx_on s11, gpr_idx(SRC0)
	v_mov_b32_e32 v74, v18
	s_set_gpr_idx_off
	ds_read2_b32 v[68:69], v64 offset1:1
	s_add_i32 s13, s6, -5
	s_set_gpr_idx_on s12, gpr_idx(SRC0)
	v_mov_b32_e32 v75, v18
	s_set_gpr_idx_off
	s_add_i32 s14, s6, -4
	s_set_gpr_idx_on s13, gpr_idx(SRC0)
	v_mov_b32_e32 v76, v18
	s_set_gpr_idx_off
	ds_read2_b32 v[70:71], v64 offset0:2 offset1:3
	s_add_i32 s15, s6, -3
	s_set_gpr_idx_on s14, gpr_idx(SRC0)
	v_mov_b32_e32 v77, v18
	s_set_gpr_idx_off
	s_add_i32 s16, s6, -2
	s_set_gpr_idx_on s15, gpr_idx(SRC0)
	v_mov_b32_e32 v78, v18
	s_set_gpr_idx_off
	ds_read2_b32 v[72:73], v64 offset0:4 offset1:5
	s_add_i32 s17, s6, -1
	s_waitcnt lgkmcnt(2)
	v_fmac_f32_e32 v67, v74, v68
	s_set_gpr_idx_on s16, gpr_idx(SRC0)
	v_mov_b32_e32 v74, v18
	s_set_gpr_idx_off
	v_fmac_f32_e32 v67, v75, v69
	s_set_gpr_idx_on s17, gpr_idx(SRC0)
	v_mov_b32_e32 v75, v18
	s_set_gpr_idx_off
	ds_read2_b32 v[68:69], v64 offset0:6 offset1:7
	s_waitcnt lgkmcnt(2)
	v_fmac_f32_e32 v67, v76, v70
	s_set_gpr_idx_on s6, gpr_idx(SRC0)
	v_mov_b32_e32 v70, v18
	s_set_gpr_idx_off
	v_fmac_f32_e32 v67, v77, v71
	s_add_u32 s6, s6, 8
	s_waitcnt lgkmcnt(1)
	v_fmac_f32_e32 v67, v78, v72
	v_add_u32_e32 v64, s6, v66
	v_fmac_f32_e32 v67, v74, v73
	s_addc_u32 s7, s7, 0
	s_add_i32 s10, s10, 32
	s_add_i32 s11, s6, -7
	v_cmp_eq_u32_e32 vcc, 8, v64
	s_waitcnt lgkmcnt(0)
	v_fmac_f32_e32 v67, v75, v68
	v_mov_b32_e32 v64, s11
	s_or_b64 s[8:9], vcc, s[8:9]
	v_fmac_f32_e32 v67, v70, v69
	s_andn2_b64 exec, exec, s[8:9]
	s_cbranch_execnz .LBB14_201
; %bb.202:
	s_or_b64 exec, exec, s[8:9]
.LBB14_203:
	s_or_b64 exec, exec, s[0:1]
	v_and_b32_e32 v33, 7, v17
	v_cmp_ne_u32_e32 vcc, 0, v33
	s_and_saveexec_b64 s[6:7], vcc
	s_cbranch_execz .LBB14_207
; %bb.204:
	v_lshl_add_u32 v66, v64, 2, 64
	v_mov_b32_e32 v17, 0
	s_mov_b64 s[8:9], 0
.LBB14_205:                             ; =>This Inner Loop Header: Depth=1
	v_cmp_eq_u32_e32 vcc, 1, v64
	v_cndmask_b32_e32 v68, v18, v19, vcc
	v_add_u32_e32 v33, -1, v33
	v_cmp_eq_u32_e32 vcc, 2, v64
	v_cndmask_b32_e32 v68, v68, v20, vcc
	v_cmp_eq_u32_e32 vcc, 0, v33
	v_cmp_eq_u32_e64 s[0:1], 3, v64
	v_cndmask_b32_e64 v68, v68, v21, s[0:1]
	s_or_b64 s[8:9], vcc, s[8:9]
	v_cmp_eq_u32_e32 vcc, 4, v64
	v_cndmask_b32_e32 v68, v68, v22, vcc
	v_cmp_eq_u32_e32 vcc, 5, v64
	v_cndmask_b32_e32 v68, v68, v23, vcc
	;; [unrolled: 2-line block ×6, first 2 shown]
	v_cmp_eq_u32_e32 vcc, 10, v64
	ds_read_b32 v69, v66
	v_cndmask_b32_e32 v68, v68, v28, vcc
	v_cmp_eq_u32_e32 vcc, 11, v64
	v_cndmask_b32_e32 v68, v68, v29, vcc
	v_cmp_eq_u32_e32 vcc, 12, v64
	;; [unrolled: 2-line block ×4, first 2 shown]
	v_add_co_u32_e64 v64, s[0:1], 1, v64
	v_cndmask_b32_e32 v68, v68, v32, vcc
	v_add_u32_e32 v66, 4, v66
	v_addc_co_u32_e64 v17, s[0:1], 0, v17, s[0:1]
	s_waitcnt lgkmcnt(0)
	v_fmac_f32_e32 v67, v68, v69
	s_andn2_b64 exec, exec, s[8:9]
	s_cbranch_execnz .LBB14_205
; %bb.206:
	s_or_b64 exec, exec, s[8:9]
.LBB14_207:
	s_or_b64 exec, exec, s[6:7]
.LBB14_208:
	s_or_b64 exec, exec, s[4:5]
	v_mov_b32_e32 v17, 0
	ds_read_b32 v17, v17
	s_waitcnt lgkmcnt(0)
	v_mul_f32_e32 v18, v67, v17
.LBB14_209:
	s_or_b64 exec, exec, s[2:3]
	s_branch .LBB14_355
.LBB14_210:
	v_cmp_eq_u32_e64 s[2:3], 0, v0
	s_waitcnt vmcnt(14)
	ds_write_b32 v65, v3
	s_waitcnt lgkmcnt(0)
	; wave barrier
	s_waitcnt lgkmcnt(0)
	s_and_saveexec_b64 s[0:1], s[2:3]
	s_cbranch_execz .LBB14_216
; %bb.211:
	s_and_b64 vcc, exec, s[30:31]
	s_cbranch_vccz .LBB14_213
; %bb.212:
	v_cmp_eq_u32_e32 vcc, 1, v0
	s_waitcnt vmcnt(1)
	v_cndmask_b32_e32 v3, v2, v3, vcc
	v_cmp_eq_u32_e32 vcc, 2, v0
	v_cndmask_b32_e32 v3, v3, v4, vcc
	v_cmp_eq_u32_e32 vcc, 3, v0
	;; [unrolled: 2-line block ×10, first 2 shown]
	ds_read_b32 v17, v65
	v_cndmask_b32_e32 v3, v3, v13, vcc
	v_cmp_eq_u32_e32 vcc, 12, v0
	v_cndmask_b32_e32 v3, v3, v14, vcc
	v_cmp_eq_u32_e32 vcc, 13, v0
	;; [unrolled: 2-line block ×3, first 2 shown]
	s_waitcnt vmcnt(0)
	v_cndmask_b32_e32 v3, v3, v16, vcc
	s_waitcnt lgkmcnt(0)
	v_mul_f32_e32 v3, v3, v17
	s_cbranch_execz .LBB14_214
	s_branch .LBB14_215
.LBB14_213:
                                        ; implicit-def: $vgpr3
.LBB14_214:
	ds_read_b32 v3, v65
.LBB14_215:
	v_mov_b32_e32 v17, 0
	ds_read_b32 v17, v17 offset:4
	s_waitcnt lgkmcnt(0)
	v_mul_f32_e32 v3, v3, v17
.LBB14_216:
	s_or_b64 exec, exec, s[0:1]
	v_cndmask_b32_e64 v18, 0, 1, s[30:31]
	v_add_u32_e32 v17, 1, v0
	v_cmp_gt_u32_e32 vcc, 2, v0
	v_cmp_ne_u32_e64 s[0:1], 1, v18
	s_waitcnt vmcnt(13)
	ds_write_b32 v65, v4
	s_waitcnt lgkmcnt(0)
	; wave barrier
	s_waitcnt lgkmcnt(0)
	s_and_saveexec_b64 s[4:5], vcc
	s_cbranch_execz .LBB14_224
; %bb.217:
	s_and_b64 vcc, exec, s[0:1]
	s_cbranch_vccnz .LBB14_219
; %bb.218:
	v_cmp_eq_u32_e32 vcc, 1, v0
	s_waitcnt vmcnt(1)
	v_cndmask_b32_e32 v18, v2, v3, vcc
	v_cmp_eq_u32_e32 vcc, 2, v0
	v_cndmask_b32_e32 v18, v18, v4, vcc
	v_cmp_eq_u32_e32 vcc, 3, v0
	;; [unrolled: 2-line block ×10, first 2 shown]
	ds_read_b32 v19, v65
	v_cndmask_b32_e32 v18, v18, v13, vcc
	v_cmp_eq_u32_e32 vcc, 12, v0
	v_cndmask_b32_e32 v18, v18, v14, vcc
	v_cmp_eq_u32_e32 vcc, 13, v0
	;; [unrolled: 2-line block ×3, first 2 shown]
	s_waitcnt vmcnt(0)
	v_cndmask_b32_e32 v18, v18, v16, vcc
	s_waitcnt lgkmcnt(0)
	v_mul_f32_e32 v18, v18, v19
	s_cbranch_execz .LBB14_220
	s_branch .LBB14_221
.LBB14_219:
                                        ; implicit-def: $vgpr18
.LBB14_220:
	ds_read_b32 v18, v65
.LBB14_221:
	s_and_saveexec_b64 s[6:7], s[2:3]
	s_cbranch_execz .LBB14_223
; %bb.222:
	v_cmp_eq_u32_e32 vcc, 1, v17
	s_waitcnt vmcnt(1)
	v_cndmask_b32_e32 v19, v2, v3, vcc
	v_cmp_eq_u32_e32 vcc, 2, v17
	v_cndmask_b32_e32 v4, v19, v4, vcc
	v_cmp_eq_u32_e32 vcc, 3, v17
	;; [unrolled: 2-line block ×10, first 2 shown]
	ds_read_b32 v19, v65 offset:4
	v_cndmask_b32_e32 v4, v4, v13, vcc
	v_cmp_eq_u32_e32 vcc, 12, v17
	v_cndmask_b32_e32 v4, v4, v14, vcc
	v_cmp_eq_u32_e32 vcc, 13, v17
	;; [unrolled: 2-line block ×3, first 2 shown]
	s_waitcnt vmcnt(0)
	v_cndmask_b32_e32 v4, v4, v16, vcc
	s_waitcnt lgkmcnt(0)
	v_fmac_f32_e32 v18, v4, v19
.LBB14_223:
	s_or_b64 exec, exec, s[6:7]
	v_mov_b32_e32 v4, 0
	ds_read_b32 v4, v4 offset:8
	s_waitcnt lgkmcnt(0)
	v_mul_f32_e32 v4, v18, v4
.LBB14_224:
	s_or_b64 exec, exec, s[4:5]
	v_cmp_gt_u32_e64 s[4:5], 3, v0
	s_waitcnt vmcnt(12)
	ds_write_b32 v65, v5
	s_waitcnt lgkmcnt(0)
	; wave barrier
	s_waitcnt lgkmcnt(0)
	s_and_saveexec_b64 s[6:7], s[4:5]
	s_cbranch_execz .LBB14_232
; %bb.225:
	s_and_b64 vcc, exec, s[0:1]
	s_cbranch_vccnz .LBB14_227
; %bb.226:
	v_cmp_eq_u32_e32 vcc, 1, v0
	s_waitcnt vmcnt(1)
	v_cndmask_b32_e32 v18, v2, v3, vcc
	v_cmp_eq_u32_e32 vcc, 2, v0
	v_cndmask_b32_e32 v18, v18, v4, vcc
	v_cmp_eq_u32_e32 vcc, 3, v0
	;; [unrolled: 2-line block ×10, first 2 shown]
	ds_read_b32 v19, v65
	v_cndmask_b32_e32 v18, v18, v13, vcc
	v_cmp_eq_u32_e32 vcc, 12, v0
	v_cndmask_b32_e32 v18, v18, v14, vcc
	v_cmp_eq_u32_e32 vcc, 13, v0
	;; [unrolled: 2-line block ×3, first 2 shown]
	s_waitcnt vmcnt(0)
	v_cndmask_b32_e32 v18, v18, v16, vcc
	s_waitcnt lgkmcnt(0)
	v_mul_f32_e32 v18, v18, v19
	s_cbranch_execz .LBB14_228
	s_branch .LBB14_229
.LBB14_227:
                                        ; implicit-def: $vgpr18
.LBB14_228:
	ds_read_b32 v18, v65
.LBB14_229:
	v_cmp_ne_u32_e32 vcc, 2, v0
	s_and_saveexec_b64 s[8:9], vcc
	s_cbranch_execz .LBB14_231
; %bb.230:
	v_cmp_eq_u32_e32 vcc, 1, v17
	s_waitcnt vmcnt(1)
	v_cndmask_b32_e32 v19, v2, v3, vcc
	v_cmp_eq_u32_e32 vcc, 2, v17
	v_cndmask_b32_e32 v19, v19, v4, vcc
	v_cmp_eq_u32_e32 vcc, 3, v17
	;; [unrolled: 2-line block ×10, first 2 shown]
	v_mov_b32_e32 v19, 0
	v_cndmask_b32_e32 v5, v5, v13, vcc
	v_cmp_eq_u32_e32 vcc, 12, v17
	ds_read_b32 v20, v65 offset:4
	ds_read_b32 v19, v19 offset:72
	v_cndmask_b32_e32 v5, v5, v14, vcc
	v_cmp_eq_u32_e32 vcc, 13, v17
	v_cndmask_b32_e32 v5, v5, v15, vcc
	v_cmp_eq_u32_e32 vcc, 14, v17
	s_waitcnt vmcnt(0)
	v_cndmask_b32_e32 v5, v5, v16, vcc
	s_waitcnt lgkmcnt(1)
	v_fmac_f32_e32 v18, v5, v20
	s_waitcnt lgkmcnt(0)
	v_fma_f32 v5, v4, v19, v18
	v_cndmask_b32_e64 v18, v18, v5, s[2:3]
.LBB14_231:
	s_or_b64 exec, exec, s[8:9]
	v_mov_b32_e32 v5, 0
	ds_read_b32 v5, v5 offset:12
	s_waitcnt lgkmcnt(0)
	v_mul_f32_e32 v5, v18, v5
.LBB14_232:
	s_or_b64 exec, exec, s[6:7]
	v_cmp_gt_u32_e32 vcc, 4, v0
	s_waitcnt vmcnt(11)
	ds_write_b32 v65, v6
	s_waitcnt lgkmcnt(0)
	; wave barrier
	s_waitcnt lgkmcnt(0)
	s_and_saveexec_b64 s[8:9], vcc
	s_cbranch_execz .LBB14_242
; %bb.233:
	s_and_b64 vcc, exec, s[0:1]
	s_cbranch_vccnz .LBB14_235
; %bb.234:
	v_cmp_eq_u32_e32 vcc, 1, v0
	s_waitcnt vmcnt(1)
	v_cndmask_b32_e32 v18, v2, v3, vcc
	v_cmp_eq_u32_e32 vcc, 2, v0
	v_cndmask_b32_e32 v18, v18, v4, vcc
	v_cmp_eq_u32_e32 vcc, 3, v0
	;; [unrolled: 2-line block ×10, first 2 shown]
	ds_read_b32 v19, v65
	v_cndmask_b32_e32 v18, v18, v13, vcc
	v_cmp_eq_u32_e32 vcc, 12, v0
	v_cndmask_b32_e32 v18, v18, v14, vcc
	v_cmp_eq_u32_e32 vcc, 13, v0
	;; [unrolled: 2-line block ×3, first 2 shown]
	s_waitcnt vmcnt(0)
	v_cndmask_b32_e32 v18, v18, v16, vcc
	s_waitcnt lgkmcnt(0)
	v_mul_f32_e32 v20, v18, v19
	s_cbranch_execz .LBB14_236
	s_branch .LBB14_237
.LBB14_235:
                                        ; implicit-def: $vgpr20
.LBB14_236:
	ds_read_b32 v20, v65
.LBB14_237:
	v_cmp_ne_u32_e32 vcc, 3, v0
	s_and_saveexec_b64 s[10:11], vcc
	s_cbranch_execz .LBB14_241
; %bb.238:
	v_mov_b32_e32 v18, 0x44
	v_lshl_add_u32 v21, v0, 2, v18
	s_mov_b64 s[12:13], 0
	v_pk_mov_b32 v[18:19], v[0:1], v[0:1] op_sel:[0,1]
.LBB14_239:                             ; =>This Inner Loop Header: Depth=1
	v_add_co_u32_e32 v18, vcc, 1, v18
	v_addc_co_u32_e32 v19, vcc, 0, v19, vcc
	v_cmp_eq_u32_e32 vcc, 1, v18
	s_waitcnt vmcnt(1)
	v_cndmask_b32_e32 v23, v2, v3, vcc
	v_cmp_lt_u32_e32 vcc, 2, v18
	v_cmp_eq_u32_e64 s[6:7], 2, v18
	v_cndmask_b32_e64 v23, v23, v4, s[6:7]
	s_or_b64 s[12:13], vcc, s[12:13]
	v_cmp_eq_u32_e32 vcc, 3, v18
	v_cndmask_b32_e32 v23, v23, v5, vcc
	v_cmp_eq_u32_e32 vcc, 4, v18
	v_cndmask_b32_e32 v23, v23, v6, vcc
	;; [unrolled: 2-line block ×7, first 2 shown]
	v_cmp_eq_u32_e32 vcc, 10, v18
	ds_read_b32 v22, v21
	v_cndmask_b32_e32 v23, v23, v12, vcc
	v_cmp_eq_u32_e32 vcc, 11, v18
	v_cndmask_b32_e32 v23, v23, v13, vcc
	v_cmp_eq_u32_e32 vcc, 12, v18
	;; [unrolled: 2-line block ×4, first 2 shown]
	s_waitcnt vmcnt(0)
	v_cndmask_b32_e32 v23, v23, v16, vcc
	v_add_u32_e32 v21, 4, v21
	s_waitcnt lgkmcnt(0)
	v_fmac_f32_e32 v20, v23, v22
	s_andn2_b64 exec, exec, s[12:13]
	s_cbranch_execnz .LBB14_239
; %bb.240:
	s_or_b64 exec, exec, s[12:13]
.LBB14_241:
	s_or_b64 exec, exec, s[10:11]
	v_mov_b32_e32 v6, 0
	ds_read_b32 v6, v6 offset:16
	s_waitcnt lgkmcnt(0)
	v_mul_f32_e32 v6, v20, v6
.LBB14_242:
	s_or_b64 exec, exec, s[8:9]
	v_cmp_gt_u32_e64 s[6:7], 5, v0
	s_waitcnt vmcnt(10)
	ds_write_b32 v65, v7
	s_waitcnt lgkmcnt(0)
	; wave barrier
	s_waitcnt lgkmcnt(0)
	s_and_saveexec_b64 s[10:11], s[6:7]
	s_cbranch_execz .LBB14_252
; %bb.243:
	s_and_b64 vcc, exec, s[0:1]
	s_cbranch_vccnz .LBB14_245
; %bb.244:
	v_cmp_eq_u32_e32 vcc, 1, v0
	s_waitcnt vmcnt(1)
	v_cndmask_b32_e32 v18, v2, v3, vcc
	v_cmp_eq_u32_e32 vcc, 2, v0
	v_cndmask_b32_e32 v18, v18, v4, vcc
	v_cmp_eq_u32_e32 vcc, 3, v0
	;; [unrolled: 2-line block ×10, first 2 shown]
	ds_read_b32 v19, v65
	v_cndmask_b32_e32 v18, v18, v13, vcc
	v_cmp_eq_u32_e32 vcc, 12, v0
	v_cndmask_b32_e32 v18, v18, v14, vcc
	v_cmp_eq_u32_e32 vcc, 13, v0
	v_cndmask_b32_e32 v18, v18, v15, vcc
	v_cmp_eq_u32_e32 vcc, 14, v0
	s_waitcnt vmcnt(0)
	v_cndmask_b32_e32 v18, v18, v16, vcc
	s_waitcnt lgkmcnt(0)
	v_mul_f32_e32 v20, v18, v19
	s_cbranch_execz .LBB14_246
	s_branch .LBB14_247
.LBB14_245:
                                        ; implicit-def: $vgpr20
.LBB14_246:
	ds_read_b32 v20, v65
.LBB14_247:
	v_cmp_ne_u32_e32 vcc, 4, v0
	s_and_saveexec_b64 s[12:13], vcc
	s_cbranch_execz .LBB14_251
; %bb.248:
	v_mov_b32_e32 v18, 0x44
	v_lshl_add_u32 v21, v0, 2, v18
	s_mov_b64 s[14:15], 0
	v_pk_mov_b32 v[18:19], v[0:1], v[0:1] op_sel:[0,1]
.LBB14_249:                             ; =>This Inner Loop Header: Depth=1
	v_add_co_u32_e32 v18, vcc, 1, v18
	v_addc_co_u32_e32 v19, vcc, 0, v19, vcc
	v_cmp_eq_u32_e32 vcc, 1, v18
	s_waitcnt vmcnt(1)
	v_cndmask_b32_e32 v23, v2, v3, vcc
	v_cmp_lt_u32_e32 vcc, 3, v18
	v_cmp_eq_u32_e64 s[8:9], 2, v18
	v_cndmask_b32_e64 v23, v23, v4, s[8:9]
	s_or_b64 s[14:15], vcc, s[14:15]
	v_cmp_eq_u32_e32 vcc, 3, v18
	v_cndmask_b32_e32 v23, v23, v5, vcc
	v_cmp_eq_u32_e32 vcc, 4, v18
	v_cndmask_b32_e32 v23, v23, v6, vcc
	;; [unrolled: 2-line block ×7, first 2 shown]
	v_cmp_eq_u32_e32 vcc, 10, v18
	ds_read_b32 v22, v21
	v_cndmask_b32_e32 v23, v23, v12, vcc
	v_cmp_eq_u32_e32 vcc, 11, v18
	v_cndmask_b32_e32 v23, v23, v13, vcc
	v_cmp_eq_u32_e32 vcc, 12, v18
	;; [unrolled: 2-line block ×4, first 2 shown]
	s_waitcnt vmcnt(0)
	v_cndmask_b32_e32 v23, v23, v16, vcc
	v_add_u32_e32 v21, 4, v21
	s_waitcnt lgkmcnt(0)
	v_fmac_f32_e32 v20, v23, v22
	s_andn2_b64 exec, exec, s[14:15]
	s_cbranch_execnz .LBB14_249
; %bb.250:
	s_or_b64 exec, exec, s[14:15]
.LBB14_251:
	s_or_b64 exec, exec, s[12:13]
	v_mov_b32_e32 v7, 0
	ds_read_b32 v7, v7 offset:20
	s_waitcnt lgkmcnt(0)
	v_mul_f32_e32 v7, v20, v7
.LBB14_252:
	s_or_b64 exec, exec, s[10:11]
	v_cmp_gt_u32_e32 vcc, 6, v0
	s_waitcnt vmcnt(9)
	ds_write_b32 v65, v8
	s_waitcnt lgkmcnt(0)
	; wave barrier
	s_waitcnt lgkmcnt(0)
	s_and_saveexec_b64 s[10:11], vcc
	s_cbranch_execz .LBB14_262
; %bb.253:
	s_and_b64 vcc, exec, s[0:1]
	s_cbranch_vccnz .LBB14_255
; %bb.254:
	v_cmp_eq_u32_e32 vcc, 1, v0
	s_waitcnt vmcnt(1)
	v_cndmask_b32_e32 v18, v2, v3, vcc
	v_cmp_eq_u32_e32 vcc, 2, v0
	v_cndmask_b32_e32 v18, v18, v4, vcc
	v_cmp_eq_u32_e32 vcc, 3, v0
	;; [unrolled: 2-line block ×10, first 2 shown]
	ds_read_b32 v19, v65
	v_cndmask_b32_e32 v18, v18, v13, vcc
	v_cmp_eq_u32_e32 vcc, 12, v0
	v_cndmask_b32_e32 v18, v18, v14, vcc
	v_cmp_eq_u32_e32 vcc, 13, v0
	;; [unrolled: 2-line block ×3, first 2 shown]
	s_waitcnt vmcnt(0)
	v_cndmask_b32_e32 v18, v18, v16, vcc
	s_waitcnt lgkmcnt(0)
	v_mul_f32_e32 v20, v18, v19
	s_cbranch_execz .LBB14_256
	s_branch .LBB14_257
.LBB14_255:
                                        ; implicit-def: $vgpr20
.LBB14_256:
	ds_read_b32 v20, v65
.LBB14_257:
	v_cmp_ne_u32_e32 vcc, 5, v0
	s_and_saveexec_b64 s[12:13], vcc
	s_cbranch_execz .LBB14_261
; %bb.258:
	v_mov_b32_e32 v18, 0x44
	v_lshl_add_u32 v21, v0, 2, v18
	s_mov_b64 s[14:15], 0
	v_pk_mov_b32 v[18:19], v[0:1], v[0:1] op_sel:[0,1]
.LBB14_259:                             ; =>This Inner Loop Header: Depth=1
	v_add_co_u32_e32 v18, vcc, 1, v18
	v_addc_co_u32_e32 v19, vcc, 0, v19, vcc
	v_cmp_eq_u32_e32 vcc, 1, v18
	s_waitcnt vmcnt(1)
	v_cndmask_b32_e32 v23, v2, v3, vcc
	v_cmp_lt_u32_e32 vcc, 4, v18
	v_cmp_eq_u32_e64 s[8:9], 2, v18
	v_cndmask_b32_e64 v23, v23, v4, s[8:9]
	s_or_b64 s[14:15], vcc, s[14:15]
	v_cmp_eq_u32_e32 vcc, 3, v18
	v_cndmask_b32_e32 v23, v23, v5, vcc
	v_cmp_eq_u32_e32 vcc, 4, v18
	v_cndmask_b32_e32 v23, v23, v6, vcc
	;; [unrolled: 2-line block ×7, first 2 shown]
	v_cmp_eq_u32_e32 vcc, 10, v18
	ds_read_b32 v22, v21
	v_cndmask_b32_e32 v23, v23, v12, vcc
	v_cmp_eq_u32_e32 vcc, 11, v18
	v_cndmask_b32_e32 v23, v23, v13, vcc
	v_cmp_eq_u32_e32 vcc, 12, v18
	;; [unrolled: 2-line block ×4, first 2 shown]
	s_waitcnt vmcnt(0)
	v_cndmask_b32_e32 v23, v23, v16, vcc
	v_add_u32_e32 v21, 4, v21
	s_waitcnt lgkmcnt(0)
	v_fmac_f32_e32 v20, v23, v22
	s_andn2_b64 exec, exec, s[14:15]
	s_cbranch_execnz .LBB14_259
; %bb.260:
	s_or_b64 exec, exec, s[14:15]
.LBB14_261:
	s_or_b64 exec, exec, s[12:13]
	v_mov_b32_e32 v8, 0
	ds_read_b32 v8, v8 offset:24
	s_waitcnt lgkmcnt(0)
	v_mul_f32_e32 v8, v20, v8
.LBB14_262:
	s_or_b64 exec, exec, s[10:11]
	v_cmp_gt_u32_e64 s[8:9], 7, v0
	s_waitcnt vmcnt(8)
	ds_write_b32 v65, v9
	s_waitcnt lgkmcnt(0)
	; wave barrier
	s_waitcnt lgkmcnt(0)
	s_and_saveexec_b64 s[12:13], s[8:9]
	s_cbranch_execz .LBB14_272
; %bb.263:
	s_and_b64 vcc, exec, s[0:1]
	s_cbranch_vccnz .LBB14_265
; %bb.264:
	v_cmp_eq_u32_e32 vcc, 1, v0
	s_waitcnt vmcnt(1)
	v_cndmask_b32_e32 v18, v2, v3, vcc
	v_cmp_eq_u32_e32 vcc, 2, v0
	v_cndmask_b32_e32 v18, v18, v4, vcc
	v_cmp_eq_u32_e32 vcc, 3, v0
	;; [unrolled: 2-line block ×10, first 2 shown]
	ds_read_b32 v19, v65
	v_cndmask_b32_e32 v18, v18, v13, vcc
	v_cmp_eq_u32_e32 vcc, 12, v0
	v_cndmask_b32_e32 v18, v18, v14, vcc
	v_cmp_eq_u32_e32 vcc, 13, v0
	;; [unrolled: 2-line block ×3, first 2 shown]
	s_waitcnt vmcnt(0)
	v_cndmask_b32_e32 v18, v18, v16, vcc
	s_waitcnt lgkmcnt(0)
	v_mul_f32_e32 v20, v18, v19
	s_cbranch_execz .LBB14_266
	s_branch .LBB14_267
.LBB14_265:
                                        ; implicit-def: $vgpr20
.LBB14_266:
	ds_read_b32 v20, v65
.LBB14_267:
	v_cmp_ne_u32_e32 vcc, 6, v0
	s_and_saveexec_b64 s[14:15], vcc
	s_cbranch_execz .LBB14_271
; %bb.268:
	v_mov_b32_e32 v18, 0x44
	v_lshl_add_u32 v21, v0, 2, v18
	s_mov_b64 s[16:17], 0
	v_pk_mov_b32 v[18:19], v[0:1], v[0:1] op_sel:[0,1]
.LBB14_269:                             ; =>This Inner Loop Header: Depth=1
	v_add_co_u32_e32 v18, vcc, 1, v18
	v_addc_co_u32_e32 v19, vcc, 0, v19, vcc
	v_cmp_eq_u32_e32 vcc, 1, v18
	s_waitcnt vmcnt(1)
	v_cndmask_b32_e32 v23, v2, v3, vcc
	v_cmp_lt_u32_e32 vcc, 5, v18
	v_cmp_eq_u32_e64 s[10:11], 2, v18
	v_cndmask_b32_e64 v23, v23, v4, s[10:11]
	s_or_b64 s[16:17], vcc, s[16:17]
	v_cmp_eq_u32_e32 vcc, 3, v18
	v_cndmask_b32_e32 v23, v23, v5, vcc
	v_cmp_eq_u32_e32 vcc, 4, v18
	v_cndmask_b32_e32 v23, v23, v6, vcc
	;; [unrolled: 2-line block ×7, first 2 shown]
	v_cmp_eq_u32_e32 vcc, 10, v18
	ds_read_b32 v22, v21
	v_cndmask_b32_e32 v23, v23, v12, vcc
	v_cmp_eq_u32_e32 vcc, 11, v18
	v_cndmask_b32_e32 v23, v23, v13, vcc
	v_cmp_eq_u32_e32 vcc, 12, v18
	;; [unrolled: 2-line block ×4, first 2 shown]
	s_waitcnt vmcnt(0)
	v_cndmask_b32_e32 v23, v23, v16, vcc
	v_add_u32_e32 v21, 4, v21
	s_waitcnt lgkmcnt(0)
	v_fmac_f32_e32 v20, v23, v22
	s_andn2_b64 exec, exec, s[16:17]
	s_cbranch_execnz .LBB14_269
; %bb.270:
	s_or_b64 exec, exec, s[16:17]
.LBB14_271:
	s_or_b64 exec, exec, s[14:15]
	v_mov_b32_e32 v9, 0
	ds_read_b32 v9, v9 offset:28
	s_waitcnt lgkmcnt(0)
	v_mul_f32_e32 v9, v20, v9
.LBB14_272:
	s_or_b64 exec, exec, s[12:13]
	v_cmp_gt_u32_e32 vcc, 8, v0
	s_waitcnt vmcnt(7)
	ds_write_b32 v65, v10
	s_waitcnt lgkmcnt(0)
	; wave barrier
	s_waitcnt lgkmcnt(0)
	s_and_saveexec_b64 s[12:13], vcc
	s_cbranch_execz .LBB14_282
; %bb.273:
	s_and_b64 vcc, exec, s[0:1]
	s_cbranch_vccnz .LBB14_275
; %bb.274:
	v_cmp_eq_u32_e32 vcc, 1, v0
	s_waitcnt vmcnt(1)
	v_cndmask_b32_e32 v18, v2, v3, vcc
	v_cmp_eq_u32_e32 vcc, 2, v0
	v_cndmask_b32_e32 v18, v18, v4, vcc
	v_cmp_eq_u32_e32 vcc, 3, v0
	;; [unrolled: 2-line block ×10, first 2 shown]
	ds_read_b32 v19, v65
	v_cndmask_b32_e32 v18, v18, v13, vcc
	v_cmp_eq_u32_e32 vcc, 12, v0
	v_cndmask_b32_e32 v18, v18, v14, vcc
	v_cmp_eq_u32_e32 vcc, 13, v0
	;; [unrolled: 2-line block ×3, first 2 shown]
	s_waitcnt vmcnt(0)
	v_cndmask_b32_e32 v18, v18, v16, vcc
	s_waitcnt lgkmcnt(0)
	v_mul_f32_e32 v20, v18, v19
	s_cbranch_execz .LBB14_276
	s_branch .LBB14_277
.LBB14_275:
                                        ; implicit-def: $vgpr20
.LBB14_276:
	ds_read_b32 v20, v65
.LBB14_277:
	v_cmp_ne_u32_e32 vcc, 7, v0
	s_and_saveexec_b64 s[14:15], vcc
	s_cbranch_execz .LBB14_281
; %bb.278:
	v_mov_b32_e32 v18, 0x44
	v_lshl_add_u32 v21, v0, 2, v18
	s_mov_b64 s[16:17], 0
	v_pk_mov_b32 v[18:19], v[0:1], v[0:1] op_sel:[0,1]
.LBB14_279:                             ; =>This Inner Loop Header: Depth=1
	v_add_co_u32_e32 v18, vcc, 1, v18
	v_addc_co_u32_e32 v19, vcc, 0, v19, vcc
	v_cmp_eq_u32_e32 vcc, 1, v18
	s_waitcnt vmcnt(1)
	v_cndmask_b32_e32 v23, v2, v3, vcc
	v_cmp_lt_u32_e32 vcc, 6, v18
	v_cmp_eq_u32_e64 s[10:11], 2, v18
	v_cndmask_b32_e64 v23, v23, v4, s[10:11]
	s_or_b64 s[16:17], vcc, s[16:17]
	v_cmp_eq_u32_e32 vcc, 3, v18
	v_cndmask_b32_e32 v23, v23, v5, vcc
	v_cmp_eq_u32_e32 vcc, 4, v18
	v_cndmask_b32_e32 v23, v23, v6, vcc
	v_cmp_eq_u32_e32 vcc, 5, v18
	v_cndmask_b32_e32 v23, v23, v7, vcc
	v_cmp_eq_u32_e32 vcc, 6, v18
	v_cndmask_b32_e32 v23, v23, v8, vcc
	v_cmp_eq_u32_e32 vcc, 7, v18
	v_cndmask_b32_e32 v23, v23, v9, vcc
	v_cmp_eq_u32_e32 vcc, 8, v18
	v_cndmask_b32_e32 v23, v23, v10, vcc
	v_cmp_eq_u32_e32 vcc, 9, v18
	v_cndmask_b32_e32 v23, v23, v11, vcc
	v_cmp_eq_u32_e32 vcc, 10, v18
	ds_read_b32 v22, v21
	v_cndmask_b32_e32 v23, v23, v12, vcc
	v_cmp_eq_u32_e32 vcc, 11, v18
	v_cndmask_b32_e32 v23, v23, v13, vcc
	v_cmp_eq_u32_e32 vcc, 12, v18
	;; [unrolled: 2-line block ×4, first 2 shown]
	s_waitcnt vmcnt(0)
	v_cndmask_b32_e32 v23, v23, v16, vcc
	v_add_u32_e32 v21, 4, v21
	s_waitcnt lgkmcnt(0)
	v_fmac_f32_e32 v20, v23, v22
	s_andn2_b64 exec, exec, s[16:17]
	s_cbranch_execnz .LBB14_279
; %bb.280:
	s_or_b64 exec, exec, s[16:17]
.LBB14_281:
	s_or_b64 exec, exec, s[14:15]
	v_mov_b32_e32 v10, 0
	ds_read_b32 v10, v10 offset:32
	s_waitcnt lgkmcnt(0)
	v_mul_f32_e32 v10, v20, v10
.LBB14_282:
	s_or_b64 exec, exec, s[12:13]
	v_cmp_gt_u32_e32 vcc, 9, v0
	s_waitcnt vmcnt(6)
	ds_write_b32 v65, v11
	s_waitcnt lgkmcnt(0)
	; wave barrier
	s_waitcnt lgkmcnt(0)
	s_and_saveexec_b64 s[10:11], vcc
	s_cbranch_execz .LBB14_304
; %bb.283:
	s_and_b64 vcc, exec, s[0:1]
	s_cbranch_vccnz .LBB14_285
; %bb.284:
	v_cmp_eq_u32_e32 vcc, 1, v0
	s_waitcnt vmcnt(1)
	v_cndmask_b32_e32 v18, v2, v3, vcc
	v_cmp_eq_u32_e32 vcc, 2, v0
	v_cndmask_b32_e32 v18, v18, v4, vcc
	v_cmp_eq_u32_e32 vcc, 3, v0
	;; [unrolled: 2-line block ×10, first 2 shown]
	ds_read_b32 v19, v65
	v_cndmask_b32_e32 v18, v18, v13, vcc
	v_cmp_eq_u32_e32 vcc, 12, v0
	v_cndmask_b32_e32 v18, v18, v14, vcc
	v_cmp_eq_u32_e32 vcc, 13, v0
	;; [unrolled: 2-line block ×3, first 2 shown]
	s_waitcnt vmcnt(0)
	v_cndmask_b32_e32 v18, v18, v16, vcc
	s_waitcnt lgkmcnt(0)
	v_mul_f32_e32 v18, v18, v19
	s_cbranch_execz .LBB14_286
	s_branch .LBB14_287
.LBB14_285:
                                        ; implicit-def: $vgpr18
.LBB14_286:
	ds_read_b32 v18, v65
.LBB14_287:
	v_cmp_ne_u32_e32 vcc, 8, v0
	s_and_saveexec_b64 s[12:13], vcc
	s_cbranch_execz .LBB14_303
; %bb.288:
	v_cmp_eq_u32_e32 vcc, 1, v17
	s_waitcnt vmcnt(1)
	v_cndmask_b32_e32 v19, v2, v3, vcc
	v_cmp_eq_u32_e32 vcc, 2, v17
	v_cndmask_b32_e32 v19, v19, v4, vcc
	v_cmp_eq_u32_e32 vcc, 3, v17
	;; [unrolled: 2-line block ×10, first 2 shown]
	ds_read_b32 v20, v65 offset:4
	v_cndmask_b32_e32 v19, v19, v13, vcc
	v_cmp_eq_u32_e32 vcc, 12, v17
	v_cndmask_b32_e32 v19, v19, v14, vcc
	v_cmp_eq_u32_e32 vcc, 13, v17
	;; [unrolled: 2-line block ×3, first 2 shown]
	s_waitcnt vmcnt(0)
	v_cndmask_b32_e32 v17, v19, v16, vcc
	s_waitcnt lgkmcnt(0)
	v_fmac_f32_e32 v18, v17, v20
	s_and_saveexec_b64 s[14:15], s[8:9]
	s_cbranch_execz .LBB14_302
; %bb.289:
	v_add_u32_e32 v17, 2, v0
	v_cmp_eq_u32_e32 vcc, 1, v17
	v_cndmask_b32_e32 v19, v2, v3, vcc
	v_cmp_eq_u32_e32 vcc, 2, v17
	v_cndmask_b32_e32 v19, v19, v4, vcc
	;; [unrolled: 2-line block ×10, first 2 shown]
	v_cmp_eq_u32_e32 vcc, 11, v17
	ds_read_b32 v20, v65 offset:8
	v_cndmask_b32_e32 v19, v19, v13, vcc
	v_cmp_eq_u32_e32 vcc, 12, v17
	v_cndmask_b32_e32 v19, v19, v14, vcc
	v_cmp_eq_u32_e32 vcc, 13, v17
	;; [unrolled: 2-line block ×3, first 2 shown]
	v_cndmask_b32_e32 v17, v19, v16, vcc
	s_waitcnt lgkmcnt(0)
	v_fmac_f32_e32 v18, v17, v20
	v_cmp_ne_u32_e32 vcc, 6, v0
	s_and_saveexec_b64 s[8:9], vcc
	s_cbranch_execz .LBB14_301
; %bb.290:
	v_add_u32_e32 v17, 3, v0
	v_cmp_eq_u32_e32 vcc, 1, v17
	v_cndmask_b32_e32 v19, v2, v3, vcc
	v_cmp_eq_u32_e32 vcc, 2, v17
	v_cndmask_b32_e32 v19, v19, v4, vcc
	;; [unrolled: 2-line block ×10, first 2 shown]
	v_cmp_eq_u32_e32 vcc, 11, v17
	ds_read_b32 v20, v65 offset:12
	v_cndmask_b32_e32 v19, v19, v13, vcc
	v_cmp_eq_u32_e32 vcc, 12, v17
	v_cndmask_b32_e32 v19, v19, v14, vcc
	v_cmp_eq_u32_e32 vcc, 13, v17
	;; [unrolled: 2-line block ×3, first 2 shown]
	v_cndmask_b32_e32 v17, v19, v16, vcc
	s_waitcnt lgkmcnt(0)
	v_fmac_f32_e32 v18, v17, v20
	s_and_saveexec_b64 s[16:17], s[6:7]
	s_cbranch_execz .LBB14_300
; %bb.291:
	v_add_u32_e32 v17, 4, v0
	v_cmp_eq_u32_e32 vcc, 1, v17
	v_cndmask_b32_e32 v19, v2, v3, vcc
	v_cmp_eq_u32_e32 vcc, 2, v17
	v_cndmask_b32_e32 v19, v19, v4, vcc
	;; [unrolled: 2-line block ×10, first 2 shown]
	v_cmp_eq_u32_e32 vcc, 11, v17
	ds_read_b32 v20, v65 offset:16
	v_cndmask_b32_e32 v19, v19, v13, vcc
	v_cmp_eq_u32_e32 vcc, 12, v17
	v_cndmask_b32_e32 v19, v19, v14, vcc
	v_cmp_eq_u32_e32 vcc, 13, v17
	;; [unrolled: 2-line block ×3, first 2 shown]
	v_cndmask_b32_e32 v17, v19, v16, vcc
	s_waitcnt lgkmcnt(0)
	v_fmac_f32_e32 v18, v17, v20
	v_cmp_ne_u32_e32 vcc, 4, v0
	s_and_saveexec_b64 s[6:7], vcc
	s_cbranch_execz .LBB14_299
; %bb.292:
	v_add_u32_e32 v17, 5, v0
	v_cmp_eq_u32_e32 vcc, 1, v17
	v_cndmask_b32_e32 v19, v2, v3, vcc
	v_cmp_eq_u32_e32 vcc, 2, v17
	v_cndmask_b32_e32 v19, v19, v4, vcc
	;; [unrolled: 2-line block ×10, first 2 shown]
	v_cmp_eq_u32_e32 vcc, 11, v17
	ds_read_b32 v20, v65 offset:20
	v_cndmask_b32_e32 v19, v19, v13, vcc
	v_cmp_eq_u32_e32 vcc, 12, v17
	v_cndmask_b32_e32 v19, v19, v14, vcc
	v_cmp_eq_u32_e32 vcc, 13, v17
	;; [unrolled: 2-line block ×3, first 2 shown]
	v_cndmask_b32_e32 v17, v19, v16, vcc
	s_waitcnt lgkmcnt(0)
	v_fmac_f32_e32 v18, v17, v20
	s_and_saveexec_b64 s[18:19], s[4:5]
	s_cbranch_execz .LBB14_298
; %bb.293:
	v_add_u32_e32 v17, 6, v0
	v_cmp_eq_u32_e32 vcc, 1, v17
	v_cndmask_b32_e32 v19, v2, v3, vcc
	v_cmp_eq_u32_e32 vcc, 2, v17
	v_cndmask_b32_e32 v19, v19, v4, vcc
	;; [unrolled: 2-line block ×10, first 2 shown]
	v_cmp_eq_u32_e32 vcc, 11, v17
	ds_read_b32 v20, v65 offset:24
	v_cndmask_b32_e32 v19, v19, v13, vcc
	v_cmp_eq_u32_e32 vcc, 12, v17
	v_cndmask_b32_e32 v19, v19, v14, vcc
	v_cmp_eq_u32_e32 vcc, 13, v17
	;; [unrolled: 2-line block ×3, first 2 shown]
	v_cndmask_b32_e32 v17, v19, v16, vcc
	s_waitcnt lgkmcnt(0)
	v_fmac_f32_e32 v18, v17, v20
	v_cmp_ne_u32_e32 vcc, 2, v0
	s_and_saveexec_b64 s[4:5], vcc
	s_cbranch_execz .LBB14_297
; %bb.294:
	v_add_u32_e32 v17, 7, v0
	v_cmp_eq_u32_e32 vcc, 1, v17
	v_cndmask_b32_e32 v19, v2, v3, vcc
	v_cmp_eq_u32_e32 vcc, 2, v17
	v_cndmask_b32_e32 v19, v19, v4, vcc
	;; [unrolled: 2-line block ×10, first 2 shown]
	v_cmp_eq_u32_e32 vcc, 11, v17
	ds_read_b32 v19, v65 offset:28
	v_cndmask_b32_e32 v11, v11, v13, vcc
	v_cmp_eq_u32_e32 vcc, 12, v17
	v_cndmask_b32_e32 v11, v11, v14, vcc
	v_cmp_eq_u32_e32 vcc, 13, v17
	;; [unrolled: 2-line block ×3, first 2 shown]
	v_cndmask_b32_e32 v11, v11, v16, vcc
	s_waitcnt lgkmcnt(0)
	v_fmac_f32_e32 v18, v11, v19
	s_and_saveexec_b64 s[20:21], s[2:3]
	s_cbranch_execz .LBB14_296
; %bb.295:
	ds_read_b32 v11, v65 offset:32
	s_waitcnt lgkmcnt(0)
	v_fmac_f32_e32 v18, v10, v11
.LBB14_296:
	s_or_b64 exec, exec, s[20:21]
.LBB14_297:
	s_or_b64 exec, exec, s[4:5]
.LBB14_298:
	s_or_b64 exec, exec, s[18:19]
.LBB14_299:
	s_or_b64 exec, exec, s[6:7]
.LBB14_300:
	s_or_b64 exec, exec, s[16:17]
.LBB14_301:
	s_or_b64 exec, exec, s[8:9]
.LBB14_302:
	s_or_b64 exec, exec, s[14:15]
.LBB14_303:
	s_or_b64 exec, exec, s[12:13]
	v_mov_b32_e32 v11, 0
	ds_read_b32 v11, v11 offset:36
	s_waitcnt lgkmcnt(0)
	v_mul_f32_e32 v11, v18, v11
.LBB14_304:
	s_or_b64 exec, exec, s[10:11]
	v_cmp_gt_u32_e32 vcc, 10, v0
	s_waitcnt vmcnt(5)
	ds_write_b32 v65, v12
	s_waitcnt lgkmcnt(0)
	; wave barrier
	s_waitcnt lgkmcnt(0)
	s_and_saveexec_b64 s[4:5], vcc
	s_cbranch_execz .LBB14_314
; %bb.305:
	s_and_b64 vcc, exec, s[0:1]
	s_cbranch_vccnz .LBB14_307
; %bb.306:
	v_cmp_eq_u32_e32 vcc, 1, v0
	s_waitcnt vmcnt(1)
	v_cndmask_b32_e32 v17, v2, v3, vcc
	v_cmp_eq_u32_e32 vcc, 2, v0
	v_cndmask_b32_e32 v17, v17, v4, vcc
	v_cmp_eq_u32_e32 vcc, 3, v0
	;; [unrolled: 2-line block ×10, first 2 shown]
	ds_read_b32 v18, v65
	v_cndmask_b32_e32 v17, v17, v13, vcc
	v_cmp_eq_u32_e32 vcc, 12, v0
	v_cndmask_b32_e32 v17, v17, v14, vcc
	v_cmp_eq_u32_e32 vcc, 13, v0
	;; [unrolled: 2-line block ×3, first 2 shown]
	s_waitcnt vmcnt(0)
	v_cndmask_b32_e32 v17, v17, v16, vcc
	s_waitcnt lgkmcnt(0)
	v_mul_f32_e32 v17, v17, v18
	s_cbranch_execz .LBB14_308
	s_branch .LBB14_309
.LBB14_307:
                                        ; implicit-def: $vgpr17
.LBB14_308:
	ds_read_b32 v17, v65
.LBB14_309:
	v_cmp_ne_u32_e32 vcc, 9, v0
	s_and_saveexec_b64 s[6:7], vcc
	s_cbranch_execz .LBB14_313
; %bb.310:
	v_mov_b32_e32 v18, 0x44
	v_lshl_add_u32 v20, v0, 2, v18
	s_mov_b64 s[8:9], 0
	v_pk_mov_b32 v[18:19], v[0:1], v[0:1] op_sel:[0,1]
.LBB14_311:                             ; =>This Inner Loop Header: Depth=1
	v_add_co_u32_e32 v18, vcc, 1, v18
	v_addc_co_u32_e32 v19, vcc, 0, v19, vcc
	v_cmp_eq_u32_e32 vcc, 1, v18
	s_waitcnt vmcnt(1)
	v_cndmask_b32_e32 v22, v2, v3, vcc
	v_cmp_lt_u32_e32 vcc, 8, v18
	v_cmp_eq_u32_e64 s[2:3], 2, v18
	v_cndmask_b32_e64 v22, v22, v4, s[2:3]
	s_or_b64 s[8:9], vcc, s[8:9]
	v_cmp_eq_u32_e32 vcc, 3, v18
	v_cndmask_b32_e32 v22, v22, v5, vcc
	v_cmp_eq_u32_e32 vcc, 4, v18
	v_cndmask_b32_e32 v22, v22, v6, vcc
	v_cmp_eq_u32_e32 vcc, 5, v18
	v_cndmask_b32_e32 v22, v22, v7, vcc
	v_cmp_eq_u32_e32 vcc, 6, v18
	v_cndmask_b32_e32 v22, v22, v8, vcc
	v_cmp_eq_u32_e32 vcc, 7, v18
	v_cndmask_b32_e32 v22, v22, v9, vcc
	v_cmp_eq_u32_e32 vcc, 8, v18
	v_cndmask_b32_e32 v22, v22, v10, vcc
	v_cmp_eq_u32_e32 vcc, 9, v18
	v_cndmask_b32_e32 v22, v22, v11, vcc
	v_cmp_eq_u32_e32 vcc, 10, v18
	ds_read_b32 v21, v20
	v_cndmask_b32_e32 v22, v22, v12, vcc
	v_cmp_eq_u32_e32 vcc, 11, v18
	v_cndmask_b32_e32 v22, v22, v13, vcc
	v_cmp_eq_u32_e32 vcc, 12, v18
	;; [unrolled: 2-line block ×4, first 2 shown]
	s_waitcnt vmcnt(0)
	v_cndmask_b32_e32 v22, v22, v16, vcc
	v_add_u32_e32 v20, 4, v20
	s_waitcnt lgkmcnt(0)
	v_fmac_f32_e32 v17, v22, v21
	s_andn2_b64 exec, exec, s[8:9]
	s_cbranch_execnz .LBB14_311
; %bb.312:
	s_or_b64 exec, exec, s[8:9]
.LBB14_313:
	s_or_b64 exec, exec, s[6:7]
	v_mov_b32_e32 v12, 0
	ds_read_b32 v12, v12 offset:40
	s_waitcnt lgkmcnt(0)
	v_mul_f32_e32 v12, v17, v12
.LBB14_314:
	s_or_b64 exec, exec, s[4:5]
	v_cmp_gt_u32_e32 vcc, 11, v0
	s_waitcnt vmcnt(4)
	ds_write_b32 v65, v13
	s_waitcnt lgkmcnt(0)
	; wave barrier
	s_waitcnt lgkmcnt(0)
	s_and_saveexec_b64 s[4:5], vcc
	s_cbranch_execz .LBB14_324
; %bb.315:
	s_and_b64 vcc, exec, s[0:1]
	s_cbranch_vccnz .LBB14_317
; %bb.316:
	v_cmp_eq_u32_e32 vcc, 1, v0
	s_waitcnt vmcnt(1)
	v_cndmask_b32_e32 v17, v2, v3, vcc
	v_cmp_eq_u32_e32 vcc, 2, v0
	v_cndmask_b32_e32 v17, v17, v4, vcc
	v_cmp_eq_u32_e32 vcc, 3, v0
	;; [unrolled: 2-line block ×10, first 2 shown]
	ds_read_b32 v18, v65
	v_cndmask_b32_e32 v17, v17, v13, vcc
	v_cmp_eq_u32_e32 vcc, 12, v0
	v_cndmask_b32_e32 v17, v17, v14, vcc
	v_cmp_eq_u32_e32 vcc, 13, v0
	;; [unrolled: 2-line block ×3, first 2 shown]
	s_waitcnt vmcnt(0)
	v_cndmask_b32_e32 v17, v17, v16, vcc
	s_waitcnt lgkmcnt(0)
	v_mul_f32_e32 v17, v17, v18
	s_cbranch_execz .LBB14_318
	s_branch .LBB14_319
.LBB14_317:
                                        ; implicit-def: $vgpr17
.LBB14_318:
	ds_read_b32 v17, v65
.LBB14_319:
	v_cmp_ne_u32_e32 vcc, 10, v0
	s_and_saveexec_b64 s[6:7], vcc
	s_cbranch_execz .LBB14_323
; %bb.320:
	v_mov_b32_e32 v18, 0x44
	v_lshl_add_u32 v20, v0, 2, v18
	s_mov_b64 s[8:9], 0
	v_pk_mov_b32 v[18:19], v[0:1], v[0:1] op_sel:[0,1]
.LBB14_321:                             ; =>This Inner Loop Header: Depth=1
	v_add_co_u32_e32 v18, vcc, 1, v18
	v_addc_co_u32_e32 v19, vcc, 0, v19, vcc
	v_cmp_eq_u32_e32 vcc, 1, v18
	s_waitcnt vmcnt(1)
	v_cndmask_b32_e32 v22, v2, v3, vcc
	v_cmp_lt_u32_e32 vcc, 9, v18
	v_cmp_eq_u32_e64 s[2:3], 2, v18
	v_cndmask_b32_e64 v22, v22, v4, s[2:3]
	s_or_b64 s[8:9], vcc, s[8:9]
	v_cmp_eq_u32_e32 vcc, 3, v18
	v_cndmask_b32_e32 v22, v22, v5, vcc
	v_cmp_eq_u32_e32 vcc, 4, v18
	v_cndmask_b32_e32 v22, v22, v6, vcc
	;; [unrolled: 2-line block ×7, first 2 shown]
	v_cmp_eq_u32_e32 vcc, 10, v18
	ds_read_b32 v21, v20
	v_cndmask_b32_e32 v22, v22, v12, vcc
	v_cmp_eq_u32_e32 vcc, 11, v18
	v_cndmask_b32_e32 v22, v22, v13, vcc
	v_cmp_eq_u32_e32 vcc, 12, v18
	;; [unrolled: 2-line block ×4, first 2 shown]
	s_waitcnt vmcnt(0)
	v_cndmask_b32_e32 v22, v22, v16, vcc
	v_add_u32_e32 v20, 4, v20
	s_waitcnt lgkmcnt(0)
	v_fmac_f32_e32 v17, v22, v21
	s_andn2_b64 exec, exec, s[8:9]
	s_cbranch_execnz .LBB14_321
; %bb.322:
	s_or_b64 exec, exec, s[8:9]
.LBB14_323:
	s_or_b64 exec, exec, s[6:7]
	v_mov_b32_e32 v13, 0
	ds_read_b32 v13, v13 offset:44
	s_waitcnt lgkmcnt(0)
	v_mul_f32_e32 v13, v17, v13
.LBB14_324:
	s_or_b64 exec, exec, s[4:5]
	v_cmp_gt_u32_e32 vcc, 12, v0
	s_waitcnt vmcnt(3)
	ds_write_b32 v65, v14
	s_waitcnt lgkmcnt(0)
	; wave barrier
	s_waitcnt lgkmcnt(0)
	s_and_saveexec_b64 s[4:5], vcc
	s_cbranch_execz .LBB14_334
; %bb.325:
	s_and_b64 vcc, exec, s[0:1]
	s_cbranch_vccnz .LBB14_327
; %bb.326:
	v_cmp_eq_u32_e32 vcc, 1, v0
	s_waitcnt vmcnt(1)
	v_cndmask_b32_e32 v17, v2, v3, vcc
	v_cmp_eq_u32_e32 vcc, 2, v0
	v_cndmask_b32_e32 v17, v17, v4, vcc
	v_cmp_eq_u32_e32 vcc, 3, v0
	v_cndmask_b32_e32 v17, v17, v5, vcc
	v_cmp_eq_u32_e32 vcc, 4, v0
	v_cndmask_b32_e32 v17, v17, v6, vcc
	v_cmp_eq_u32_e32 vcc, 5, v0
	v_cndmask_b32_e32 v17, v17, v7, vcc
	v_cmp_eq_u32_e32 vcc, 6, v0
	v_cndmask_b32_e32 v17, v17, v8, vcc
	v_cmp_eq_u32_e32 vcc, 7, v0
	v_cndmask_b32_e32 v17, v17, v9, vcc
	v_cmp_eq_u32_e32 vcc, 8, v0
	v_cndmask_b32_e32 v17, v17, v10, vcc
	v_cmp_eq_u32_e32 vcc, 9, v0
	v_cndmask_b32_e32 v17, v17, v11, vcc
	v_cmp_eq_u32_e32 vcc, 10, v0
	v_cndmask_b32_e32 v17, v17, v12, vcc
	v_cmp_eq_u32_e32 vcc, 11, v0
	ds_read_b32 v18, v65
	v_cndmask_b32_e32 v17, v17, v13, vcc
	v_cmp_eq_u32_e32 vcc, 12, v0
	v_cndmask_b32_e32 v17, v17, v14, vcc
	v_cmp_eq_u32_e32 vcc, 13, v0
	;; [unrolled: 2-line block ×3, first 2 shown]
	s_waitcnt vmcnt(0)
	v_cndmask_b32_e32 v17, v17, v16, vcc
	s_waitcnt lgkmcnt(0)
	v_mul_f32_e32 v17, v17, v18
	s_cbranch_execz .LBB14_328
	s_branch .LBB14_329
.LBB14_327:
                                        ; implicit-def: $vgpr17
.LBB14_328:
	ds_read_b32 v17, v65
.LBB14_329:
	v_cmp_ne_u32_e32 vcc, 11, v0
	s_and_saveexec_b64 s[6:7], vcc
	s_cbranch_execz .LBB14_333
; %bb.330:
	v_mov_b32_e32 v18, 0x44
	v_lshl_add_u32 v20, v0, 2, v18
	s_mov_b64 s[8:9], 0
	v_pk_mov_b32 v[18:19], v[0:1], v[0:1] op_sel:[0,1]
.LBB14_331:                             ; =>This Inner Loop Header: Depth=1
	v_add_co_u32_e32 v18, vcc, 1, v18
	v_addc_co_u32_e32 v19, vcc, 0, v19, vcc
	v_cmp_eq_u32_e32 vcc, 1, v18
	s_waitcnt vmcnt(1)
	v_cndmask_b32_e32 v22, v2, v3, vcc
	v_cmp_lt_u32_e32 vcc, 10, v18
	v_cmp_eq_u32_e64 s[2:3], 2, v18
	v_cndmask_b32_e64 v22, v22, v4, s[2:3]
	s_or_b64 s[8:9], vcc, s[8:9]
	v_cmp_eq_u32_e32 vcc, 3, v18
	v_cndmask_b32_e32 v22, v22, v5, vcc
	v_cmp_eq_u32_e32 vcc, 4, v18
	v_cndmask_b32_e32 v22, v22, v6, vcc
	;; [unrolled: 2-line block ×7, first 2 shown]
	v_cmp_eq_u32_e32 vcc, 10, v18
	ds_read_b32 v21, v20
	v_cndmask_b32_e32 v22, v22, v12, vcc
	v_cmp_eq_u32_e32 vcc, 11, v18
	v_cndmask_b32_e32 v22, v22, v13, vcc
	v_cmp_eq_u32_e32 vcc, 12, v18
	;; [unrolled: 2-line block ×4, first 2 shown]
	s_waitcnt vmcnt(0)
	v_cndmask_b32_e32 v22, v22, v16, vcc
	v_add_u32_e32 v20, 4, v20
	s_waitcnt lgkmcnt(0)
	v_fmac_f32_e32 v17, v22, v21
	s_andn2_b64 exec, exec, s[8:9]
	s_cbranch_execnz .LBB14_331
; %bb.332:
	s_or_b64 exec, exec, s[8:9]
.LBB14_333:
	s_or_b64 exec, exec, s[6:7]
	v_mov_b32_e32 v14, 0
	ds_read_b32 v14, v14 offset:48
	s_waitcnt lgkmcnt(0)
	v_mul_f32_e32 v14, v17, v14
.LBB14_334:
	s_or_b64 exec, exec, s[4:5]
	v_cmp_gt_u32_e64 s[2:3], 13, v0
	s_waitcnt vmcnt(2)
	ds_write_b32 v65, v15
	s_waitcnt lgkmcnt(0)
	; wave barrier
	s_waitcnt lgkmcnt(0)
	s_and_saveexec_b64 s[6:7], s[2:3]
	s_cbranch_execz .LBB14_344
; %bb.335:
	s_and_b64 vcc, exec, s[0:1]
	s_cbranch_vccnz .LBB14_337
; %bb.336:
	v_cmp_eq_u32_e32 vcc, 1, v0
	s_waitcnt vmcnt(1)
	v_cndmask_b32_e32 v17, v2, v3, vcc
	v_cmp_eq_u32_e32 vcc, 2, v0
	v_cndmask_b32_e32 v17, v17, v4, vcc
	v_cmp_eq_u32_e32 vcc, 3, v0
	;; [unrolled: 2-line block ×10, first 2 shown]
	ds_read_b32 v18, v65
	v_cndmask_b32_e32 v17, v17, v13, vcc
	v_cmp_eq_u32_e32 vcc, 12, v0
	v_cndmask_b32_e32 v17, v17, v14, vcc
	v_cmp_eq_u32_e32 vcc, 13, v0
	;; [unrolled: 2-line block ×3, first 2 shown]
	s_waitcnt vmcnt(0)
	v_cndmask_b32_e32 v17, v17, v16, vcc
	s_waitcnt lgkmcnt(0)
	v_mul_f32_e32 v17, v17, v18
	s_cbranch_execz .LBB14_338
	s_branch .LBB14_339
.LBB14_337:
                                        ; implicit-def: $vgpr17
.LBB14_338:
	ds_read_b32 v17, v65
.LBB14_339:
	v_cmp_ne_u32_e32 vcc, 12, v0
	s_and_saveexec_b64 s[8:9], vcc
	s_cbranch_execz .LBB14_343
; %bb.340:
	v_mov_b32_e32 v18, 0x44
	v_lshl_add_u32 v20, v0, 2, v18
	s_mov_b64 s[10:11], 0
	v_pk_mov_b32 v[18:19], v[0:1], v[0:1] op_sel:[0,1]
.LBB14_341:                             ; =>This Inner Loop Header: Depth=1
	v_add_co_u32_e32 v18, vcc, 1, v18
	v_addc_co_u32_e32 v19, vcc, 0, v19, vcc
	v_cmp_eq_u32_e32 vcc, 1, v18
	s_waitcnt vmcnt(1)
	v_cndmask_b32_e32 v22, v2, v3, vcc
	v_cmp_lt_u32_e32 vcc, 11, v18
	v_cmp_eq_u32_e64 s[4:5], 2, v18
	v_cndmask_b32_e64 v22, v22, v4, s[4:5]
	s_or_b64 s[10:11], vcc, s[10:11]
	v_cmp_eq_u32_e32 vcc, 3, v18
	v_cndmask_b32_e32 v22, v22, v5, vcc
	v_cmp_eq_u32_e32 vcc, 4, v18
	v_cndmask_b32_e32 v22, v22, v6, vcc
	;; [unrolled: 2-line block ×7, first 2 shown]
	v_cmp_eq_u32_e32 vcc, 10, v18
	ds_read_b32 v21, v20
	v_cndmask_b32_e32 v22, v22, v12, vcc
	v_cmp_eq_u32_e32 vcc, 11, v18
	v_cndmask_b32_e32 v22, v22, v13, vcc
	v_cmp_eq_u32_e32 vcc, 12, v18
	;; [unrolled: 2-line block ×4, first 2 shown]
	s_waitcnt vmcnt(0)
	v_cndmask_b32_e32 v22, v22, v16, vcc
	v_add_u32_e32 v20, 4, v20
	s_waitcnt lgkmcnt(0)
	v_fmac_f32_e32 v17, v22, v21
	s_andn2_b64 exec, exec, s[10:11]
	s_cbranch_execnz .LBB14_341
; %bb.342:
	s_or_b64 exec, exec, s[10:11]
.LBB14_343:
	s_or_b64 exec, exec, s[8:9]
	v_mov_b32_e32 v15, 0
	ds_read_b32 v15, v15 offset:52
	s_waitcnt lgkmcnt(0)
	v_mul_f32_e32 v15, v17, v15
.LBB14_344:
	s_or_b64 exec, exec, s[6:7]
	v_cmp_ne_u32_e32 vcc, 14, v0
	s_waitcnt vmcnt(0)
	ds_write_b32 v65, v16
	s_waitcnt lgkmcnt(0)
	; wave barrier
	s_waitcnt lgkmcnt(0)
	s_and_saveexec_b64 s[4:5], vcc
	s_cbranch_execz .LBB14_354
; %bb.345:
	s_and_b64 vcc, exec, s[0:1]
	s_cbranch_vccnz .LBB14_347
; %bb.346:
	v_cmp_eq_u32_e32 vcc, 1, v0
	v_cndmask_b32_e32 v17, v2, v3, vcc
	v_cmp_eq_u32_e32 vcc, 2, v0
	v_cndmask_b32_e32 v17, v17, v4, vcc
	;; [unrolled: 2-line block ×10, first 2 shown]
	v_cmp_eq_u32_e32 vcc, 11, v0
	ds_read_b32 v18, v65
	v_cndmask_b32_e32 v17, v17, v13, vcc
	v_cmp_eq_u32_e32 vcc, 12, v0
	v_cndmask_b32_e32 v17, v17, v14, vcc
	v_cmp_eq_u32_e32 vcc, 13, v0
	;; [unrolled: 2-line block ×3, first 2 shown]
	v_cndmask_b32_e32 v17, v17, v16, vcc
	s_waitcnt lgkmcnt(0)
	v_mul_f32_e32 v17, v17, v18
	s_cbranch_execz .LBB14_348
	s_branch .LBB14_349
.LBB14_347:
                                        ; implicit-def: $vgpr17
.LBB14_348:
	ds_read_b32 v17, v65
.LBB14_349:
	s_and_saveexec_b64 s[6:7], s[2:3]
	s_cbranch_execz .LBB14_353
; %bb.350:
	v_mov_b32_e32 v18, 0x44
	v_lshl_add_u32 v18, v0, 2, v18
	s_mov_b64 s[2:3], 0
.LBB14_351:                             ; =>This Inner Loop Header: Depth=1
	v_add_co_u32_e32 v0, vcc, 1, v0
	v_addc_co_u32_e32 v1, vcc, 0, v1, vcc
	v_cmp_eq_u32_e32 vcc, 1, v0
	v_cndmask_b32_e32 v20, v2, v3, vcc
	v_cmp_lt_u32_e32 vcc, 12, v0
	v_cmp_eq_u32_e64 s[0:1], 2, v0
	v_cndmask_b32_e64 v20, v20, v4, s[0:1]
	s_or_b64 s[2:3], vcc, s[2:3]
	v_cmp_eq_u32_e32 vcc, 3, v0
	v_cndmask_b32_e32 v20, v20, v5, vcc
	v_cmp_eq_u32_e32 vcc, 4, v0
	v_cndmask_b32_e32 v20, v20, v6, vcc
	v_cmp_eq_u32_e32 vcc, 5, v0
	v_cndmask_b32_e32 v20, v20, v7, vcc
	v_cmp_eq_u32_e32 vcc, 6, v0
	v_cndmask_b32_e32 v20, v20, v8, vcc
	v_cmp_eq_u32_e32 vcc, 7, v0
	v_cndmask_b32_e32 v20, v20, v9, vcc
	v_cmp_eq_u32_e32 vcc, 8, v0
	v_cndmask_b32_e32 v20, v20, v10, vcc
	v_cmp_eq_u32_e32 vcc, 9, v0
	v_cndmask_b32_e32 v20, v20, v11, vcc
	v_cmp_eq_u32_e32 vcc, 10, v0
	ds_read_b32 v19, v18
	v_cndmask_b32_e32 v20, v20, v12, vcc
	v_cmp_eq_u32_e32 vcc, 11, v0
	v_cndmask_b32_e32 v20, v20, v13, vcc
	v_cmp_eq_u32_e32 vcc, 12, v0
	;; [unrolled: 2-line block ×4, first 2 shown]
	v_cndmask_b32_e32 v20, v20, v16, vcc
	v_add_u32_e32 v18, 4, v18
	s_waitcnt lgkmcnt(0)
	v_fmac_f32_e32 v17, v20, v19
	s_andn2_b64 exec, exec, s[2:3]
	s_cbranch_execnz .LBB14_351
; %bb.352:
	s_or_b64 exec, exec, s[2:3]
.LBB14_353:
	s_or_b64 exec, exec, s[6:7]
	v_mov_b32_e32 v0, 0
	ds_read_b32 v0, v0 offset:56
	s_waitcnt lgkmcnt(0)
	v_mul_f32_e32 v16, v17, v0
.LBB14_354:
	s_or_b64 exec, exec, s[4:5]
	v_pk_mov_b32 v[32:33], v[16:17], v[16:17] op_sel:[0,1]
	v_pk_mov_b32 v[30:31], v[14:15], v[14:15] op_sel:[0,1]
	;; [unrolled: 1-line block ×8, first 2 shown]
.LBB14_355:
	global_store_dword v[34:35], v18, off
	global_store_dword v[36:37], v19, off
	;; [unrolled: 1-line block ×15, first 2 shown]
.LBB14_356:
	s_endpgm
	.section	.rodata,"a",@progbits
	.p2align	6, 0x0
	.amdhsa_kernel _ZN9rocsolver6v33100L18trti2_kernel_smallILi15EfPfEEv13rocblas_fill_17rocblas_diagonal_T1_iil
		.amdhsa_group_segment_fixed_size 124
		.amdhsa_private_segment_fixed_size 0
		.amdhsa_kernarg_size 32
		.amdhsa_user_sgpr_count 6
		.amdhsa_user_sgpr_private_segment_buffer 1
		.amdhsa_user_sgpr_dispatch_ptr 0
		.amdhsa_user_sgpr_queue_ptr 0
		.amdhsa_user_sgpr_kernarg_segment_ptr 1
		.amdhsa_user_sgpr_dispatch_id 0
		.amdhsa_user_sgpr_flat_scratch_init 0
		.amdhsa_user_sgpr_kernarg_preload_length 0
		.amdhsa_user_sgpr_kernarg_preload_offset 0
		.amdhsa_user_sgpr_private_segment_size 0
		.amdhsa_uses_dynamic_stack 0
		.amdhsa_system_sgpr_private_segment_wavefront_offset 0
		.amdhsa_system_sgpr_workgroup_id_x 1
		.amdhsa_system_sgpr_workgroup_id_y 0
		.amdhsa_system_sgpr_workgroup_id_z 0
		.amdhsa_system_sgpr_workgroup_info 0
		.amdhsa_system_vgpr_workitem_id 0
		.amdhsa_next_free_vgpr 79
		.amdhsa_next_free_sgpr 44
		.amdhsa_accum_offset 80
		.amdhsa_reserve_vcc 1
		.amdhsa_reserve_flat_scratch 0
		.amdhsa_float_round_mode_32 0
		.amdhsa_float_round_mode_16_64 0
		.amdhsa_float_denorm_mode_32 3
		.amdhsa_float_denorm_mode_16_64 3
		.amdhsa_dx10_clamp 1
		.amdhsa_ieee_mode 1
		.amdhsa_fp16_overflow 0
		.amdhsa_tg_split 0
		.amdhsa_exception_fp_ieee_invalid_op 0
		.amdhsa_exception_fp_denorm_src 0
		.amdhsa_exception_fp_ieee_div_zero 0
		.amdhsa_exception_fp_ieee_overflow 0
		.amdhsa_exception_fp_ieee_underflow 0
		.amdhsa_exception_fp_ieee_inexact 0
		.amdhsa_exception_int_div_zero 0
	.end_amdhsa_kernel
	.section	.text._ZN9rocsolver6v33100L18trti2_kernel_smallILi15EfPfEEv13rocblas_fill_17rocblas_diagonal_T1_iil,"axG",@progbits,_ZN9rocsolver6v33100L18trti2_kernel_smallILi15EfPfEEv13rocblas_fill_17rocblas_diagonal_T1_iil,comdat
.Lfunc_end14:
	.size	_ZN9rocsolver6v33100L18trti2_kernel_smallILi15EfPfEEv13rocblas_fill_17rocblas_diagonal_T1_iil, .Lfunc_end14-_ZN9rocsolver6v33100L18trti2_kernel_smallILi15EfPfEEv13rocblas_fill_17rocblas_diagonal_T1_iil
                                        ; -- End function
	.section	.AMDGPU.csdata,"",@progbits
; Kernel info:
; codeLenInByte = 17108
; NumSgprs: 48
; NumVgprs: 79
; NumAgprs: 0
; TotalNumVgprs: 79
; ScratchSize: 0
; MemoryBound: 0
; FloatMode: 240
; IeeeMode: 1
; LDSByteSize: 124 bytes/workgroup (compile time only)
; SGPRBlocks: 5
; VGPRBlocks: 9
; NumSGPRsForWavesPerEU: 48
; NumVGPRsForWavesPerEU: 79
; AccumOffset: 80
; Occupancy: 6
; WaveLimiterHint : 0
; COMPUTE_PGM_RSRC2:SCRATCH_EN: 0
; COMPUTE_PGM_RSRC2:USER_SGPR: 6
; COMPUTE_PGM_RSRC2:TRAP_HANDLER: 0
; COMPUTE_PGM_RSRC2:TGID_X_EN: 1
; COMPUTE_PGM_RSRC2:TGID_Y_EN: 0
; COMPUTE_PGM_RSRC2:TGID_Z_EN: 0
; COMPUTE_PGM_RSRC2:TIDIG_COMP_CNT: 0
; COMPUTE_PGM_RSRC3_GFX90A:ACCUM_OFFSET: 19
; COMPUTE_PGM_RSRC3_GFX90A:TG_SPLIT: 0
	.section	.text._ZN9rocsolver6v33100L18trti2_kernel_smallILi16EfPfEEv13rocblas_fill_17rocblas_diagonal_T1_iil,"axG",@progbits,_ZN9rocsolver6v33100L18trti2_kernel_smallILi16EfPfEEv13rocblas_fill_17rocblas_diagonal_T1_iil,comdat
	.globl	_ZN9rocsolver6v33100L18trti2_kernel_smallILi16EfPfEEv13rocblas_fill_17rocblas_diagonal_T1_iil ; -- Begin function _ZN9rocsolver6v33100L18trti2_kernel_smallILi16EfPfEEv13rocblas_fill_17rocblas_diagonal_T1_iil
	.p2align	8
	.type	_ZN9rocsolver6v33100L18trti2_kernel_smallILi16EfPfEEv13rocblas_fill_17rocblas_diagonal_T1_iil,@function
_ZN9rocsolver6v33100L18trti2_kernel_smallILi16EfPfEEv13rocblas_fill_17rocblas_diagonal_T1_iil: ; @_ZN9rocsolver6v33100L18trti2_kernel_smallILi16EfPfEEv13rocblas_fill_17rocblas_diagonal_T1_iil
; %bb.0:
	v_cmp_gt_u32_e32 vcc, 16, v0
	s_and_saveexec_b64 s[0:1], vcc
	s_cbranch_execz .LBB15_382
; %bb.1:
	s_load_dwordx8 s[36:43], s[4:5], 0x0
	s_ashr_i32 s2, s6, 31
	v_lshlrev_b32_e32 v18, 2, v0
	v_mov_b32_e32 v19, -1.0
	s_waitcnt lgkmcnt(0)
	s_mul_i32 s3, s6, s43
	s_mul_hi_u32 s4, s6, s42
	s_add_i32 s3, s4, s3
	s_mul_i32 s2, s2, s42
	s_add_i32 s3, s3, s2
	s_mul_i32 s2, s6, s42
	s_ashr_i32 s1, s40, 31
	s_lshl_b64 s[2:3], s[2:3], 2
	s_mov_b32 s0, s40
	s_add_u32 s2, s38, s2
	s_addc_u32 s3, s39, s3
	s_lshl_b64 s[0:1], s[0:1], 2
	s_add_u32 s0, s2, s0
	s_addc_u32 s1, s3, s1
	v_mov_b32_e32 v1, s1
	v_add_co_u32_e32 v34, vcc, s0, v18
	s_ashr_i32 s3, s41, 31
	s_mov_b32 s2, s41
	v_addc_co_u32_e32 v35, vcc, 0, v1, vcc
	s_lshl_b64 s[2:3], s[2:3], 2
	v_add_co_u32_e32 v36, vcc, s2, v34
	s_add_i32 s2, s41, s41
	v_add_u32_e32 v2, s2, v0
	v_mov_b32_e32 v1, s3
	v_ashrrev_i32_e32 v3, 31, v2
	v_addc_co_u32_e32 v37, vcc, v35, v1, vcc
	v_lshlrev_b64 v[4:5], 2, v[2:3]
	v_add_u32_e32 v2, s41, v2
	v_mov_b32_e32 v1, s1
	v_add_co_u32_e32 v38, vcc, s0, v4
	v_ashrrev_i32_e32 v3, 31, v2
	v_addc_co_u32_e32 v39, vcc, v1, v5, vcc
	v_lshlrev_b64 v[4:5], 2, v[2:3]
	v_add_u32_e32 v2, s41, v2
	v_add_co_u32_e32 v40, vcc, s0, v4
	v_ashrrev_i32_e32 v3, 31, v2
	v_addc_co_u32_e32 v41, vcc, v1, v5, vcc
	v_lshlrev_b64 v[4:5], 2, v[2:3]
	v_add_u32_e32 v2, s41, v2
	;; [unrolled: 5-line block ×11, first 2 shown]
	v_add_co_u32_e32 v60, vcc, s0, v14
	v_ashrrev_i32_e32 v21, 31, v20
	global_load_dword v3, v[36:37], off
	global_load_dword v4, v[38:39], off
	;; [unrolled: 1-line block ×8, first 2 shown]
	v_addc_co_u32_e32 v61, vcc, v1, v15, vcc
	v_lshlrev_b64 v[12:13], 2, v[20:21]
	v_add_co_u32_e32 v62, vcc, s0, v12
	v_addc_co_u32_e32 v63, vcc, v1, v13, vcc
	global_load_dword v11, v[52:53], off
	global_load_dword v12, v[54:55], off
	;; [unrolled: 1-line block ×6, first 2 shown]
	v_add_u32_e32 v20, s41, v20
	v_ashrrev_i32_e32 v21, 31, v20
	v_lshlrev_b64 v[20:21], 2, v[20:21]
	v_add_co_u32_e32 v64, vcc, s0, v20
	v_addc_co_u32_e32 v65, vcc, v1, v21, vcc
	global_load_dword v2, v18, s[0:1]
	global_load_dword v17, v[64:65], off
	s_cmpk_lg_i32 s37, 0x84
	v_mov_b32_e32 v1, 0
	s_cselect_b64 s[34:35], -1, 0
	s_cmpk_eq_i32 s37, 0x84
	v_cmp_eq_u32_e64 s[0:1], 0, v0
	s_cbranch_scc1 .LBB15_3
; %bb.2:
	v_cmp_eq_u32_e64 s[2:3], 1, v0
	s_waitcnt vmcnt(1)
	v_cndmask_b32_e64 v19, v2, v3, s[2:3]
	v_cmp_eq_u32_e64 s[4:5], 2, v0
	v_cndmask_b32_e64 v19, v19, v4, s[4:5]
	v_cmp_eq_u32_e64 s[6:7], 3, v0
	;; [unrolled: 2-line block ×14, first 2 shown]
	s_waitcnt vmcnt(0)
	v_cndmask_b32_e64 v19, v19, v17, s[30:31]
	v_div_scale_f32 v20, s[38:39], v19, v19, 1.0
	v_rcp_f32_e32 v21, v20
	v_fma_f32 v22, -v20, v21, 1.0
	v_fmac_f32_e32 v21, v22, v21
	v_div_scale_f32 v22, vcc, 1.0, v19, 1.0
	v_mul_f32_e32 v23, v22, v21
	v_fma_f32 v24, -v20, v23, v22
	v_fmac_f32_e32 v23, v24, v21
	v_fma_f32 v20, -v20, v23, v22
	v_div_fmas_f32 v20, v20, v21, v23
	v_div_fixup_f32 v19, v20, v19, 1.0
	v_cndmask_b32_e64 v17, v17, v19, s[30:31]
	v_cndmask_b32_e64 v16, v16, v19, s[28:29]
	;; [unrolled: 1-line block ×16, first 2 shown]
	v_xor_b32_e32 v19, 0x80000000, v19
.LBB15_3:
	s_cmpk_eq_i32 s36, 0x79
	v_add_u32_e32 v69, 64, v18
	ds_write_b32 v18, v19
	s_cbranch_scc1 .LBB15_7
; %bb.4:
	s_waitcnt vmcnt(0)
	v_pk_mov_b32 v[32:33], v[16:17], v[16:17] op_sel:[0,1]
	v_cmp_eq_u32_e64 s[0:1], 15, v0
	v_pk_mov_b32 v[30:31], v[14:15], v[14:15] op_sel:[0,1]
	v_pk_mov_b32 v[28:29], v[12:13], v[12:13] op_sel:[0,1]
	;; [unrolled: 1-line block ×7, first 2 shown]
	ds_write_b32 v69, v16
	s_waitcnt lgkmcnt(0)
	; wave barrier
	s_waitcnt lgkmcnt(0)
	s_and_saveexec_b64 s[2:3], s[0:1]
	s_cbranch_execz .LBB15_11
; %bb.5:
	s_and_b64 vcc, exec, s[34:35]
	s_cbranch_vccz .LBB15_8
; %bb.6:
	v_cmp_eq_u32_e32 vcc, 1, v0
	v_cndmask_b32_e32 v18, v2, v3, vcc
	v_cmp_eq_u32_e32 vcc, 2, v0
	v_cndmask_b32_e32 v18, v18, v4, vcc
	;; [unrolled: 2-line block ×11, first 2 shown]
	v_cmp_eq_u32_e32 vcc, 12, v0
	ds_read_b32 v19, v69
	v_cndmask_b32_e32 v18, v18, v14, vcc
	v_cmp_eq_u32_e32 vcc, 13, v0
	v_cndmask_b32_e32 v18, v18, v15, vcc
	v_cmp_eq_u32_e32 vcc, 14, v0
	;; [unrolled: 2-line block ×3, first 2 shown]
	v_cndmask_b32_e32 v18, v18, v17, vcc
	s_waitcnt lgkmcnt(0)
	v_mul_f32_e32 v18, v18, v19
	s_cbranch_execz .LBB15_9
	s_branch .LBB15_10
.LBB15_7:
                                        ; implicit-def: $vgpr18_vgpr19_vgpr20_vgpr21_vgpr22_vgpr23_vgpr24_vgpr25_vgpr26_vgpr27_vgpr28_vgpr29_vgpr30_vgpr31_vgpr32_vgpr33
	s_cbranch_execnz .LBB15_226
	s_branch .LBB15_381
.LBB15_8:
                                        ; implicit-def: $vgpr18
.LBB15_9:
	ds_read_b32 v18, v69
.LBB15_10:
	v_mov_b32_e32 v19, 0
	ds_read_b32 v19, v19 offset:56
	s_waitcnt lgkmcnt(0)
	v_mul_f32_e32 v66, v18, v19
	v_pk_mov_b32 v[32:33], v[16:17], v[16:17] op_sel:[0,1]
	v_pk_mov_b32 v[30:31], v[14:15], v[14:15] op_sel:[0,1]
	v_pk_mov_b32 v[28:29], v[12:13], v[12:13] op_sel:[0,1]
	v_pk_mov_b32 v[26:27], v[10:11], v[10:11] op_sel:[0,1]
	v_pk_mov_b32 v[24:25], v[8:9], v[8:9] op_sel:[0,1]
	v_pk_mov_b32 v[22:23], v[6:7], v[6:7] op_sel:[0,1]
	v_pk_mov_b32 v[20:21], v[4:5], v[4:5] op_sel:[0,1]
	v_pk_mov_b32 v[18:19], v[2:3], v[2:3] op_sel:[0,1]
	v_mov_b32_e32 v32, v66
.LBB15_11:
	s_or_b64 exec, exec, s[2:3]
	v_cmp_lt_u32_e64 s[2:3], 13, v0
	ds_write_b32 v69, v31
	s_waitcnt lgkmcnt(0)
	; wave barrier
	s_waitcnt lgkmcnt(0)
	s_and_saveexec_b64 s[4:5], s[2:3]
	s_cbranch_execz .LBB15_17
; %bb.12:
	s_andn2_b64 vcc, exec, s[34:35]
	s_cbranch_vccnz .LBB15_14
; %bb.13:
	v_cmp_eq_u32_e32 vcc, 1, v0
	v_cndmask_b32_e32 v66, v18, v19, vcc
	v_cmp_eq_u32_e32 vcc, 2, v0
	v_cndmask_b32_e32 v66, v66, v20, vcc
	;; [unrolled: 2-line block ×13, first 2 shown]
	ds_read_b32 v66, v69
	v_cmp_eq_u32_e32 vcc, 14, v0
	v_cndmask_b32_e32 v31, v31, v32, vcc
	v_cmp_eq_u32_e32 vcc, 15, v0
	v_cndmask_b32_e32 v31, v31, v33, vcc
	s_waitcnt lgkmcnt(0)
	v_mul_f32_e32 v31, v31, v66
	s_cbranch_execz .LBB15_15
	s_branch .LBB15_16
.LBB15_14:
                                        ; implicit-def: $vgpr31
.LBB15_15:
	ds_read_b32 v31, v69
.LBB15_16:
	v_mov_b32_e32 v66, 0
	ds_read2_b32 v[66:67], v66 offset0:13 offset1:30
	s_waitcnt lgkmcnt(0)
	v_fma_f32 v67, v32, v67, v31
	v_cndmask_b32_e64 v31, v31, v67, s[0:1]
	v_mul_f32_e32 v31, v31, v66
.LBB15_17:
	s_or_b64 exec, exec, s[4:5]
	v_cmp_lt_u32_e64 s[0:1], 12, v0
	ds_write_b32 v69, v30
	s_waitcnt lgkmcnt(0)
	; wave barrier
	s_waitcnt lgkmcnt(0)
	s_and_saveexec_b64 s[4:5], s[0:1]
	s_cbranch_execz .LBB15_33
; %bb.18:
	s_andn2_b64 vcc, exec, s[34:35]
	s_cbranch_vccnz .LBB15_20
; %bb.19:
	v_cmp_eq_u32_e32 vcc, 1, v0
	v_cndmask_b32_e32 v66, v18, v19, vcc
	v_cmp_eq_u32_e32 vcc, 2, v0
	v_cndmask_b32_e32 v66, v66, v20, vcc
	;; [unrolled: 2-line block ×11, first 2 shown]
	v_cmp_eq_u32_e32 vcc, 12, v0
	ds_read_b32 v67, v69
	v_cndmask_b32_e32 v66, v66, v30, vcc
	v_cmp_eq_u32_e32 vcc, 13, v0
	v_cndmask_b32_e32 v66, v66, v31, vcc
	v_cmp_eq_u32_e32 vcc, 14, v0
	v_cndmask_b32_e32 v66, v66, v32, vcc
	v_cmp_eq_u32_e32 vcc, 15, v0
	v_cndmask_b32_e32 v66, v66, v33, vcc
	s_waitcnt lgkmcnt(0)
	v_mul_f32_e32 v70, v66, v67
	s_cbranch_execz .LBB15_21
	s_branch .LBB15_22
.LBB15_20:
                                        ; implicit-def: $vgpr70
.LBB15_21:
	ds_read_b32 v70, v69
.LBB15_22:
	s_and_saveexec_b64 s[6:7], s[2:3]
	s_cbranch_execz .LBB15_32
; %bb.23:
	v_add_u32_e32 v66, -14, v0
	v_add_u32_e32 v67, -13, v0
	v_cmp_lt_u32_e32 vcc, 6, v66
	v_mov_b32_e32 v66, 13
	s_and_saveexec_b64 s[2:3], vcc
	s_cbranch_execz .LBB15_27
; %bb.24:
	v_and_b32_e32 v66, -8, v67
	v_sub_u32_e32 v68, 0, v66
	s_mov_b64 s[8:9], 20
	s_movk_i32 s12, 0x74
	s_mov_b64 s[10:11], 0
.LBB15_25:                              ; =>This Inner Loop Header: Depth=1
	s_add_i32 s13, s8, -7
	v_mov_b32_e32 v71, s12
	s_set_gpr_idx_on s13, gpr_idx(SRC0)
	v_mov_b32_e32 v66, v18
	s_set_gpr_idx_off
	ds_read2_b32 v[72:73], v71 offset1:1
	s_add_i32 s13, s8, -6
	s_waitcnt lgkmcnt(0)
	v_fmac_f32_e32 v70, v66, v72
	s_set_gpr_idx_on s13, gpr_idx(SRC0)
	v_mov_b32_e32 v66, v18
	s_set_gpr_idx_off
	s_add_i32 s13, s8, -5
	v_fmac_f32_e32 v70, v66, v73
	s_set_gpr_idx_on s13, gpr_idx(SRC0)
	v_mov_b32_e32 v66, v18
	s_set_gpr_idx_off
	ds_read2_b32 v[72:73], v71 offset0:2 offset1:3
	s_add_i32 s13, s8, -4
	s_waitcnt lgkmcnt(0)
	v_fmac_f32_e32 v70, v66, v72
	s_set_gpr_idx_on s13, gpr_idx(SRC0)
	v_mov_b32_e32 v66, v18
	s_set_gpr_idx_off
	s_add_i32 s13, s8, -3
	v_fmac_f32_e32 v70, v66, v73
	s_set_gpr_idx_on s13, gpr_idx(SRC0)
	v_mov_b32_e32 v66, v18
	s_set_gpr_idx_off
	ds_read2_b32 v[72:73], v71 offset0:4 offset1:5
	;; [unrolled: 12-line block ×3, first 2 shown]
	s_waitcnt lgkmcnt(0)
	v_fmac_f32_e32 v70, v66, v72
	s_set_gpr_idx_on s8, gpr_idx(SRC0)
	v_mov_b32_e32 v66, v18
	s_set_gpr_idx_off
	s_add_u32 s8, s8, 8
	v_fmac_f32_e32 v70, v66, v73
	v_add_u32_e32 v66, s8, v68
	s_addc_u32 s9, s9, 0
	s_add_i32 s12, s12, 32
	v_cmp_eq_u32_e32 vcc, 20, v66
	s_add_i32 s13, s8, -7
	s_or_b64 s[10:11], vcc, s[10:11]
	v_mov_b32_e32 v66, s13
	s_andn2_b64 exec, exec, s[10:11]
	s_cbranch_execnz .LBB15_25
; %bb.26:
	s_or_b64 exec, exec, s[10:11]
.LBB15_27:
	s_or_b64 exec, exec, s[2:3]
	v_and_b32_e32 v68, 7, v67
	v_cmp_ne_u32_e32 vcc, 0, v68
	s_and_saveexec_b64 s[8:9], vcc
	s_cbranch_execz .LBB15_31
; %bb.28:
	v_lshl_add_u32 v71, v66, 2, 64
	v_mov_b32_e32 v67, 0
	s_mov_b64 s[10:11], 0
.LBB15_29:                              ; =>This Inner Loop Header: Depth=1
	v_cmp_eq_u32_e32 vcc, 1, v66
	v_cndmask_b32_e32 v72, v18, v19, vcc
	v_add_u32_e32 v68, -1, v68
	v_cmp_eq_u32_e32 vcc, 2, v66
	v_cndmask_b32_e32 v72, v72, v20, vcc
	v_cmp_eq_u32_e32 vcc, 0, v68
	v_cmp_eq_u32_e64 s[2:3], 3, v66
	v_cndmask_b32_e64 v72, v72, v21, s[2:3]
	s_or_b64 s[10:11], vcc, s[10:11]
	v_cmp_eq_u32_e32 vcc, 4, v66
	v_cndmask_b32_e32 v72, v72, v22, vcc
	v_cmp_eq_u32_e32 vcc, 5, v66
	v_cndmask_b32_e32 v72, v72, v23, vcc
	v_cmp_eq_u32_e32 vcc, 6, v66
	v_cndmask_b32_e32 v72, v72, v24, vcc
	v_cmp_eq_u32_e32 vcc, 7, v66
	v_cndmask_b32_e32 v72, v72, v25, vcc
	v_cmp_eq_u32_e32 vcc, 8, v66
	v_cndmask_b32_e32 v72, v72, v26, vcc
	v_cmp_eq_u32_e32 vcc, 9, v66
	v_cndmask_b32_e32 v72, v72, v27, vcc
	v_cmp_eq_u32_e32 vcc, 10, v66
	v_cndmask_b32_e32 v72, v72, v28, vcc
	v_cmp_eq_u32_e32 vcc, 11, v66
	ds_read_b32 v73, v71
	v_cndmask_b32_e32 v72, v72, v29, vcc
	v_cmp_eq_u32_e32 vcc, 12, v66
	v_cndmask_b32_e32 v72, v72, v30, vcc
	v_cmp_eq_u32_e32 vcc, 13, v66
	;; [unrolled: 2-line block ×4, first 2 shown]
	v_add_co_u32_e64 v66, s[2:3], 1, v66
	v_cndmask_b32_e32 v72, v72, v33, vcc
	v_add_u32_e32 v71, 4, v71
	v_addc_co_u32_e64 v67, s[2:3], 0, v67, s[2:3]
	s_waitcnt lgkmcnt(0)
	v_fmac_f32_e32 v70, v72, v73
	s_andn2_b64 exec, exec, s[10:11]
	s_cbranch_execnz .LBB15_29
; %bb.30:
	s_or_b64 exec, exec, s[10:11]
.LBB15_31:
	s_or_b64 exec, exec, s[8:9]
.LBB15_32:
	s_or_b64 exec, exec, s[6:7]
	v_mov_b32_e32 v30, 0
	ds_read_b32 v30, v30 offset:48
	s_waitcnt lgkmcnt(0)
	v_mul_f32_e32 v30, v70, v30
.LBB15_33:
	s_or_b64 exec, exec, s[4:5]
	v_cmp_lt_u32_e64 s[2:3], 11, v0
	ds_write_b32 v69, v29
	s_waitcnt lgkmcnt(0)
	; wave barrier
	s_waitcnt lgkmcnt(0)
	s_and_saveexec_b64 s[4:5], s[2:3]
	s_cbranch_execz .LBB15_49
; %bb.34:
	s_andn2_b64 vcc, exec, s[34:35]
	s_cbranch_vccnz .LBB15_36
; %bb.35:
	v_cmp_eq_u32_e32 vcc, 1, v0
	v_cndmask_b32_e32 v66, v18, v19, vcc
	v_cmp_eq_u32_e32 vcc, 2, v0
	v_cndmask_b32_e32 v66, v66, v20, vcc
	;; [unrolled: 2-line block ×11, first 2 shown]
	v_cmp_eq_u32_e32 vcc, 12, v0
	ds_read_b32 v67, v69
	v_cndmask_b32_e32 v66, v66, v30, vcc
	v_cmp_eq_u32_e32 vcc, 13, v0
	v_cndmask_b32_e32 v66, v66, v31, vcc
	v_cmp_eq_u32_e32 vcc, 14, v0
	;; [unrolled: 2-line block ×3, first 2 shown]
	v_cndmask_b32_e32 v66, v66, v33, vcc
	s_waitcnt lgkmcnt(0)
	v_mul_f32_e32 v70, v66, v67
	s_cbranch_execz .LBB15_37
	s_branch .LBB15_38
.LBB15_36:
                                        ; implicit-def: $vgpr70
.LBB15_37:
	ds_read_b32 v70, v69
.LBB15_38:
	s_and_saveexec_b64 s[6:7], s[0:1]
	s_cbranch_execz .LBB15_48
; %bb.39:
	v_add_u32_e32 v66, -13, v0
	v_add_u32_e32 v67, -12, v0
	v_cmp_lt_u32_e32 vcc, 6, v66
	v_mov_b32_e32 v66, 12
	s_and_saveexec_b64 s[0:1], vcc
	s_cbranch_execz .LBB15_43
; %bb.40:
	v_and_b32_e32 v66, -8, v67
	v_sub_u32_e32 v68, 0, v66
	s_mov_b64 s[8:9], 19
	s_movk_i32 s12, 0x70
	s_mov_b64 s[10:11], 0
.LBB15_41:                              ; =>This Inner Loop Header: Depth=1
	s_add_i32 s13, s8, -7
	v_mov_b32_e32 v71, s12
	s_set_gpr_idx_on s13, gpr_idx(SRC0)
	v_mov_b32_e32 v66, v18
	s_set_gpr_idx_off
	ds_read_b128 v[72:75], v71
	ds_read_b128 v[76:79], v71 offset:16
	s_add_i32 s13, s8, -6
	s_waitcnt lgkmcnt(1)
	v_fmac_f32_e32 v70, v66, v72
	s_set_gpr_idx_on s13, gpr_idx(SRC0)
	v_mov_b32_e32 v66, v18
	s_set_gpr_idx_off
	s_add_i32 s13, s8, -5
	v_fmac_f32_e32 v70, v66, v73
	s_set_gpr_idx_on s13, gpr_idx(SRC0)
	v_mov_b32_e32 v66, v18
	s_set_gpr_idx_off
	s_add_i32 s13, s8, -4
	v_fmac_f32_e32 v70, v66, v74
	s_set_gpr_idx_on s13, gpr_idx(SRC0)
	v_mov_b32_e32 v66, v18
	s_set_gpr_idx_off
	s_add_i32 s13, s8, -3
	v_fmac_f32_e32 v70, v66, v75
	s_set_gpr_idx_on s13, gpr_idx(SRC0)
	v_mov_b32_e32 v66, v18
	s_set_gpr_idx_off
	s_add_i32 s13, s8, -2
	s_waitcnt lgkmcnt(0)
	v_fmac_f32_e32 v70, v66, v76
	s_set_gpr_idx_on s13, gpr_idx(SRC0)
	v_mov_b32_e32 v66, v18
	s_set_gpr_idx_off
	s_add_i32 s13, s8, -1
	v_fmac_f32_e32 v70, v66, v77
	s_set_gpr_idx_on s13, gpr_idx(SRC0)
	v_mov_b32_e32 v66, v18
	s_set_gpr_idx_off
	v_fmac_f32_e32 v70, v66, v78
	s_set_gpr_idx_on s8, gpr_idx(SRC0)
	v_mov_b32_e32 v66, v18
	s_set_gpr_idx_off
	s_add_u32 s8, s8, 8
	v_fmac_f32_e32 v70, v66, v79
	v_add_u32_e32 v66, s8, v68
	s_addc_u32 s9, s9, 0
	s_add_i32 s12, s12, 32
	v_cmp_eq_u32_e32 vcc, 19, v66
	s_add_i32 s13, s8, -7
	s_or_b64 s[10:11], vcc, s[10:11]
	v_mov_b32_e32 v66, s13
	s_andn2_b64 exec, exec, s[10:11]
	s_cbranch_execnz .LBB15_41
; %bb.42:
	s_or_b64 exec, exec, s[10:11]
.LBB15_43:
	s_or_b64 exec, exec, s[0:1]
	v_and_b32_e32 v68, 7, v67
	v_cmp_ne_u32_e32 vcc, 0, v68
	s_and_saveexec_b64 s[8:9], vcc
	s_cbranch_execz .LBB15_47
; %bb.44:
	v_lshl_add_u32 v71, v66, 2, 64
	v_mov_b32_e32 v67, 0
	s_mov_b64 s[10:11], 0
.LBB15_45:                              ; =>This Inner Loop Header: Depth=1
	v_cmp_eq_u32_e32 vcc, 1, v66
	v_cndmask_b32_e32 v72, v18, v19, vcc
	v_add_u32_e32 v68, -1, v68
	v_cmp_eq_u32_e32 vcc, 2, v66
	v_cndmask_b32_e32 v72, v72, v20, vcc
	v_cmp_eq_u32_e32 vcc, 0, v68
	v_cmp_eq_u32_e64 s[0:1], 3, v66
	v_cndmask_b32_e64 v72, v72, v21, s[0:1]
	s_or_b64 s[10:11], vcc, s[10:11]
	v_cmp_eq_u32_e32 vcc, 4, v66
	v_cndmask_b32_e32 v72, v72, v22, vcc
	v_cmp_eq_u32_e32 vcc, 5, v66
	v_cndmask_b32_e32 v72, v72, v23, vcc
	;; [unrolled: 2-line block ×7, first 2 shown]
	v_cmp_eq_u32_e32 vcc, 11, v66
	ds_read_b32 v73, v71
	v_cndmask_b32_e32 v72, v72, v29, vcc
	v_cmp_eq_u32_e32 vcc, 12, v66
	v_cndmask_b32_e32 v72, v72, v30, vcc
	v_cmp_eq_u32_e32 vcc, 13, v66
	;; [unrolled: 2-line block ×4, first 2 shown]
	v_add_co_u32_e64 v66, s[0:1], 1, v66
	v_cndmask_b32_e32 v72, v72, v33, vcc
	v_add_u32_e32 v71, 4, v71
	v_addc_co_u32_e64 v67, s[0:1], 0, v67, s[0:1]
	s_waitcnt lgkmcnt(0)
	v_fmac_f32_e32 v70, v72, v73
	s_andn2_b64 exec, exec, s[10:11]
	s_cbranch_execnz .LBB15_45
; %bb.46:
	s_or_b64 exec, exec, s[10:11]
.LBB15_47:
	s_or_b64 exec, exec, s[8:9]
.LBB15_48:
	s_or_b64 exec, exec, s[6:7]
	v_mov_b32_e32 v29, 0
	ds_read_b32 v29, v29 offset:44
	s_waitcnt lgkmcnt(0)
	v_mul_f32_e32 v29, v70, v29
.LBB15_49:
	s_or_b64 exec, exec, s[4:5]
	v_cmp_lt_u32_e64 s[0:1], 10, v0
	ds_write_b32 v69, v28
	s_waitcnt lgkmcnt(0)
	; wave barrier
	s_waitcnt lgkmcnt(0)
	s_and_saveexec_b64 s[4:5], s[0:1]
	s_cbranch_execz .LBB15_65
; %bb.50:
	s_andn2_b64 vcc, exec, s[34:35]
	s_cbranch_vccnz .LBB15_52
; %bb.51:
	v_cmp_eq_u32_e32 vcc, 1, v0
	v_cndmask_b32_e32 v66, v18, v19, vcc
	v_cmp_eq_u32_e32 vcc, 2, v0
	v_cndmask_b32_e32 v66, v66, v20, vcc
	;; [unrolled: 2-line block ×11, first 2 shown]
	v_cmp_eq_u32_e32 vcc, 12, v0
	ds_read_b32 v67, v69
	v_cndmask_b32_e32 v66, v66, v30, vcc
	v_cmp_eq_u32_e32 vcc, 13, v0
	v_cndmask_b32_e32 v66, v66, v31, vcc
	v_cmp_eq_u32_e32 vcc, 14, v0
	;; [unrolled: 2-line block ×3, first 2 shown]
	v_cndmask_b32_e32 v66, v66, v33, vcc
	s_waitcnt lgkmcnt(0)
	v_mul_f32_e32 v70, v66, v67
	s_cbranch_execz .LBB15_53
	s_branch .LBB15_54
.LBB15_52:
                                        ; implicit-def: $vgpr70
.LBB15_53:
	ds_read_b32 v70, v69
.LBB15_54:
	s_and_saveexec_b64 s[6:7], s[2:3]
	s_cbranch_execz .LBB15_64
; %bb.55:
	v_add_u32_e32 v66, -12, v0
	v_add_u32_e32 v67, -11, v0
	v_cmp_lt_u32_e32 vcc, 6, v66
	v_mov_b32_e32 v66, 11
	s_and_saveexec_b64 s[2:3], vcc
	s_cbranch_execz .LBB15_59
; %bb.56:
	v_and_b32_e32 v66, -8, v67
	v_sub_u32_e32 v68, 0, v66
	s_mov_b64 s[8:9], 18
	s_movk_i32 s12, 0x6c
	s_mov_b64 s[10:11], 0
.LBB15_57:                              ; =>This Inner Loop Header: Depth=1
	s_add_i32 s13, s8, -7
	v_mov_b32_e32 v71, s12
	s_set_gpr_idx_on s13, gpr_idx(SRC0)
	v_mov_b32_e32 v66, v18
	s_set_gpr_idx_off
	ds_read2_b32 v[72:73], v71 offset1:1
	s_add_i32 s13, s8, -6
	s_waitcnt lgkmcnt(0)
	v_fmac_f32_e32 v70, v66, v72
	s_set_gpr_idx_on s13, gpr_idx(SRC0)
	v_mov_b32_e32 v66, v18
	s_set_gpr_idx_off
	s_add_i32 s13, s8, -5
	v_fmac_f32_e32 v70, v66, v73
	s_set_gpr_idx_on s13, gpr_idx(SRC0)
	v_mov_b32_e32 v66, v18
	s_set_gpr_idx_off
	ds_read2_b32 v[72:73], v71 offset0:2 offset1:3
	s_add_i32 s13, s8, -4
	s_waitcnt lgkmcnt(0)
	v_fmac_f32_e32 v70, v66, v72
	s_set_gpr_idx_on s13, gpr_idx(SRC0)
	v_mov_b32_e32 v66, v18
	s_set_gpr_idx_off
	s_add_i32 s13, s8, -3
	v_fmac_f32_e32 v70, v66, v73
	s_set_gpr_idx_on s13, gpr_idx(SRC0)
	v_mov_b32_e32 v66, v18
	s_set_gpr_idx_off
	ds_read2_b32 v[72:73], v71 offset0:4 offset1:5
	s_add_i32 s13, s8, -2
	s_waitcnt lgkmcnt(0)
	v_fmac_f32_e32 v70, v66, v72
	s_set_gpr_idx_on s13, gpr_idx(SRC0)
	v_mov_b32_e32 v66, v18
	s_set_gpr_idx_off
	s_add_i32 s13, s8, -1
	v_fmac_f32_e32 v70, v66, v73
	s_set_gpr_idx_on s13, gpr_idx(SRC0)
	v_mov_b32_e32 v66, v18
	s_set_gpr_idx_off
	ds_read2_b32 v[72:73], v71 offset0:6 offset1:7
	s_waitcnt lgkmcnt(0)
	v_fmac_f32_e32 v70, v66, v72
	s_set_gpr_idx_on s8, gpr_idx(SRC0)
	v_mov_b32_e32 v66, v18
	s_set_gpr_idx_off
	s_add_u32 s8, s8, 8
	v_fmac_f32_e32 v70, v66, v73
	v_add_u32_e32 v66, s8, v68
	s_addc_u32 s9, s9, 0
	s_add_i32 s12, s12, 32
	v_cmp_eq_u32_e32 vcc, 18, v66
	s_add_i32 s13, s8, -7
	s_or_b64 s[10:11], vcc, s[10:11]
	v_mov_b32_e32 v66, s13
	s_andn2_b64 exec, exec, s[10:11]
	s_cbranch_execnz .LBB15_57
; %bb.58:
	s_or_b64 exec, exec, s[10:11]
.LBB15_59:
	s_or_b64 exec, exec, s[2:3]
	v_and_b32_e32 v68, 7, v67
	v_cmp_ne_u32_e32 vcc, 0, v68
	s_and_saveexec_b64 s[8:9], vcc
	s_cbranch_execz .LBB15_63
; %bb.60:
	v_lshl_add_u32 v71, v66, 2, 64
	v_mov_b32_e32 v67, 0
	s_mov_b64 s[10:11], 0
.LBB15_61:                              ; =>This Inner Loop Header: Depth=1
	v_cmp_eq_u32_e32 vcc, 1, v66
	v_cndmask_b32_e32 v72, v18, v19, vcc
	v_add_u32_e32 v68, -1, v68
	v_cmp_eq_u32_e32 vcc, 2, v66
	v_cndmask_b32_e32 v72, v72, v20, vcc
	v_cmp_eq_u32_e32 vcc, 0, v68
	v_cmp_eq_u32_e64 s[2:3], 3, v66
	v_cndmask_b32_e64 v72, v72, v21, s[2:3]
	s_or_b64 s[10:11], vcc, s[10:11]
	v_cmp_eq_u32_e32 vcc, 4, v66
	v_cndmask_b32_e32 v72, v72, v22, vcc
	v_cmp_eq_u32_e32 vcc, 5, v66
	v_cndmask_b32_e32 v72, v72, v23, vcc
	;; [unrolled: 2-line block ×7, first 2 shown]
	v_cmp_eq_u32_e32 vcc, 11, v66
	ds_read_b32 v73, v71
	v_cndmask_b32_e32 v72, v72, v29, vcc
	v_cmp_eq_u32_e32 vcc, 12, v66
	v_cndmask_b32_e32 v72, v72, v30, vcc
	v_cmp_eq_u32_e32 vcc, 13, v66
	;; [unrolled: 2-line block ×4, first 2 shown]
	v_add_co_u32_e64 v66, s[2:3], 1, v66
	v_cndmask_b32_e32 v72, v72, v33, vcc
	v_add_u32_e32 v71, 4, v71
	v_addc_co_u32_e64 v67, s[2:3], 0, v67, s[2:3]
	s_waitcnt lgkmcnt(0)
	v_fmac_f32_e32 v70, v72, v73
	s_andn2_b64 exec, exec, s[10:11]
	s_cbranch_execnz .LBB15_61
; %bb.62:
	s_or_b64 exec, exec, s[10:11]
.LBB15_63:
	s_or_b64 exec, exec, s[8:9]
.LBB15_64:
	s_or_b64 exec, exec, s[6:7]
	v_mov_b32_e32 v28, 0
	ds_read_b32 v28, v28 offset:40
	s_waitcnt lgkmcnt(0)
	v_mul_f32_e32 v28, v70, v28
.LBB15_65:
	s_or_b64 exec, exec, s[4:5]
	v_cmp_lt_u32_e64 s[2:3], 9, v0
	ds_write_b32 v69, v27
	s_waitcnt lgkmcnt(0)
	; wave barrier
	s_waitcnt lgkmcnt(0)
	s_and_saveexec_b64 s[4:5], s[2:3]
	s_cbranch_execz .LBB15_81
; %bb.66:
	s_andn2_b64 vcc, exec, s[34:35]
	s_cbranch_vccnz .LBB15_68
; %bb.67:
	v_cmp_eq_u32_e32 vcc, 1, v0
	v_cndmask_b32_e32 v66, v18, v19, vcc
	v_cmp_eq_u32_e32 vcc, 2, v0
	v_cndmask_b32_e32 v66, v66, v20, vcc
	;; [unrolled: 2-line block ×11, first 2 shown]
	v_cmp_eq_u32_e32 vcc, 12, v0
	ds_read_b32 v67, v69
	v_cndmask_b32_e32 v66, v66, v30, vcc
	v_cmp_eq_u32_e32 vcc, 13, v0
	v_cndmask_b32_e32 v66, v66, v31, vcc
	v_cmp_eq_u32_e32 vcc, 14, v0
	v_cndmask_b32_e32 v66, v66, v32, vcc
	v_cmp_eq_u32_e32 vcc, 15, v0
	v_cndmask_b32_e32 v66, v66, v33, vcc
	s_waitcnt lgkmcnt(0)
	v_mul_f32_e32 v70, v66, v67
	s_cbranch_execz .LBB15_69
	s_branch .LBB15_70
.LBB15_68:
                                        ; implicit-def: $vgpr70
.LBB15_69:
	ds_read_b32 v70, v69
.LBB15_70:
	s_and_saveexec_b64 s[6:7], s[0:1]
	s_cbranch_execz .LBB15_80
; %bb.71:
	v_add_u32_e32 v66, -11, v0
	v_add_u32_e32 v67, -10, v0
	v_cmp_lt_u32_e32 vcc, 6, v66
	v_mov_b32_e32 v66, 10
	s_and_saveexec_b64 s[0:1], vcc
	s_cbranch_execz .LBB15_75
; %bb.72:
	v_and_b32_e32 v66, -8, v67
	v_sub_u32_e32 v68, 0, v66
	s_mov_b64 s[8:9], 17
	s_movk_i32 s12, 0x68
	s_mov_b64 s[10:11], 0
.LBB15_73:                              ; =>This Inner Loop Header: Depth=1
	s_add_i32 s13, s8, -7
	v_mov_b32_e32 v71, s12
	s_set_gpr_idx_on s13, gpr_idx(SRC0)
	v_mov_b32_e32 v66, v18
	s_set_gpr_idx_off
	ds_read2_b64 v[72:75], v71 offset1:1
	s_add_i32 s13, s8, -6
	s_waitcnt lgkmcnt(0)
	v_fmac_f32_e32 v70, v66, v72
	s_set_gpr_idx_on s13, gpr_idx(SRC0)
	v_mov_b32_e32 v66, v18
	s_set_gpr_idx_off
	s_add_i32 s13, s8, -5
	v_fmac_f32_e32 v70, v66, v73
	s_set_gpr_idx_on s13, gpr_idx(SRC0)
	v_mov_b32_e32 v66, v18
	s_set_gpr_idx_off
	s_add_i32 s13, s8, -4
	;; [unrolled: 5-line block ×3, first 2 shown]
	v_fmac_f32_e32 v70, v66, v75
	s_set_gpr_idx_on s13, gpr_idx(SRC0)
	v_mov_b32_e32 v66, v18
	s_set_gpr_idx_off
	ds_read2_b64 v[72:75], v71 offset0:2 offset1:3
	s_add_i32 s13, s8, -2
	s_waitcnt lgkmcnt(0)
	v_fmac_f32_e32 v70, v66, v72
	s_set_gpr_idx_on s13, gpr_idx(SRC0)
	v_mov_b32_e32 v66, v18
	s_set_gpr_idx_off
	s_add_i32 s13, s8, -1
	v_fmac_f32_e32 v70, v66, v73
	s_set_gpr_idx_on s13, gpr_idx(SRC0)
	v_mov_b32_e32 v66, v18
	s_set_gpr_idx_off
	v_fmac_f32_e32 v70, v66, v74
	s_set_gpr_idx_on s8, gpr_idx(SRC0)
	v_mov_b32_e32 v66, v18
	s_set_gpr_idx_off
	s_add_u32 s8, s8, 8
	v_fmac_f32_e32 v70, v66, v75
	v_add_u32_e32 v66, s8, v68
	s_addc_u32 s9, s9, 0
	s_add_i32 s12, s12, 32
	v_cmp_eq_u32_e32 vcc, 17, v66
	s_add_i32 s13, s8, -7
	s_or_b64 s[10:11], vcc, s[10:11]
	v_mov_b32_e32 v66, s13
	s_andn2_b64 exec, exec, s[10:11]
	s_cbranch_execnz .LBB15_73
; %bb.74:
	s_or_b64 exec, exec, s[10:11]
.LBB15_75:
	s_or_b64 exec, exec, s[0:1]
	v_and_b32_e32 v68, 7, v67
	v_cmp_ne_u32_e32 vcc, 0, v68
	s_and_saveexec_b64 s[8:9], vcc
	s_cbranch_execz .LBB15_79
; %bb.76:
	v_lshl_add_u32 v71, v66, 2, 64
	v_mov_b32_e32 v67, 0
	s_mov_b64 s[10:11], 0
.LBB15_77:                              ; =>This Inner Loop Header: Depth=1
	v_cmp_eq_u32_e32 vcc, 1, v66
	v_cndmask_b32_e32 v72, v18, v19, vcc
	v_add_u32_e32 v68, -1, v68
	v_cmp_eq_u32_e32 vcc, 2, v66
	v_cndmask_b32_e32 v72, v72, v20, vcc
	v_cmp_eq_u32_e32 vcc, 0, v68
	v_cmp_eq_u32_e64 s[0:1], 3, v66
	v_cndmask_b32_e64 v72, v72, v21, s[0:1]
	s_or_b64 s[10:11], vcc, s[10:11]
	v_cmp_eq_u32_e32 vcc, 4, v66
	v_cndmask_b32_e32 v72, v72, v22, vcc
	v_cmp_eq_u32_e32 vcc, 5, v66
	v_cndmask_b32_e32 v72, v72, v23, vcc
	;; [unrolled: 2-line block ×7, first 2 shown]
	v_cmp_eq_u32_e32 vcc, 11, v66
	ds_read_b32 v73, v71
	v_cndmask_b32_e32 v72, v72, v29, vcc
	v_cmp_eq_u32_e32 vcc, 12, v66
	v_cndmask_b32_e32 v72, v72, v30, vcc
	v_cmp_eq_u32_e32 vcc, 13, v66
	;; [unrolled: 2-line block ×4, first 2 shown]
	v_add_co_u32_e64 v66, s[0:1], 1, v66
	v_cndmask_b32_e32 v72, v72, v33, vcc
	v_add_u32_e32 v71, 4, v71
	v_addc_co_u32_e64 v67, s[0:1], 0, v67, s[0:1]
	s_waitcnt lgkmcnt(0)
	v_fmac_f32_e32 v70, v72, v73
	s_andn2_b64 exec, exec, s[10:11]
	s_cbranch_execnz .LBB15_77
; %bb.78:
	s_or_b64 exec, exec, s[10:11]
.LBB15_79:
	s_or_b64 exec, exec, s[8:9]
.LBB15_80:
	s_or_b64 exec, exec, s[6:7]
	v_mov_b32_e32 v27, 0
	ds_read_b32 v27, v27 offset:36
	s_waitcnt lgkmcnt(0)
	v_mul_f32_e32 v27, v70, v27
.LBB15_81:
	s_or_b64 exec, exec, s[4:5]
	v_cmp_lt_u32_e64 s[0:1], 8, v0
	ds_write_b32 v69, v26
	s_waitcnt lgkmcnt(0)
	; wave barrier
	s_waitcnt lgkmcnt(0)
	s_and_saveexec_b64 s[4:5], s[0:1]
	s_cbranch_execz .LBB15_97
; %bb.82:
	s_andn2_b64 vcc, exec, s[34:35]
	s_cbranch_vccnz .LBB15_84
; %bb.83:
	v_cmp_eq_u32_e32 vcc, 1, v0
	v_cndmask_b32_e32 v66, v18, v19, vcc
	v_cmp_eq_u32_e32 vcc, 2, v0
	v_cndmask_b32_e32 v66, v66, v20, vcc
	v_cmp_eq_u32_e32 vcc, 3, v0
	v_cndmask_b32_e32 v66, v66, v21, vcc
	v_cmp_eq_u32_e32 vcc, 4, v0
	v_cndmask_b32_e32 v66, v66, v22, vcc
	v_cmp_eq_u32_e32 vcc, 5, v0
	v_cndmask_b32_e32 v66, v66, v23, vcc
	v_cmp_eq_u32_e32 vcc, 6, v0
	v_cndmask_b32_e32 v66, v66, v24, vcc
	v_cmp_eq_u32_e32 vcc, 7, v0
	v_cndmask_b32_e32 v66, v66, v25, vcc
	v_cmp_eq_u32_e32 vcc, 8, v0
	v_cndmask_b32_e32 v66, v66, v26, vcc
	v_cmp_eq_u32_e32 vcc, 9, v0
	v_cndmask_b32_e32 v66, v66, v27, vcc
	v_cmp_eq_u32_e32 vcc, 10, v0
	v_cndmask_b32_e32 v66, v66, v28, vcc
	v_cmp_eq_u32_e32 vcc, 11, v0
	v_cndmask_b32_e32 v66, v66, v29, vcc
	v_cmp_eq_u32_e32 vcc, 12, v0
	ds_read_b32 v67, v69
	v_cndmask_b32_e32 v66, v66, v30, vcc
	v_cmp_eq_u32_e32 vcc, 13, v0
	v_cndmask_b32_e32 v66, v66, v31, vcc
	v_cmp_eq_u32_e32 vcc, 14, v0
	;; [unrolled: 2-line block ×3, first 2 shown]
	v_cndmask_b32_e32 v66, v66, v33, vcc
	s_waitcnt lgkmcnt(0)
	v_mul_f32_e32 v70, v66, v67
	s_cbranch_execz .LBB15_85
	s_branch .LBB15_86
.LBB15_84:
                                        ; implicit-def: $vgpr70
.LBB15_85:
	ds_read_b32 v70, v69
.LBB15_86:
	s_and_saveexec_b64 s[6:7], s[2:3]
	s_cbranch_execz .LBB15_96
; %bb.87:
	v_add_u32_e32 v66, -10, v0
	v_add_u32_e32 v67, -9, v0
	v_cmp_lt_u32_e32 vcc, 6, v66
	v_mov_b32_e32 v66, 9
	s_and_saveexec_b64 s[2:3], vcc
	s_cbranch_execz .LBB15_91
; %bb.88:
	v_and_b32_e32 v66, -8, v67
	v_sub_u32_e32 v68, 0, v66
	s_mov_b64 s[8:9], 16
	s_movk_i32 s12, 0x64
	s_mov_b64 s[10:11], 0
.LBB15_89:                              ; =>This Inner Loop Header: Depth=1
	s_add_i32 s13, s8, -7
	v_mov_b32_e32 v71, s12
	s_set_gpr_idx_on s13, gpr_idx(SRC0)
	v_mov_b32_e32 v66, v18
	s_set_gpr_idx_off
	ds_read2_b32 v[72:73], v71 offset1:1
	s_add_i32 s13, s8, -6
	s_waitcnt lgkmcnt(0)
	v_fmac_f32_e32 v70, v66, v72
	s_set_gpr_idx_on s13, gpr_idx(SRC0)
	v_mov_b32_e32 v66, v18
	s_set_gpr_idx_off
	s_add_i32 s13, s8, -5
	v_fmac_f32_e32 v70, v66, v73
	s_set_gpr_idx_on s13, gpr_idx(SRC0)
	v_mov_b32_e32 v66, v18
	s_set_gpr_idx_off
	ds_read2_b32 v[72:73], v71 offset0:2 offset1:3
	s_add_i32 s13, s8, -4
	s_waitcnt lgkmcnt(0)
	v_fmac_f32_e32 v70, v66, v72
	s_set_gpr_idx_on s13, gpr_idx(SRC0)
	v_mov_b32_e32 v66, v18
	s_set_gpr_idx_off
	s_add_i32 s13, s8, -3
	v_fmac_f32_e32 v70, v66, v73
	s_set_gpr_idx_on s13, gpr_idx(SRC0)
	v_mov_b32_e32 v66, v18
	s_set_gpr_idx_off
	ds_read2_b32 v[72:73], v71 offset0:4 offset1:5
	;; [unrolled: 12-line block ×3, first 2 shown]
	s_waitcnt lgkmcnt(0)
	v_fmac_f32_e32 v70, v66, v72
	s_set_gpr_idx_on s8, gpr_idx(SRC0)
	v_mov_b32_e32 v66, v18
	s_set_gpr_idx_off
	s_add_u32 s8, s8, 8
	v_fmac_f32_e32 v70, v66, v73
	v_add_u32_e32 v66, s8, v68
	s_addc_u32 s9, s9, 0
	s_add_i32 s12, s12, 32
	v_cmp_eq_u32_e32 vcc, 16, v66
	s_add_i32 s13, s8, -7
	s_or_b64 s[10:11], vcc, s[10:11]
	v_mov_b32_e32 v66, s13
	s_andn2_b64 exec, exec, s[10:11]
	s_cbranch_execnz .LBB15_89
; %bb.90:
	s_or_b64 exec, exec, s[10:11]
.LBB15_91:
	s_or_b64 exec, exec, s[2:3]
	v_and_b32_e32 v68, 7, v67
	v_cmp_ne_u32_e32 vcc, 0, v68
	s_and_saveexec_b64 s[8:9], vcc
	s_cbranch_execz .LBB15_95
; %bb.92:
	v_lshl_add_u32 v71, v66, 2, 64
	v_mov_b32_e32 v67, 0
	s_mov_b64 s[10:11], 0
.LBB15_93:                              ; =>This Inner Loop Header: Depth=1
	v_cmp_eq_u32_e32 vcc, 1, v66
	v_cndmask_b32_e32 v72, v18, v19, vcc
	v_add_u32_e32 v68, -1, v68
	v_cmp_eq_u32_e32 vcc, 2, v66
	v_cndmask_b32_e32 v72, v72, v20, vcc
	v_cmp_eq_u32_e32 vcc, 0, v68
	v_cmp_eq_u32_e64 s[2:3], 3, v66
	v_cndmask_b32_e64 v72, v72, v21, s[2:3]
	s_or_b64 s[10:11], vcc, s[10:11]
	v_cmp_eq_u32_e32 vcc, 4, v66
	v_cndmask_b32_e32 v72, v72, v22, vcc
	v_cmp_eq_u32_e32 vcc, 5, v66
	v_cndmask_b32_e32 v72, v72, v23, vcc
	;; [unrolled: 2-line block ×7, first 2 shown]
	v_cmp_eq_u32_e32 vcc, 11, v66
	ds_read_b32 v73, v71
	v_cndmask_b32_e32 v72, v72, v29, vcc
	v_cmp_eq_u32_e32 vcc, 12, v66
	v_cndmask_b32_e32 v72, v72, v30, vcc
	v_cmp_eq_u32_e32 vcc, 13, v66
	;; [unrolled: 2-line block ×4, first 2 shown]
	v_add_co_u32_e64 v66, s[2:3], 1, v66
	v_cndmask_b32_e32 v72, v72, v33, vcc
	v_add_u32_e32 v71, 4, v71
	v_addc_co_u32_e64 v67, s[2:3], 0, v67, s[2:3]
	s_waitcnt lgkmcnt(0)
	v_fmac_f32_e32 v70, v72, v73
	s_andn2_b64 exec, exec, s[10:11]
	s_cbranch_execnz .LBB15_93
; %bb.94:
	s_or_b64 exec, exec, s[10:11]
.LBB15_95:
	s_or_b64 exec, exec, s[8:9]
.LBB15_96:
	s_or_b64 exec, exec, s[6:7]
	v_mov_b32_e32 v26, 0
	ds_read_b32 v26, v26 offset:32
	s_waitcnt lgkmcnt(0)
	v_mul_f32_e32 v26, v70, v26
.LBB15_97:
	s_or_b64 exec, exec, s[4:5]
	v_cmp_lt_u32_e64 s[2:3], 7, v0
	ds_write_b32 v69, v25
	s_waitcnt lgkmcnt(0)
	; wave barrier
	s_waitcnt lgkmcnt(0)
	s_and_saveexec_b64 s[4:5], s[2:3]
	s_cbranch_execz .LBB15_113
; %bb.98:
	s_andn2_b64 vcc, exec, s[34:35]
	s_cbranch_vccnz .LBB15_100
; %bb.99:
	v_cmp_eq_u32_e32 vcc, 1, v0
	v_cndmask_b32_e32 v66, v18, v19, vcc
	v_cmp_eq_u32_e32 vcc, 2, v0
	v_cndmask_b32_e32 v66, v66, v20, vcc
	;; [unrolled: 2-line block ×11, first 2 shown]
	v_cmp_eq_u32_e32 vcc, 12, v0
	ds_read_b32 v67, v69
	v_cndmask_b32_e32 v66, v66, v30, vcc
	v_cmp_eq_u32_e32 vcc, 13, v0
	v_cndmask_b32_e32 v66, v66, v31, vcc
	v_cmp_eq_u32_e32 vcc, 14, v0
	;; [unrolled: 2-line block ×3, first 2 shown]
	v_cndmask_b32_e32 v66, v66, v33, vcc
	s_waitcnt lgkmcnt(0)
	v_mul_f32_e32 v70, v66, v67
	s_cbranch_execz .LBB15_101
	s_branch .LBB15_102
.LBB15_100:
                                        ; implicit-def: $vgpr70
.LBB15_101:
	ds_read_b32 v70, v69
.LBB15_102:
	s_and_saveexec_b64 s[6:7], s[0:1]
	s_cbranch_execz .LBB15_112
; %bb.103:
	v_add_u32_e32 v66, -9, v0
	v_cmp_lt_u32_e32 vcc, 6, v66
	v_mov_b32_e32 v66, 8
	s_and_saveexec_b64 s[0:1], vcc
	s_cbranch_execz .LBB15_107
; %bb.104:
	v_and_b32_e32 v66, 8, v0
	v_sub_u32_e32 v68, 0, v66
	s_mov_b64 s[8:9], 15
	s_movk_i32 s12, 0x60
	s_mov_b64 s[10:11], 0
.LBB15_105:                             ; =>This Inner Loop Header: Depth=1
	s_add_i32 s13, s8, -7
	v_mov_b32_e32 v67, s12
	s_set_gpr_idx_on s13, gpr_idx(SRC0)
	v_mov_b32_e32 v66, v18
	s_set_gpr_idx_off
	ds_read_b128 v[72:75], v67
	ds_read_b128 v[76:79], v67 offset:16
	s_add_i32 s13, s8, -6
	s_waitcnt lgkmcnt(1)
	v_fmac_f32_e32 v70, v66, v72
	s_set_gpr_idx_on s13, gpr_idx(SRC0)
	v_mov_b32_e32 v66, v18
	s_set_gpr_idx_off
	s_add_i32 s13, s8, -5
	v_fmac_f32_e32 v70, v66, v73
	s_set_gpr_idx_on s13, gpr_idx(SRC0)
	v_mov_b32_e32 v66, v18
	s_set_gpr_idx_off
	s_add_i32 s13, s8, -4
	;; [unrolled: 5-line block ×4, first 2 shown]
	s_waitcnt lgkmcnt(0)
	v_fmac_f32_e32 v70, v66, v76
	s_set_gpr_idx_on s13, gpr_idx(SRC0)
	v_mov_b32_e32 v66, v18
	s_set_gpr_idx_off
	s_add_i32 s13, s8, -1
	v_fmac_f32_e32 v70, v66, v77
	s_set_gpr_idx_on s13, gpr_idx(SRC0)
	v_mov_b32_e32 v66, v18
	s_set_gpr_idx_off
	v_fmac_f32_e32 v70, v66, v78
	s_set_gpr_idx_on s8, gpr_idx(SRC0)
	v_mov_b32_e32 v66, v18
	s_set_gpr_idx_off
	s_add_u32 s8, s8, 8
	v_fmac_f32_e32 v70, v66, v79
	v_add_u32_e32 v66, s8, v68
	s_addc_u32 s9, s9, 0
	s_add_i32 s12, s12, 32
	v_cmp_eq_u32_e32 vcc, 7, v66
	s_add_i32 s13, s8, -7
	s_or_b64 s[10:11], vcc, s[10:11]
	v_mov_b32_e32 v66, s13
	s_andn2_b64 exec, exec, s[10:11]
	s_cbranch_execnz .LBB15_105
; %bb.106:
	s_or_b64 exec, exec, s[10:11]
.LBB15_107:
	s_or_b64 exec, exec, s[0:1]
	v_and_b32_e32 v68, 7, v0
	v_cmp_ne_u32_e32 vcc, 0, v68
	s_and_saveexec_b64 s[8:9], vcc
	s_cbranch_execz .LBB15_111
; %bb.108:
	v_lshl_add_u32 v71, v66, 2, 64
	v_mov_b32_e32 v67, 0
	s_mov_b64 s[10:11], 0
.LBB15_109:                             ; =>This Inner Loop Header: Depth=1
	v_cmp_eq_u32_e32 vcc, 1, v66
	v_cndmask_b32_e32 v72, v18, v19, vcc
	v_add_u32_e32 v68, -1, v68
	v_cmp_eq_u32_e32 vcc, 2, v66
	v_cndmask_b32_e32 v72, v72, v20, vcc
	v_cmp_eq_u32_e32 vcc, 0, v68
	v_cmp_eq_u32_e64 s[0:1], 3, v66
	v_cndmask_b32_e64 v72, v72, v21, s[0:1]
	s_or_b64 s[10:11], vcc, s[10:11]
	v_cmp_eq_u32_e32 vcc, 4, v66
	v_cndmask_b32_e32 v72, v72, v22, vcc
	v_cmp_eq_u32_e32 vcc, 5, v66
	v_cndmask_b32_e32 v72, v72, v23, vcc
	;; [unrolled: 2-line block ×7, first 2 shown]
	v_cmp_eq_u32_e32 vcc, 11, v66
	ds_read_b32 v73, v71
	v_cndmask_b32_e32 v72, v72, v29, vcc
	v_cmp_eq_u32_e32 vcc, 12, v66
	v_cndmask_b32_e32 v72, v72, v30, vcc
	v_cmp_eq_u32_e32 vcc, 13, v66
	;; [unrolled: 2-line block ×4, first 2 shown]
	v_add_co_u32_e64 v66, s[0:1], 1, v66
	v_cndmask_b32_e32 v72, v72, v33, vcc
	v_add_u32_e32 v71, 4, v71
	v_addc_co_u32_e64 v67, s[0:1], 0, v67, s[0:1]
	s_waitcnt lgkmcnt(0)
	v_fmac_f32_e32 v70, v72, v73
	s_andn2_b64 exec, exec, s[10:11]
	s_cbranch_execnz .LBB15_109
; %bb.110:
	s_or_b64 exec, exec, s[10:11]
.LBB15_111:
	s_or_b64 exec, exec, s[8:9]
.LBB15_112:
	s_or_b64 exec, exec, s[6:7]
	v_mov_b32_e32 v25, 0
	ds_read_b32 v25, v25 offset:28
	s_waitcnt lgkmcnt(0)
	v_mul_f32_e32 v25, v70, v25
.LBB15_113:
	s_or_b64 exec, exec, s[4:5]
	v_cmp_lt_u32_e64 s[0:1], 6, v0
	ds_write_b32 v69, v24
	s_waitcnt lgkmcnt(0)
	; wave barrier
	s_waitcnt lgkmcnt(0)
	s_and_saveexec_b64 s[4:5], s[0:1]
	s_cbranch_execz .LBB15_129
; %bb.114:
	s_andn2_b64 vcc, exec, s[34:35]
	s_cbranch_vccnz .LBB15_116
; %bb.115:
	v_cmp_eq_u32_e32 vcc, 1, v0
	v_cndmask_b32_e32 v66, v18, v19, vcc
	v_cmp_eq_u32_e32 vcc, 2, v0
	v_cndmask_b32_e32 v66, v66, v20, vcc
	;; [unrolled: 2-line block ×11, first 2 shown]
	v_cmp_eq_u32_e32 vcc, 12, v0
	ds_read_b32 v67, v69
	v_cndmask_b32_e32 v66, v66, v30, vcc
	v_cmp_eq_u32_e32 vcc, 13, v0
	v_cndmask_b32_e32 v66, v66, v31, vcc
	v_cmp_eq_u32_e32 vcc, 14, v0
	v_cndmask_b32_e32 v66, v66, v32, vcc
	v_cmp_eq_u32_e32 vcc, 15, v0
	v_cndmask_b32_e32 v66, v66, v33, vcc
	s_waitcnt lgkmcnt(0)
	v_mul_f32_e32 v70, v66, v67
	s_cbranch_execz .LBB15_117
	s_branch .LBB15_118
.LBB15_116:
                                        ; implicit-def: $vgpr70
.LBB15_117:
	ds_read_b32 v70, v69
.LBB15_118:
	s_and_saveexec_b64 s[6:7], s[2:3]
	s_cbranch_execz .LBB15_128
; %bb.119:
	v_add_u32_e32 v66, -8, v0
	v_add_u32_e32 v67, -7, v0
	v_cmp_lt_u32_e32 vcc, 6, v66
	v_mov_b32_e32 v66, 7
	s_and_saveexec_b64 s[2:3], vcc
	s_cbranch_execz .LBB15_123
; %bb.120:
	v_and_b32_e32 v66, -8, v67
	v_sub_u32_e32 v68, 0, v66
	s_mov_b64 s[8:9], 14
	s_movk_i32 s12, 0x5c
	s_mov_b64 s[10:11], 0
.LBB15_121:                             ; =>This Inner Loop Header: Depth=1
	s_add_i32 s13, s8, -7
	v_mov_b32_e32 v71, s12
	s_set_gpr_idx_on s13, gpr_idx(SRC0)
	v_mov_b32_e32 v66, v18
	s_set_gpr_idx_off
	ds_read2_b32 v[72:73], v71 offset1:1
	s_add_i32 s13, s8, -6
	s_waitcnt lgkmcnt(0)
	v_fmac_f32_e32 v70, v66, v72
	s_set_gpr_idx_on s13, gpr_idx(SRC0)
	v_mov_b32_e32 v66, v18
	s_set_gpr_idx_off
	s_add_i32 s13, s8, -5
	v_fmac_f32_e32 v70, v66, v73
	s_set_gpr_idx_on s13, gpr_idx(SRC0)
	v_mov_b32_e32 v66, v18
	s_set_gpr_idx_off
	ds_read2_b32 v[72:73], v71 offset0:2 offset1:3
	s_add_i32 s13, s8, -4
	s_waitcnt lgkmcnt(0)
	v_fmac_f32_e32 v70, v66, v72
	s_set_gpr_idx_on s13, gpr_idx(SRC0)
	v_mov_b32_e32 v66, v18
	s_set_gpr_idx_off
	s_add_i32 s13, s8, -3
	v_fmac_f32_e32 v70, v66, v73
	s_set_gpr_idx_on s13, gpr_idx(SRC0)
	v_mov_b32_e32 v66, v18
	s_set_gpr_idx_off
	ds_read2_b32 v[72:73], v71 offset0:4 offset1:5
	;; [unrolled: 12-line block ×3, first 2 shown]
	s_waitcnt lgkmcnt(0)
	v_fmac_f32_e32 v70, v66, v72
	s_set_gpr_idx_on s8, gpr_idx(SRC0)
	v_mov_b32_e32 v66, v18
	s_set_gpr_idx_off
	s_add_u32 s8, s8, 8
	v_fmac_f32_e32 v70, v66, v73
	v_add_u32_e32 v66, s8, v68
	s_addc_u32 s9, s9, 0
	s_add_i32 s12, s12, 32
	v_cmp_eq_u32_e32 vcc, 14, v66
	s_add_i32 s13, s8, -7
	s_or_b64 s[10:11], vcc, s[10:11]
	v_mov_b32_e32 v66, s13
	s_andn2_b64 exec, exec, s[10:11]
	s_cbranch_execnz .LBB15_121
; %bb.122:
	s_or_b64 exec, exec, s[10:11]
.LBB15_123:
	s_or_b64 exec, exec, s[2:3]
	v_and_b32_e32 v68, 7, v67
	v_cmp_ne_u32_e32 vcc, 0, v68
	s_and_saveexec_b64 s[8:9], vcc
	s_cbranch_execz .LBB15_127
; %bb.124:
	v_lshl_add_u32 v71, v66, 2, 64
	v_mov_b32_e32 v67, 0
	s_mov_b64 s[10:11], 0
.LBB15_125:                             ; =>This Inner Loop Header: Depth=1
	v_cmp_eq_u32_e32 vcc, 1, v66
	v_cndmask_b32_e32 v72, v18, v19, vcc
	v_add_u32_e32 v68, -1, v68
	v_cmp_eq_u32_e32 vcc, 2, v66
	v_cndmask_b32_e32 v72, v72, v20, vcc
	v_cmp_eq_u32_e32 vcc, 0, v68
	v_cmp_eq_u32_e64 s[2:3], 3, v66
	v_cndmask_b32_e64 v72, v72, v21, s[2:3]
	s_or_b64 s[10:11], vcc, s[10:11]
	v_cmp_eq_u32_e32 vcc, 4, v66
	v_cndmask_b32_e32 v72, v72, v22, vcc
	v_cmp_eq_u32_e32 vcc, 5, v66
	v_cndmask_b32_e32 v72, v72, v23, vcc
	;; [unrolled: 2-line block ×7, first 2 shown]
	v_cmp_eq_u32_e32 vcc, 11, v66
	ds_read_b32 v73, v71
	v_cndmask_b32_e32 v72, v72, v29, vcc
	v_cmp_eq_u32_e32 vcc, 12, v66
	v_cndmask_b32_e32 v72, v72, v30, vcc
	v_cmp_eq_u32_e32 vcc, 13, v66
	;; [unrolled: 2-line block ×4, first 2 shown]
	v_add_co_u32_e64 v66, s[2:3], 1, v66
	v_cndmask_b32_e32 v72, v72, v33, vcc
	v_add_u32_e32 v71, 4, v71
	v_addc_co_u32_e64 v67, s[2:3], 0, v67, s[2:3]
	s_waitcnt lgkmcnt(0)
	v_fmac_f32_e32 v70, v72, v73
	s_andn2_b64 exec, exec, s[10:11]
	s_cbranch_execnz .LBB15_125
; %bb.126:
	s_or_b64 exec, exec, s[10:11]
.LBB15_127:
	s_or_b64 exec, exec, s[8:9]
.LBB15_128:
	s_or_b64 exec, exec, s[6:7]
	v_mov_b32_e32 v24, 0
	ds_read_b32 v24, v24 offset:24
	s_waitcnt lgkmcnt(0)
	v_mul_f32_e32 v24, v70, v24
.LBB15_129:
	s_or_b64 exec, exec, s[4:5]
	v_cmp_lt_u32_e64 s[2:3], 5, v0
	ds_write_b32 v69, v23
	s_waitcnt lgkmcnt(0)
	; wave barrier
	s_waitcnt lgkmcnt(0)
	s_and_saveexec_b64 s[4:5], s[2:3]
	s_cbranch_execz .LBB15_145
; %bb.130:
	s_andn2_b64 vcc, exec, s[34:35]
	s_cbranch_vccnz .LBB15_132
; %bb.131:
	v_cmp_eq_u32_e32 vcc, 1, v0
	v_cndmask_b32_e32 v66, v18, v19, vcc
	v_cmp_eq_u32_e32 vcc, 2, v0
	v_cndmask_b32_e32 v66, v66, v20, vcc
	;; [unrolled: 2-line block ×11, first 2 shown]
	v_cmp_eq_u32_e32 vcc, 12, v0
	ds_read_b32 v67, v69
	v_cndmask_b32_e32 v66, v66, v30, vcc
	v_cmp_eq_u32_e32 vcc, 13, v0
	v_cndmask_b32_e32 v66, v66, v31, vcc
	v_cmp_eq_u32_e32 vcc, 14, v0
	;; [unrolled: 2-line block ×3, first 2 shown]
	v_cndmask_b32_e32 v66, v66, v33, vcc
	s_waitcnt lgkmcnt(0)
	v_mul_f32_e32 v70, v66, v67
	s_cbranch_execz .LBB15_133
	s_branch .LBB15_134
.LBB15_132:
                                        ; implicit-def: $vgpr70
.LBB15_133:
	ds_read_b32 v70, v69
.LBB15_134:
	s_and_saveexec_b64 s[6:7], s[0:1]
	s_cbranch_execz .LBB15_144
; %bb.135:
	v_add_u32_e32 v66, -7, v0
	v_add_u32_e32 v67, -6, v0
	v_cmp_lt_u32_e32 vcc, 6, v66
	v_mov_b32_e32 v66, 6
	s_and_saveexec_b64 s[0:1], vcc
	s_cbranch_execz .LBB15_139
; %bb.136:
	v_and_b32_e32 v66, -8, v67
	v_sub_u32_e32 v68, 0, v66
	s_mov_b64 s[8:9], 13
	s_movk_i32 s12, 0x58
	s_mov_b64 s[10:11], 0
.LBB15_137:                             ; =>This Inner Loop Header: Depth=1
	s_add_i32 s13, s8, -7
	v_mov_b32_e32 v71, s12
	s_set_gpr_idx_on s13, gpr_idx(SRC0)
	v_mov_b32_e32 v66, v18
	s_set_gpr_idx_off
	ds_read2_b64 v[72:75], v71 offset1:1
	s_add_i32 s13, s8, -6
	s_waitcnt lgkmcnt(0)
	v_fmac_f32_e32 v70, v66, v72
	s_set_gpr_idx_on s13, gpr_idx(SRC0)
	v_mov_b32_e32 v66, v18
	s_set_gpr_idx_off
	s_add_i32 s13, s8, -5
	v_fmac_f32_e32 v70, v66, v73
	s_set_gpr_idx_on s13, gpr_idx(SRC0)
	v_mov_b32_e32 v66, v18
	s_set_gpr_idx_off
	s_add_i32 s13, s8, -4
	;; [unrolled: 5-line block ×3, first 2 shown]
	v_fmac_f32_e32 v70, v66, v75
	s_set_gpr_idx_on s13, gpr_idx(SRC0)
	v_mov_b32_e32 v66, v18
	s_set_gpr_idx_off
	ds_read2_b64 v[72:75], v71 offset0:2 offset1:3
	s_add_i32 s13, s8, -2
	s_waitcnt lgkmcnt(0)
	v_fmac_f32_e32 v70, v66, v72
	s_set_gpr_idx_on s13, gpr_idx(SRC0)
	v_mov_b32_e32 v66, v18
	s_set_gpr_idx_off
	s_add_i32 s13, s8, -1
	v_fmac_f32_e32 v70, v66, v73
	s_set_gpr_idx_on s13, gpr_idx(SRC0)
	v_mov_b32_e32 v66, v18
	s_set_gpr_idx_off
	v_fmac_f32_e32 v70, v66, v74
	s_set_gpr_idx_on s8, gpr_idx(SRC0)
	v_mov_b32_e32 v66, v18
	s_set_gpr_idx_off
	s_add_u32 s8, s8, 8
	v_fmac_f32_e32 v70, v66, v75
	v_add_u32_e32 v66, s8, v68
	s_addc_u32 s9, s9, 0
	s_add_i32 s12, s12, 32
	v_cmp_eq_u32_e32 vcc, 13, v66
	s_add_i32 s13, s8, -7
	s_or_b64 s[10:11], vcc, s[10:11]
	v_mov_b32_e32 v66, s13
	s_andn2_b64 exec, exec, s[10:11]
	s_cbranch_execnz .LBB15_137
; %bb.138:
	s_or_b64 exec, exec, s[10:11]
.LBB15_139:
	s_or_b64 exec, exec, s[0:1]
	v_and_b32_e32 v68, 7, v67
	v_cmp_ne_u32_e32 vcc, 0, v68
	s_and_saveexec_b64 s[8:9], vcc
	s_cbranch_execz .LBB15_143
; %bb.140:
	v_lshl_add_u32 v71, v66, 2, 64
	v_mov_b32_e32 v67, 0
	s_mov_b64 s[10:11], 0
.LBB15_141:                             ; =>This Inner Loop Header: Depth=1
	v_cmp_eq_u32_e32 vcc, 1, v66
	v_cndmask_b32_e32 v72, v18, v19, vcc
	v_add_u32_e32 v68, -1, v68
	v_cmp_eq_u32_e32 vcc, 2, v66
	v_cndmask_b32_e32 v72, v72, v20, vcc
	v_cmp_eq_u32_e32 vcc, 0, v68
	v_cmp_eq_u32_e64 s[0:1], 3, v66
	v_cndmask_b32_e64 v72, v72, v21, s[0:1]
	s_or_b64 s[10:11], vcc, s[10:11]
	v_cmp_eq_u32_e32 vcc, 4, v66
	v_cndmask_b32_e32 v72, v72, v22, vcc
	v_cmp_eq_u32_e32 vcc, 5, v66
	v_cndmask_b32_e32 v72, v72, v23, vcc
	;; [unrolled: 2-line block ×7, first 2 shown]
	v_cmp_eq_u32_e32 vcc, 11, v66
	ds_read_b32 v73, v71
	v_cndmask_b32_e32 v72, v72, v29, vcc
	v_cmp_eq_u32_e32 vcc, 12, v66
	v_cndmask_b32_e32 v72, v72, v30, vcc
	v_cmp_eq_u32_e32 vcc, 13, v66
	;; [unrolled: 2-line block ×4, first 2 shown]
	v_add_co_u32_e64 v66, s[0:1], 1, v66
	v_cndmask_b32_e32 v72, v72, v33, vcc
	v_add_u32_e32 v71, 4, v71
	v_addc_co_u32_e64 v67, s[0:1], 0, v67, s[0:1]
	s_waitcnt lgkmcnt(0)
	v_fmac_f32_e32 v70, v72, v73
	s_andn2_b64 exec, exec, s[10:11]
	s_cbranch_execnz .LBB15_141
; %bb.142:
	s_or_b64 exec, exec, s[10:11]
.LBB15_143:
	s_or_b64 exec, exec, s[8:9]
.LBB15_144:
	s_or_b64 exec, exec, s[6:7]
	v_mov_b32_e32 v23, 0
	ds_read_b32 v23, v23 offset:20
	s_waitcnt lgkmcnt(0)
	v_mul_f32_e32 v23, v70, v23
.LBB15_145:
	s_or_b64 exec, exec, s[4:5]
	v_cmp_lt_u32_e64 s[0:1], 4, v0
	ds_write_b32 v69, v22
	s_waitcnt lgkmcnt(0)
	; wave barrier
	s_waitcnt lgkmcnt(0)
	s_and_saveexec_b64 s[4:5], s[0:1]
	s_cbranch_execz .LBB15_161
; %bb.146:
	s_andn2_b64 vcc, exec, s[34:35]
	s_cbranch_vccnz .LBB15_148
; %bb.147:
	v_cmp_eq_u32_e32 vcc, 1, v0
	v_cndmask_b32_e32 v66, v18, v19, vcc
	v_cmp_eq_u32_e32 vcc, 2, v0
	v_cndmask_b32_e32 v66, v66, v20, vcc
	;; [unrolled: 2-line block ×11, first 2 shown]
	v_cmp_eq_u32_e32 vcc, 12, v0
	ds_read_b32 v67, v69
	v_cndmask_b32_e32 v66, v66, v30, vcc
	v_cmp_eq_u32_e32 vcc, 13, v0
	v_cndmask_b32_e32 v66, v66, v31, vcc
	v_cmp_eq_u32_e32 vcc, 14, v0
	;; [unrolled: 2-line block ×3, first 2 shown]
	v_cndmask_b32_e32 v66, v66, v33, vcc
	s_waitcnt lgkmcnt(0)
	v_mul_f32_e32 v70, v66, v67
	s_cbranch_execz .LBB15_149
	s_branch .LBB15_150
.LBB15_148:
                                        ; implicit-def: $vgpr70
.LBB15_149:
	ds_read_b32 v70, v69
.LBB15_150:
	s_and_saveexec_b64 s[6:7], s[2:3]
	s_cbranch_execz .LBB15_160
; %bb.151:
	v_add_u32_e32 v66, -6, v0
	v_add_u32_e32 v67, -5, v0
	v_cmp_lt_u32_e32 vcc, 6, v66
	v_mov_b32_e32 v66, 5
	s_and_saveexec_b64 s[2:3], vcc
	s_cbranch_execz .LBB15_155
; %bb.152:
	v_and_b32_e32 v66, -8, v67
	v_sub_u32_e32 v68, 0, v66
	s_mov_b64 s[8:9], 12
	s_movk_i32 s12, 0x54
	s_mov_b64 s[10:11], 0
.LBB15_153:                             ; =>This Inner Loop Header: Depth=1
	s_add_i32 s13, s8, -7
	v_mov_b32_e32 v71, s12
	s_set_gpr_idx_on s13, gpr_idx(SRC0)
	v_mov_b32_e32 v66, v18
	s_set_gpr_idx_off
	ds_read2_b32 v[72:73], v71 offset1:1
	s_add_i32 s13, s8, -6
	s_waitcnt lgkmcnt(0)
	v_fmac_f32_e32 v70, v66, v72
	s_set_gpr_idx_on s13, gpr_idx(SRC0)
	v_mov_b32_e32 v66, v18
	s_set_gpr_idx_off
	s_add_i32 s13, s8, -5
	v_fmac_f32_e32 v70, v66, v73
	s_set_gpr_idx_on s13, gpr_idx(SRC0)
	v_mov_b32_e32 v66, v18
	s_set_gpr_idx_off
	ds_read2_b32 v[72:73], v71 offset0:2 offset1:3
	s_add_i32 s13, s8, -4
	s_waitcnt lgkmcnt(0)
	v_fmac_f32_e32 v70, v66, v72
	s_set_gpr_idx_on s13, gpr_idx(SRC0)
	v_mov_b32_e32 v66, v18
	s_set_gpr_idx_off
	s_add_i32 s13, s8, -3
	v_fmac_f32_e32 v70, v66, v73
	s_set_gpr_idx_on s13, gpr_idx(SRC0)
	v_mov_b32_e32 v66, v18
	s_set_gpr_idx_off
	ds_read2_b32 v[72:73], v71 offset0:4 offset1:5
	;; [unrolled: 12-line block ×3, first 2 shown]
	s_waitcnt lgkmcnt(0)
	v_fmac_f32_e32 v70, v66, v72
	s_set_gpr_idx_on s8, gpr_idx(SRC0)
	v_mov_b32_e32 v66, v18
	s_set_gpr_idx_off
	s_add_u32 s8, s8, 8
	v_fmac_f32_e32 v70, v66, v73
	v_add_u32_e32 v66, s8, v68
	s_addc_u32 s9, s9, 0
	s_add_i32 s12, s12, 32
	v_cmp_eq_u32_e32 vcc, 12, v66
	s_add_i32 s13, s8, -7
	s_or_b64 s[10:11], vcc, s[10:11]
	v_mov_b32_e32 v66, s13
	s_andn2_b64 exec, exec, s[10:11]
	s_cbranch_execnz .LBB15_153
; %bb.154:
	s_or_b64 exec, exec, s[10:11]
.LBB15_155:
	s_or_b64 exec, exec, s[2:3]
	v_and_b32_e32 v68, 7, v67
	v_cmp_ne_u32_e32 vcc, 0, v68
	s_and_saveexec_b64 s[8:9], vcc
	s_cbranch_execz .LBB15_159
; %bb.156:
	v_lshl_add_u32 v71, v66, 2, 64
	v_mov_b32_e32 v67, 0
	s_mov_b64 s[10:11], 0
.LBB15_157:                             ; =>This Inner Loop Header: Depth=1
	v_cmp_eq_u32_e32 vcc, 1, v66
	v_cndmask_b32_e32 v72, v18, v19, vcc
	v_add_u32_e32 v68, -1, v68
	v_cmp_eq_u32_e32 vcc, 2, v66
	v_cndmask_b32_e32 v72, v72, v20, vcc
	v_cmp_eq_u32_e32 vcc, 0, v68
	v_cmp_eq_u32_e64 s[2:3], 3, v66
	v_cndmask_b32_e64 v72, v72, v21, s[2:3]
	s_or_b64 s[10:11], vcc, s[10:11]
	v_cmp_eq_u32_e32 vcc, 4, v66
	v_cndmask_b32_e32 v72, v72, v22, vcc
	v_cmp_eq_u32_e32 vcc, 5, v66
	v_cndmask_b32_e32 v72, v72, v23, vcc
	v_cmp_eq_u32_e32 vcc, 6, v66
	v_cndmask_b32_e32 v72, v72, v24, vcc
	v_cmp_eq_u32_e32 vcc, 7, v66
	v_cndmask_b32_e32 v72, v72, v25, vcc
	v_cmp_eq_u32_e32 vcc, 8, v66
	v_cndmask_b32_e32 v72, v72, v26, vcc
	v_cmp_eq_u32_e32 vcc, 9, v66
	v_cndmask_b32_e32 v72, v72, v27, vcc
	v_cmp_eq_u32_e32 vcc, 10, v66
	v_cndmask_b32_e32 v72, v72, v28, vcc
	v_cmp_eq_u32_e32 vcc, 11, v66
	ds_read_b32 v73, v71
	v_cndmask_b32_e32 v72, v72, v29, vcc
	v_cmp_eq_u32_e32 vcc, 12, v66
	v_cndmask_b32_e32 v72, v72, v30, vcc
	v_cmp_eq_u32_e32 vcc, 13, v66
	;; [unrolled: 2-line block ×4, first 2 shown]
	v_add_co_u32_e64 v66, s[2:3], 1, v66
	v_cndmask_b32_e32 v72, v72, v33, vcc
	v_add_u32_e32 v71, 4, v71
	v_addc_co_u32_e64 v67, s[2:3], 0, v67, s[2:3]
	s_waitcnt lgkmcnt(0)
	v_fmac_f32_e32 v70, v72, v73
	s_andn2_b64 exec, exec, s[10:11]
	s_cbranch_execnz .LBB15_157
; %bb.158:
	s_or_b64 exec, exec, s[10:11]
.LBB15_159:
	s_or_b64 exec, exec, s[8:9]
.LBB15_160:
	s_or_b64 exec, exec, s[6:7]
	v_mov_b32_e32 v22, 0
	ds_read_b32 v22, v22 offset:16
	s_waitcnt lgkmcnt(0)
	v_mul_f32_e32 v22, v70, v22
.LBB15_161:
	s_or_b64 exec, exec, s[4:5]
	v_cmp_lt_u32_e64 s[2:3], 3, v0
	ds_write_b32 v69, v21
	s_waitcnt lgkmcnt(0)
	; wave barrier
	s_waitcnt lgkmcnt(0)
	s_and_saveexec_b64 s[4:5], s[2:3]
	s_cbranch_execz .LBB15_177
; %bb.162:
	s_andn2_b64 vcc, exec, s[34:35]
	s_cbranch_vccnz .LBB15_164
; %bb.163:
	v_cmp_eq_u32_e32 vcc, 1, v0
	v_cndmask_b32_e32 v66, v18, v19, vcc
	v_cmp_eq_u32_e32 vcc, 2, v0
	v_cndmask_b32_e32 v66, v66, v20, vcc
	;; [unrolled: 2-line block ×11, first 2 shown]
	v_cmp_eq_u32_e32 vcc, 12, v0
	ds_read_b32 v67, v69
	v_cndmask_b32_e32 v66, v66, v30, vcc
	v_cmp_eq_u32_e32 vcc, 13, v0
	v_cndmask_b32_e32 v66, v66, v31, vcc
	v_cmp_eq_u32_e32 vcc, 14, v0
	;; [unrolled: 2-line block ×3, first 2 shown]
	v_cndmask_b32_e32 v66, v66, v33, vcc
	s_waitcnt lgkmcnt(0)
	v_mul_f32_e32 v70, v66, v67
	s_cbranch_execz .LBB15_165
	s_branch .LBB15_166
.LBB15_164:
                                        ; implicit-def: $vgpr70
.LBB15_165:
	ds_read_b32 v70, v69
.LBB15_166:
	s_and_saveexec_b64 s[6:7], s[0:1]
	s_cbranch_execz .LBB15_176
; %bb.167:
	v_add_u32_e32 v66, -5, v0
	v_add_u32_e32 v67, -4, v0
	v_cmp_lt_u32_e32 vcc, 6, v66
	v_mov_b32_e32 v66, 4
	s_and_saveexec_b64 s[0:1], vcc
	s_cbranch_execz .LBB15_171
; %bb.168:
	v_and_b32_e32 v66, -8, v67
	v_sub_u32_e32 v68, 0, v66
	s_mov_b64 s[8:9], 5
	s_movk_i32 s12, 0x50
	s_mov_b64 s[10:11], 0
.LBB15_169:                             ; =>This Inner Loop Header: Depth=1
	s_add_i32 s13, s8, -1
	v_mov_b32_e32 v71, s12
	s_set_gpr_idx_on s13, gpr_idx(SRC0)
	v_mov_b32_e32 v66, v18
	s_set_gpr_idx_off
	ds_read_b128 v[72:75], v71
	ds_read_b128 v[76:79], v71 offset:16
	s_add_i32 s13, s8, 1
	s_waitcnt lgkmcnt(1)
	v_fmac_f32_e32 v70, v66, v72
	s_set_gpr_idx_on s8, gpr_idx(SRC0)
	v_mov_b32_e32 v66, v18
	s_set_gpr_idx_off
	v_fmac_f32_e32 v70, v66, v73
	s_set_gpr_idx_on s13, gpr_idx(SRC0)
	v_mov_b32_e32 v66, v18
	s_set_gpr_idx_off
	s_add_i32 s13, s8, 2
	v_fmac_f32_e32 v70, v66, v74
	s_set_gpr_idx_on s13, gpr_idx(SRC0)
	v_mov_b32_e32 v66, v18
	s_set_gpr_idx_off
	s_add_i32 s13, s8, 3
	;; [unrolled: 5-line block ×3, first 2 shown]
	s_waitcnt lgkmcnt(0)
	v_fmac_f32_e32 v70, v66, v76
	s_set_gpr_idx_on s13, gpr_idx(SRC0)
	v_mov_b32_e32 v66, v18
	s_set_gpr_idx_off
	s_add_i32 s13, s8, 5
	v_fmac_f32_e32 v70, v66, v77
	s_set_gpr_idx_on s13, gpr_idx(SRC0)
	v_mov_b32_e32 v66, v18
	s_set_gpr_idx_off
	s_add_i32 s13, s8, 6
	v_fmac_f32_e32 v70, v66, v78
	s_set_gpr_idx_on s13, gpr_idx(SRC0)
	v_mov_b32_e32 v66, v18
	s_set_gpr_idx_off
	s_add_u32 s8, s8, 8
	v_fmac_f32_e32 v70, v66, v79
	v_add_u32_e32 v66, s8, v68
	s_addc_u32 s9, s9, 0
	s_add_i32 s12, s12, 32
	v_cmp_eq_u32_e32 vcc, 5, v66
	s_add_i32 s13, s8, -1
	s_or_b64 s[10:11], vcc, s[10:11]
	v_mov_b32_e32 v66, s13
	s_andn2_b64 exec, exec, s[10:11]
	s_cbranch_execnz .LBB15_169
; %bb.170:
	s_or_b64 exec, exec, s[10:11]
.LBB15_171:
	s_or_b64 exec, exec, s[0:1]
	v_and_b32_e32 v68, 7, v67
	v_cmp_ne_u32_e32 vcc, 0, v68
	s_and_saveexec_b64 s[8:9], vcc
	s_cbranch_execz .LBB15_175
; %bb.172:
	v_lshl_add_u32 v71, v66, 2, 64
	v_mov_b32_e32 v67, 0
	s_mov_b64 s[10:11], 0
.LBB15_173:                             ; =>This Inner Loop Header: Depth=1
	v_cmp_eq_u32_e32 vcc, 1, v66
	v_cndmask_b32_e32 v72, v18, v19, vcc
	v_add_u32_e32 v68, -1, v68
	v_cmp_eq_u32_e32 vcc, 2, v66
	v_cndmask_b32_e32 v72, v72, v20, vcc
	v_cmp_eq_u32_e32 vcc, 0, v68
	v_cmp_eq_u32_e64 s[0:1], 3, v66
	v_cndmask_b32_e64 v72, v72, v21, s[0:1]
	s_or_b64 s[10:11], vcc, s[10:11]
	v_cmp_eq_u32_e32 vcc, 4, v66
	v_cndmask_b32_e32 v72, v72, v22, vcc
	v_cmp_eq_u32_e32 vcc, 5, v66
	v_cndmask_b32_e32 v72, v72, v23, vcc
	;; [unrolled: 2-line block ×7, first 2 shown]
	v_cmp_eq_u32_e32 vcc, 11, v66
	ds_read_b32 v73, v71
	v_cndmask_b32_e32 v72, v72, v29, vcc
	v_cmp_eq_u32_e32 vcc, 12, v66
	v_cndmask_b32_e32 v72, v72, v30, vcc
	v_cmp_eq_u32_e32 vcc, 13, v66
	;; [unrolled: 2-line block ×4, first 2 shown]
	v_add_co_u32_e64 v66, s[0:1], 1, v66
	v_cndmask_b32_e32 v72, v72, v33, vcc
	v_add_u32_e32 v71, 4, v71
	v_addc_co_u32_e64 v67, s[0:1], 0, v67, s[0:1]
	s_waitcnt lgkmcnt(0)
	v_fmac_f32_e32 v70, v72, v73
	s_andn2_b64 exec, exec, s[10:11]
	s_cbranch_execnz .LBB15_173
; %bb.174:
	s_or_b64 exec, exec, s[10:11]
.LBB15_175:
	s_or_b64 exec, exec, s[8:9]
.LBB15_176:
	s_or_b64 exec, exec, s[6:7]
	v_mov_b32_e32 v21, 0
	ds_read_b32 v21, v21 offset:12
	s_waitcnt lgkmcnt(0)
	v_mul_f32_e32 v21, v70, v21
.LBB15_177:
	s_or_b64 exec, exec, s[4:5]
	v_cmp_lt_u32_e64 s[0:1], 2, v0
	ds_write_b32 v69, v20
	s_waitcnt lgkmcnt(0)
	; wave barrier
	s_waitcnt lgkmcnt(0)
	s_and_saveexec_b64 s[4:5], s[0:1]
	s_cbranch_execz .LBB15_193
; %bb.178:
	s_andn2_b64 vcc, exec, s[34:35]
	s_cbranch_vccnz .LBB15_180
; %bb.179:
	v_cmp_eq_u32_e32 vcc, 1, v0
	v_cndmask_b32_e32 v66, v18, v19, vcc
	v_cmp_eq_u32_e32 vcc, 2, v0
	v_cndmask_b32_e32 v66, v66, v20, vcc
	;; [unrolled: 2-line block ×11, first 2 shown]
	v_cmp_eq_u32_e32 vcc, 12, v0
	ds_read_b32 v67, v69
	v_cndmask_b32_e32 v66, v66, v30, vcc
	v_cmp_eq_u32_e32 vcc, 13, v0
	v_cndmask_b32_e32 v66, v66, v31, vcc
	v_cmp_eq_u32_e32 vcc, 14, v0
	;; [unrolled: 2-line block ×3, first 2 shown]
	v_cndmask_b32_e32 v66, v66, v33, vcc
	s_waitcnt lgkmcnt(0)
	v_mul_f32_e32 v70, v66, v67
	s_cbranch_execz .LBB15_181
	s_branch .LBB15_182
.LBB15_180:
                                        ; implicit-def: $vgpr70
.LBB15_181:
	ds_read_b32 v70, v69
.LBB15_182:
	s_and_saveexec_b64 s[6:7], s[2:3]
	s_cbranch_execz .LBB15_192
; %bb.183:
	v_add_u32_e32 v66, -4, v0
	v_add_u32_e32 v67, -3, v0
	v_cmp_lt_u32_e32 vcc, 6, v66
	v_mov_b32_e32 v66, 3
	s_and_saveexec_b64 s[2:3], vcc
	s_cbranch_execz .LBB15_187
; %bb.184:
	v_and_b32_e32 v66, -8, v67
	v_sub_u32_e32 v68, 0, v66
	s_mov_b64 s[8:9], 10
	s_movk_i32 s12, 0x4c
	s_mov_b64 s[10:11], 0
.LBB15_185:                             ; =>This Inner Loop Header: Depth=1
	s_add_i32 s13, s8, -7
	v_mov_b32_e32 v71, s12
	s_set_gpr_idx_on s13, gpr_idx(SRC0)
	v_mov_b32_e32 v66, v18
	s_set_gpr_idx_off
	ds_read2_b32 v[72:73], v71 offset1:1
	s_add_i32 s13, s8, -6
	s_waitcnt lgkmcnt(0)
	v_fmac_f32_e32 v70, v66, v72
	s_set_gpr_idx_on s13, gpr_idx(SRC0)
	v_mov_b32_e32 v66, v18
	s_set_gpr_idx_off
	s_add_i32 s13, s8, -5
	v_fmac_f32_e32 v70, v66, v73
	s_set_gpr_idx_on s13, gpr_idx(SRC0)
	v_mov_b32_e32 v66, v18
	s_set_gpr_idx_off
	ds_read2_b32 v[72:73], v71 offset0:2 offset1:3
	s_add_i32 s13, s8, -4
	s_waitcnt lgkmcnt(0)
	v_fmac_f32_e32 v70, v66, v72
	s_set_gpr_idx_on s13, gpr_idx(SRC0)
	v_mov_b32_e32 v66, v18
	s_set_gpr_idx_off
	s_add_i32 s13, s8, -3
	v_fmac_f32_e32 v70, v66, v73
	s_set_gpr_idx_on s13, gpr_idx(SRC0)
	v_mov_b32_e32 v66, v18
	s_set_gpr_idx_off
	ds_read2_b32 v[72:73], v71 offset0:4 offset1:5
	;; [unrolled: 12-line block ×3, first 2 shown]
	s_waitcnt lgkmcnt(0)
	v_fmac_f32_e32 v70, v66, v72
	s_set_gpr_idx_on s8, gpr_idx(SRC0)
	v_mov_b32_e32 v66, v18
	s_set_gpr_idx_off
	s_add_u32 s8, s8, 8
	v_fmac_f32_e32 v70, v66, v73
	v_add_u32_e32 v66, s8, v68
	s_addc_u32 s9, s9, 0
	s_add_i32 s12, s12, 32
	v_cmp_eq_u32_e32 vcc, 10, v66
	s_add_i32 s13, s8, -7
	s_or_b64 s[10:11], vcc, s[10:11]
	v_mov_b32_e32 v66, s13
	s_andn2_b64 exec, exec, s[10:11]
	s_cbranch_execnz .LBB15_185
; %bb.186:
	s_or_b64 exec, exec, s[10:11]
.LBB15_187:
	s_or_b64 exec, exec, s[2:3]
	v_and_b32_e32 v68, 7, v67
	v_cmp_ne_u32_e32 vcc, 0, v68
	s_and_saveexec_b64 s[8:9], vcc
	s_cbranch_execz .LBB15_191
; %bb.188:
	v_lshl_add_u32 v71, v66, 2, 64
	v_mov_b32_e32 v67, 0
	s_mov_b64 s[10:11], 0
.LBB15_189:                             ; =>This Inner Loop Header: Depth=1
	v_cmp_eq_u32_e32 vcc, 1, v66
	v_cndmask_b32_e32 v72, v18, v19, vcc
	v_add_u32_e32 v68, -1, v68
	v_cmp_eq_u32_e32 vcc, 2, v66
	v_cndmask_b32_e32 v72, v72, v20, vcc
	v_cmp_eq_u32_e32 vcc, 0, v68
	v_cmp_eq_u32_e64 s[2:3], 3, v66
	v_cndmask_b32_e64 v72, v72, v21, s[2:3]
	s_or_b64 s[10:11], vcc, s[10:11]
	v_cmp_eq_u32_e32 vcc, 4, v66
	v_cndmask_b32_e32 v72, v72, v22, vcc
	v_cmp_eq_u32_e32 vcc, 5, v66
	v_cndmask_b32_e32 v72, v72, v23, vcc
	;; [unrolled: 2-line block ×7, first 2 shown]
	v_cmp_eq_u32_e32 vcc, 11, v66
	ds_read_b32 v73, v71
	v_cndmask_b32_e32 v72, v72, v29, vcc
	v_cmp_eq_u32_e32 vcc, 12, v66
	v_cndmask_b32_e32 v72, v72, v30, vcc
	v_cmp_eq_u32_e32 vcc, 13, v66
	;; [unrolled: 2-line block ×4, first 2 shown]
	v_add_co_u32_e64 v66, s[2:3], 1, v66
	v_cndmask_b32_e32 v72, v72, v33, vcc
	v_add_u32_e32 v71, 4, v71
	v_addc_co_u32_e64 v67, s[2:3], 0, v67, s[2:3]
	s_waitcnt lgkmcnt(0)
	v_fmac_f32_e32 v70, v72, v73
	s_andn2_b64 exec, exec, s[10:11]
	s_cbranch_execnz .LBB15_189
; %bb.190:
	s_or_b64 exec, exec, s[10:11]
.LBB15_191:
	s_or_b64 exec, exec, s[8:9]
.LBB15_192:
	s_or_b64 exec, exec, s[6:7]
	v_mov_b32_e32 v20, 0
	ds_read_b32 v20, v20 offset:8
	s_waitcnt lgkmcnt(0)
	v_mul_f32_e32 v20, v70, v20
.LBB15_193:
	s_or_b64 exec, exec, s[4:5]
	v_cmp_lt_u32_e64 s[2:3], 1, v0
	ds_write_b32 v69, v19
	s_waitcnt lgkmcnt(0)
	; wave barrier
	s_waitcnt lgkmcnt(0)
	s_and_saveexec_b64 s[4:5], s[2:3]
	s_cbranch_execz .LBB15_209
; %bb.194:
	s_andn2_b64 vcc, exec, s[34:35]
	s_cbranch_vccnz .LBB15_196
; %bb.195:
	v_cmp_eq_u32_e32 vcc, 1, v0
	v_cndmask_b32_e32 v66, v18, v19, vcc
	v_cmp_eq_u32_e32 vcc, 2, v0
	v_cndmask_b32_e32 v66, v66, v20, vcc
	;; [unrolled: 2-line block ×11, first 2 shown]
	v_cmp_eq_u32_e32 vcc, 12, v0
	ds_read_b32 v67, v69
	v_cndmask_b32_e32 v66, v66, v30, vcc
	v_cmp_eq_u32_e32 vcc, 13, v0
	v_cndmask_b32_e32 v66, v66, v31, vcc
	v_cmp_eq_u32_e32 vcc, 14, v0
	;; [unrolled: 2-line block ×3, first 2 shown]
	v_cndmask_b32_e32 v66, v66, v33, vcc
	s_waitcnt lgkmcnt(0)
	v_mul_f32_e32 v70, v66, v67
	s_cbranch_execz .LBB15_197
	s_branch .LBB15_198
.LBB15_196:
                                        ; implicit-def: $vgpr70
.LBB15_197:
	ds_read_b32 v70, v69
.LBB15_198:
	s_and_saveexec_b64 s[6:7], s[0:1]
	s_cbranch_execz .LBB15_208
; %bb.199:
	v_add_u32_e32 v66, -3, v0
	v_add_u32_e32 v67, -2, v0
	v_cmp_lt_u32_e32 vcc, 6, v66
	v_mov_b32_e32 v66, 2
	s_and_saveexec_b64 s[0:1], vcc
	s_cbranch_execz .LBB15_203
; %bb.200:
	v_and_b32_e32 v66, -8, v67
	v_sub_u32_e32 v68, 0, v66
	s_mov_b64 s[8:9], 9
	s_movk_i32 s12, 0x48
	s_mov_b64 s[10:11], 0
.LBB15_201:                             ; =>This Inner Loop Header: Depth=1
	s_add_i32 s13, s8, -7
	v_mov_b32_e32 v71, s12
	s_set_gpr_idx_on s13, gpr_idx(SRC0)
	v_mov_b32_e32 v66, v18
	s_set_gpr_idx_off
	ds_read2_b64 v[72:75], v71 offset1:1
	s_add_i32 s13, s8, -6
	s_waitcnt lgkmcnt(0)
	v_fmac_f32_e32 v70, v66, v72
	s_set_gpr_idx_on s13, gpr_idx(SRC0)
	v_mov_b32_e32 v66, v18
	s_set_gpr_idx_off
	s_add_i32 s13, s8, -5
	v_fmac_f32_e32 v70, v66, v73
	s_set_gpr_idx_on s13, gpr_idx(SRC0)
	v_mov_b32_e32 v66, v18
	s_set_gpr_idx_off
	s_add_i32 s13, s8, -4
	;; [unrolled: 5-line block ×3, first 2 shown]
	v_fmac_f32_e32 v70, v66, v75
	s_set_gpr_idx_on s13, gpr_idx(SRC0)
	v_mov_b32_e32 v66, v18
	s_set_gpr_idx_off
	ds_read2_b64 v[72:75], v71 offset0:2 offset1:3
	s_add_i32 s13, s8, -2
	s_waitcnt lgkmcnt(0)
	v_fmac_f32_e32 v70, v66, v72
	s_set_gpr_idx_on s13, gpr_idx(SRC0)
	v_mov_b32_e32 v66, v18
	s_set_gpr_idx_off
	s_add_i32 s13, s8, -1
	v_fmac_f32_e32 v70, v66, v73
	s_set_gpr_idx_on s13, gpr_idx(SRC0)
	v_mov_b32_e32 v66, v18
	s_set_gpr_idx_off
	v_fmac_f32_e32 v70, v66, v74
	s_set_gpr_idx_on s8, gpr_idx(SRC0)
	v_mov_b32_e32 v66, v18
	s_set_gpr_idx_off
	s_add_u32 s8, s8, 8
	v_fmac_f32_e32 v70, v66, v75
	v_add_u32_e32 v66, s8, v68
	s_addc_u32 s9, s9, 0
	s_add_i32 s12, s12, 32
	v_cmp_eq_u32_e32 vcc, 9, v66
	s_add_i32 s13, s8, -7
	s_or_b64 s[10:11], vcc, s[10:11]
	v_mov_b32_e32 v66, s13
	s_andn2_b64 exec, exec, s[10:11]
	s_cbranch_execnz .LBB15_201
; %bb.202:
	s_or_b64 exec, exec, s[10:11]
.LBB15_203:
	s_or_b64 exec, exec, s[0:1]
	v_and_b32_e32 v68, 7, v67
	v_cmp_ne_u32_e32 vcc, 0, v68
	s_and_saveexec_b64 s[8:9], vcc
	s_cbranch_execz .LBB15_207
; %bb.204:
	v_lshl_add_u32 v71, v66, 2, 64
	v_mov_b32_e32 v67, 0
	s_mov_b64 s[10:11], 0
.LBB15_205:                             ; =>This Inner Loop Header: Depth=1
	v_cmp_eq_u32_e32 vcc, 1, v66
	v_cndmask_b32_e32 v72, v18, v19, vcc
	v_add_u32_e32 v68, -1, v68
	v_cmp_eq_u32_e32 vcc, 2, v66
	v_cndmask_b32_e32 v72, v72, v20, vcc
	v_cmp_eq_u32_e32 vcc, 0, v68
	v_cmp_eq_u32_e64 s[0:1], 3, v66
	v_cndmask_b32_e64 v72, v72, v21, s[0:1]
	s_or_b64 s[10:11], vcc, s[10:11]
	v_cmp_eq_u32_e32 vcc, 4, v66
	v_cndmask_b32_e32 v72, v72, v22, vcc
	v_cmp_eq_u32_e32 vcc, 5, v66
	v_cndmask_b32_e32 v72, v72, v23, vcc
	;; [unrolled: 2-line block ×7, first 2 shown]
	v_cmp_eq_u32_e32 vcc, 11, v66
	ds_read_b32 v73, v71
	v_cndmask_b32_e32 v72, v72, v29, vcc
	v_cmp_eq_u32_e32 vcc, 12, v66
	v_cndmask_b32_e32 v72, v72, v30, vcc
	v_cmp_eq_u32_e32 vcc, 13, v66
	;; [unrolled: 2-line block ×4, first 2 shown]
	v_add_co_u32_e64 v66, s[0:1], 1, v66
	v_cndmask_b32_e32 v72, v72, v33, vcc
	v_add_u32_e32 v71, 4, v71
	v_addc_co_u32_e64 v67, s[0:1], 0, v67, s[0:1]
	s_waitcnt lgkmcnt(0)
	v_fmac_f32_e32 v70, v72, v73
	s_andn2_b64 exec, exec, s[10:11]
	s_cbranch_execnz .LBB15_205
; %bb.206:
	s_or_b64 exec, exec, s[10:11]
.LBB15_207:
	s_or_b64 exec, exec, s[8:9]
.LBB15_208:
	s_or_b64 exec, exec, s[6:7]
	v_mov_b32_e32 v19, 0
	ds_read_b32 v19, v19 offset:4
	s_waitcnt lgkmcnt(0)
	v_mul_f32_e32 v19, v70, v19
.LBB15_209:
	s_or_b64 exec, exec, s[4:5]
	v_cmp_ne_u32_e32 vcc, 0, v0
	ds_write_b32 v69, v18
	s_waitcnt lgkmcnt(0)
	; wave barrier
	s_waitcnt lgkmcnt(0)
	s_and_saveexec_b64 s[4:5], vcc
	s_cbranch_execz .LBB15_225
; %bb.210:
	s_andn2_b64 vcc, exec, s[34:35]
	s_cbranch_vccnz .LBB15_212
; %bb.211:
	v_cmp_eq_u32_e32 vcc, 1, v0
	v_cndmask_b32_e32 v66, v18, v19, vcc
	v_cmp_eq_u32_e32 vcc, 2, v0
	v_cndmask_b32_e32 v66, v66, v20, vcc
	;; [unrolled: 2-line block ×11, first 2 shown]
	v_cmp_eq_u32_e32 vcc, 12, v0
	ds_read_b32 v67, v69
	v_cndmask_b32_e32 v66, v66, v30, vcc
	v_cmp_eq_u32_e32 vcc, 13, v0
	v_cndmask_b32_e32 v66, v66, v31, vcc
	v_cmp_eq_u32_e32 vcc, 14, v0
	;; [unrolled: 2-line block ×3, first 2 shown]
	v_cndmask_b32_e32 v66, v66, v33, vcc
	s_waitcnt lgkmcnt(0)
	v_mul_f32_e32 v70, v66, v67
	s_cbranch_execz .LBB15_213
	s_branch .LBB15_214
.LBB15_212:
                                        ; implicit-def: $vgpr70
.LBB15_213:
	ds_read_b32 v70, v69
.LBB15_214:
	s_and_saveexec_b64 s[6:7], s[2:3]
	s_cbranch_execz .LBB15_224
; %bb.215:
	v_add_u32_e32 v66, -2, v0
	v_add_u32_e32 v67, -1, v0
	v_cmp_lt_u32_e32 vcc, 6, v66
	v_mov_b32_e32 v66, 1
	s_and_saveexec_b64 s[0:1], vcc
	s_cbranch_execz .LBB15_219
; %bb.216:
	v_and_b32_e32 v66, -8, v67
	v_sub_u32_e32 v68, 0, v66
	s_mov_b64 s[2:3], 8
	s_movk_i32 s10, 0x44
	s_mov_b64 s[8:9], 0
.LBB15_217:                             ; =>This Inner Loop Header: Depth=1
	s_add_i32 s11, s2, -7
	v_mov_b32_e32 v71, s10
	s_set_gpr_idx_on s11, gpr_idx(SRC0)
	v_mov_b32_e32 v66, v18
	s_set_gpr_idx_off
	ds_read2_b32 v[72:73], v71 offset1:1
	s_add_i32 s11, s2, -6
	s_waitcnt lgkmcnt(0)
	v_fmac_f32_e32 v70, v66, v72
	s_set_gpr_idx_on s11, gpr_idx(SRC0)
	v_mov_b32_e32 v66, v18
	s_set_gpr_idx_off
	s_add_i32 s11, s2, -5
	v_fmac_f32_e32 v70, v66, v73
	s_set_gpr_idx_on s11, gpr_idx(SRC0)
	v_mov_b32_e32 v66, v18
	s_set_gpr_idx_off
	ds_read2_b32 v[72:73], v71 offset0:2 offset1:3
	s_add_i32 s11, s2, -4
	s_waitcnt lgkmcnt(0)
	v_fmac_f32_e32 v70, v66, v72
	s_set_gpr_idx_on s11, gpr_idx(SRC0)
	v_mov_b32_e32 v66, v18
	s_set_gpr_idx_off
	s_add_i32 s11, s2, -3
	v_fmac_f32_e32 v70, v66, v73
	s_set_gpr_idx_on s11, gpr_idx(SRC0)
	v_mov_b32_e32 v66, v18
	s_set_gpr_idx_off
	ds_read2_b32 v[72:73], v71 offset0:4 offset1:5
	;; [unrolled: 12-line block ×3, first 2 shown]
	s_waitcnt lgkmcnt(0)
	v_fmac_f32_e32 v70, v66, v72
	s_set_gpr_idx_on s2, gpr_idx(SRC0)
	v_mov_b32_e32 v66, v18
	s_set_gpr_idx_off
	s_add_u32 s2, s2, 8
	v_fmac_f32_e32 v70, v66, v73
	v_add_u32_e32 v66, s2, v68
	s_addc_u32 s3, s3, 0
	s_add_i32 s10, s10, 32
	v_cmp_eq_u32_e32 vcc, 8, v66
	s_add_i32 s11, s2, -7
	s_or_b64 s[8:9], vcc, s[8:9]
	v_mov_b32_e32 v66, s11
	s_andn2_b64 exec, exec, s[8:9]
	s_cbranch_execnz .LBB15_217
; %bb.218:
	s_or_b64 exec, exec, s[8:9]
.LBB15_219:
	s_or_b64 exec, exec, s[0:1]
	v_and_b32_e32 v68, 7, v67
	v_cmp_ne_u32_e32 vcc, 0, v68
	s_and_saveexec_b64 s[2:3], vcc
	s_cbranch_execz .LBB15_223
; %bb.220:
	v_lshl_add_u32 v71, v66, 2, 64
	v_mov_b32_e32 v67, 0
	s_mov_b64 s[8:9], 0
.LBB15_221:                             ; =>This Inner Loop Header: Depth=1
	v_cmp_eq_u32_e32 vcc, 1, v66
	v_cndmask_b32_e32 v72, v18, v19, vcc
	v_add_u32_e32 v68, -1, v68
	v_cmp_eq_u32_e32 vcc, 2, v66
	v_cndmask_b32_e32 v72, v72, v20, vcc
	v_cmp_eq_u32_e32 vcc, 0, v68
	v_cmp_eq_u32_e64 s[0:1], 3, v66
	v_cndmask_b32_e64 v72, v72, v21, s[0:1]
	s_or_b64 s[8:9], vcc, s[8:9]
	v_cmp_eq_u32_e32 vcc, 4, v66
	v_cndmask_b32_e32 v72, v72, v22, vcc
	v_cmp_eq_u32_e32 vcc, 5, v66
	v_cndmask_b32_e32 v72, v72, v23, vcc
	;; [unrolled: 2-line block ×7, first 2 shown]
	v_cmp_eq_u32_e32 vcc, 11, v66
	ds_read_b32 v73, v71
	v_cndmask_b32_e32 v72, v72, v29, vcc
	v_cmp_eq_u32_e32 vcc, 12, v66
	v_cndmask_b32_e32 v72, v72, v30, vcc
	v_cmp_eq_u32_e32 vcc, 13, v66
	v_cndmask_b32_e32 v72, v72, v31, vcc
	v_cmp_eq_u32_e32 vcc, 14, v66
	v_cndmask_b32_e32 v72, v72, v32, vcc
	v_cmp_eq_u32_e32 vcc, 15, v66
	v_add_co_u32_e64 v66, s[0:1], 1, v66
	v_cndmask_b32_e32 v72, v72, v33, vcc
	v_add_u32_e32 v71, 4, v71
	v_addc_co_u32_e64 v67, s[0:1], 0, v67, s[0:1]
	s_waitcnt lgkmcnt(0)
	v_fmac_f32_e32 v70, v72, v73
	s_andn2_b64 exec, exec, s[8:9]
	s_cbranch_execnz .LBB15_221
; %bb.222:
	s_or_b64 exec, exec, s[8:9]
.LBB15_223:
	s_or_b64 exec, exec, s[2:3]
.LBB15_224:
	s_or_b64 exec, exec, s[6:7]
	v_mov_b32_e32 v18, 0
	ds_read_b32 v18, v18
	s_waitcnt lgkmcnt(0)
	v_mul_f32_e32 v18, v70, v18
.LBB15_225:
	s_or_b64 exec, exec, s[4:5]
	s_branch .LBB15_381
.LBB15_226:
	v_cmp_eq_u32_e64 s[2:3], 0, v0
	s_waitcnt vmcnt(15)
	ds_write_b32 v69, v3
	s_waitcnt lgkmcnt(0)
	; wave barrier
	s_waitcnt lgkmcnt(0)
	s_and_saveexec_b64 s[0:1], s[2:3]
	s_cbranch_execz .LBB15_232
; %bb.227:
	s_and_b64 vcc, exec, s[34:35]
	s_cbranch_vccz .LBB15_229
; %bb.228:
	v_cmp_eq_u32_e32 vcc, 1, v0
	s_waitcnt vmcnt(1)
	v_cndmask_b32_e32 v3, v2, v3, vcc
	v_cmp_eq_u32_e32 vcc, 2, v0
	v_cndmask_b32_e32 v3, v3, v4, vcc
	v_cmp_eq_u32_e32 vcc, 3, v0
	;; [unrolled: 2-line block ×11, first 2 shown]
	ds_read_b32 v18, v69
	v_cndmask_b32_e32 v3, v3, v14, vcc
	v_cmp_eq_u32_e32 vcc, 13, v0
	v_cndmask_b32_e32 v3, v3, v15, vcc
	v_cmp_eq_u32_e32 vcc, 14, v0
	;; [unrolled: 2-line block ×3, first 2 shown]
	s_waitcnt vmcnt(0)
	v_cndmask_b32_e32 v3, v3, v17, vcc
	s_waitcnt lgkmcnt(0)
	v_mul_f32_e32 v3, v3, v18
	s_cbranch_execz .LBB15_230
	s_branch .LBB15_231
.LBB15_229:
                                        ; implicit-def: $vgpr3
.LBB15_230:
	ds_read_b32 v3, v69
.LBB15_231:
	v_mov_b32_e32 v18, 0
	ds_read_b32 v18, v18 offset:4
	s_waitcnt lgkmcnt(0)
	v_mul_f32_e32 v3, v3, v18
.LBB15_232:
	s_or_b64 exec, exec, s[0:1]
	v_cndmask_b32_e64 v18, 0, 1, s[34:35]
	v_add_u32_e32 v20, 1, v0
	v_cmp_gt_u32_e32 vcc, 2, v0
	v_cmp_ne_u32_e64 s[0:1], 1, v18
	s_waitcnt vmcnt(14)
	ds_write_b32 v69, v4
	s_waitcnt lgkmcnt(0)
	; wave barrier
	s_waitcnt lgkmcnt(0)
	s_and_saveexec_b64 s[4:5], vcc
	s_cbranch_execz .LBB15_240
; %bb.233:
	s_and_b64 vcc, exec, s[0:1]
	s_cbranch_vccnz .LBB15_235
; %bb.234:
	v_cmp_eq_u32_e32 vcc, 1, v0
	s_waitcnt vmcnt(1)
	v_cndmask_b32_e32 v18, v2, v3, vcc
	v_cmp_eq_u32_e32 vcc, 2, v0
	v_cndmask_b32_e32 v18, v18, v4, vcc
	v_cmp_eq_u32_e32 vcc, 3, v0
	;; [unrolled: 2-line block ×11, first 2 shown]
	ds_read_b32 v19, v69
	v_cndmask_b32_e32 v18, v18, v14, vcc
	v_cmp_eq_u32_e32 vcc, 13, v0
	v_cndmask_b32_e32 v18, v18, v15, vcc
	v_cmp_eq_u32_e32 vcc, 14, v0
	;; [unrolled: 2-line block ×3, first 2 shown]
	s_waitcnt vmcnt(0)
	v_cndmask_b32_e32 v18, v18, v17, vcc
	s_waitcnt lgkmcnt(0)
	v_mul_f32_e32 v18, v18, v19
	s_cbranch_execz .LBB15_236
	s_branch .LBB15_237
.LBB15_235:
                                        ; implicit-def: $vgpr18
.LBB15_236:
	ds_read_b32 v18, v69
.LBB15_237:
	s_and_saveexec_b64 s[6:7], s[2:3]
	s_cbranch_execz .LBB15_239
; %bb.238:
	v_cmp_eq_u32_e32 vcc, 1, v20
	s_waitcnt vmcnt(1)
	v_cndmask_b32_e32 v19, v2, v3, vcc
	v_cmp_eq_u32_e32 vcc, 2, v20
	v_cndmask_b32_e32 v4, v19, v4, vcc
	v_cmp_eq_u32_e32 vcc, 3, v20
	;; [unrolled: 2-line block ×11, first 2 shown]
	ds_read_b32 v19, v69 offset:4
	v_cndmask_b32_e32 v4, v4, v14, vcc
	v_cmp_eq_u32_e32 vcc, 13, v20
	v_cndmask_b32_e32 v4, v4, v15, vcc
	v_cmp_eq_u32_e32 vcc, 14, v20
	;; [unrolled: 2-line block ×3, first 2 shown]
	s_waitcnt vmcnt(0)
	v_cndmask_b32_e32 v4, v4, v17, vcc
	s_waitcnt lgkmcnt(0)
	v_fmac_f32_e32 v18, v4, v19
.LBB15_239:
	s_or_b64 exec, exec, s[6:7]
	v_mov_b32_e32 v4, 0
	ds_read_b32 v4, v4 offset:8
	s_waitcnt lgkmcnt(0)
	v_mul_f32_e32 v4, v18, v4
.LBB15_240:
	s_or_b64 exec, exec, s[4:5]
	v_cmp_gt_u32_e64 s[4:5], 3, v0
	s_waitcnt vmcnt(13)
	ds_write_b32 v69, v5
	s_waitcnt lgkmcnt(0)
	; wave barrier
	s_waitcnt lgkmcnt(0)
	s_and_saveexec_b64 s[6:7], s[4:5]
	s_cbranch_execz .LBB15_248
; %bb.241:
	s_and_b64 vcc, exec, s[0:1]
	s_cbranch_vccnz .LBB15_243
; %bb.242:
	v_cmp_eq_u32_e32 vcc, 1, v0
	s_waitcnt vmcnt(1)
	v_cndmask_b32_e32 v18, v2, v3, vcc
	v_cmp_eq_u32_e32 vcc, 2, v0
	v_cndmask_b32_e32 v18, v18, v4, vcc
	v_cmp_eq_u32_e32 vcc, 3, v0
	;; [unrolled: 2-line block ×11, first 2 shown]
	ds_read_b32 v19, v69
	v_cndmask_b32_e32 v18, v18, v14, vcc
	v_cmp_eq_u32_e32 vcc, 13, v0
	v_cndmask_b32_e32 v18, v18, v15, vcc
	v_cmp_eq_u32_e32 vcc, 14, v0
	;; [unrolled: 2-line block ×3, first 2 shown]
	s_waitcnt vmcnt(0)
	v_cndmask_b32_e32 v18, v18, v17, vcc
	s_waitcnt lgkmcnt(0)
	v_mul_f32_e32 v18, v18, v19
	s_cbranch_execz .LBB15_244
	s_branch .LBB15_245
.LBB15_243:
                                        ; implicit-def: $vgpr18
.LBB15_244:
	ds_read_b32 v18, v69
.LBB15_245:
	v_cmp_ne_u32_e32 vcc, 2, v0
	s_and_saveexec_b64 s[8:9], vcc
	s_cbranch_execz .LBB15_247
; %bb.246:
	v_cmp_eq_u32_e32 vcc, 1, v20
	s_waitcnt vmcnt(1)
	v_cndmask_b32_e32 v19, v2, v3, vcc
	v_cmp_eq_u32_e32 vcc, 2, v20
	v_cndmask_b32_e32 v19, v19, v4, vcc
	v_cmp_eq_u32_e32 vcc, 3, v20
	;; [unrolled: 2-line block ×11, first 2 shown]
	v_mov_b32_e32 v19, 0
	v_cndmask_b32_e32 v5, v5, v14, vcc
	v_cmp_eq_u32_e32 vcc, 13, v20
	ds_read_b32 v21, v69 offset:4
	ds_read_b32 v19, v19 offset:72
	v_cndmask_b32_e32 v5, v5, v15, vcc
	v_cmp_eq_u32_e32 vcc, 14, v20
	v_cndmask_b32_e32 v5, v5, v16, vcc
	v_cmp_eq_u32_e32 vcc, 15, v20
	s_waitcnt vmcnt(0)
	v_cndmask_b32_e32 v5, v5, v17, vcc
	s_waitcnt lgkmcnt(1)
	v_fmac_f32_e32 v18, v5, v21
	s_waitcnt lgkmcnt(0)
	v_fma_f32 v5, v4, v19, v18
	v_cndmask_b32_e64 v18, v18, v5, s[2:3]
.LBB15_247:
	s_or_b64 exec, exec, s[8:9]
	v_mov_b32_e32 v5, 0
	ds_read_b32 v5, v5 offset:12
	s_waitcnt lgkmcnt(0)
	v_mul_f32_e32 v5, v18, v5
.LBB15_248:
	s_or_b64 exec, exec, s[6:7]
	v_cmp_gt_u32_e32 vcc, 4, v0
	s_waitcnt vmcnt(12)
	ds_write_b32 v69, v6
	s_waitcnt lgkmcnt(0)
	; wave barrier
	s_waitcnt lgkmcnt(0)
	s_and_saveexec_b64 s[8:9], vcc
	s_cbranch_execz .LBB15_258
; %bb.249:
	s_and_b64 vcc, exec, s[0:1]
	s_cbranch_vccnz .LBB15_251
; %bb.250:
	v_cmp_eq_u32_e32 vcc, 1, v0
	s_waitcnt vmcnt(1)
	v_cndmask_b32_e32 v18, v2, v3, vcc
	v_cmp_eq_u32_e32 vcc, 2, v0
	v_cndmask_b32_e32 v18, v18, v4, vcc
	v_cmp_eq_u32_e32 vcc, 3, v0
	;; [unrolled: 2-line block ×11, first 2 shown]
	ds_read_b32 v19, v69
	v_cndmask_b32_e32 v18, v18, v14, vcc
	v_cmp_eq_u32_e32 vcc, 13, v0
	v_cndmask_b32_e32 v18, v18, v15, vcc
	v_cmp_eq_u32_e32 vcc, 14, v0
	v_cndmask_b32_e32 v18, v18, v16, vcc
	v_cmp_eq_u32_e32 vcc, 15, v0
	s_waitcnt vmcnt(0)
	v_cndmask_b32_e32 v18, v18, v17, vcc
	s_waitcnt lgkmcnt(0)
	v_mul_f32_e32 v21, v18, v19
	s_cbranch_execz .LBB15_252
	s_branch .LBB15_253
.LBB15_251:
                                        ; implicit-def: $vgpr21
.LBB15_252:
	ds_read_b32 v21, v69
.LBB15_253:
	v_cmp_ne_u32_e32 vcc, 3, v0
	s_and_saveexec_b64 s[10:11], vcc
	s_cbranch_execz .LBB15_257
; %bb.254:
	v_mov_b32_e32 v18, 0x44
	v_lshl_add_u32 v22, v0, 2, v18
	s_mov_b64 s[12:13], 0
	v_pk_mov_b32 v[18:19], v[0:1], v[0:1] op_sel:[0,1]
.LBB15_255:                             ; =>This Inner Loop Header: Depth=1
	v_add_co_u32_e32 v18, vcc, 1, v18
	v_addc_co_u32_e32 v19, vcc, 0, v19, vcc
	v_cmp_eq_u32_e32 vcc, 1, v18
	s_waitcnt vmcnt(1)
	v_cndmask_b32_e32 v24, v2, v3, vcc
	v_cmp_lt_u32_e32 vcc, 2, v18
	v_cmp_eq_u32_e64 s[6:7], 2, v18
	v_cndmask_b32_e64 v24, v24, v4, s[6:7]
	s_or_b64 s[12:13], vcc, s[12:13]
	v_cmp_eq_u32_e32 vcc, 3, v18
	v_cndmask_b32_e32 v24, v24, v5, vcc
	v_cmp_eq_u32_e32 vcc, 4, v18
	v_cndmask_b32_e32 v24, v24, v6, vcc
	;; [unrolled: 2-line block ×8, first 2 shown]
	v_cmp_eq_u32_e32 vcc, 11, v18
	ds_read_b32 v23, v22
	v_cndmask_b32_e32 v24, v24, v13, vcc
	v_cmp_eq_u32_e32 vcc, 12, v18
	v_cndmask_b32_e32 v24, v24, v14, vcc
	v_cmp_eq_u32_e32 vcc, 13, v18
	;; [unrolled: 2-line block ×4, first 2 shown]
	s_waitcnt vmcnt(0)
	v_cndmask_b32_e32 v24, v24, v17, vcc
	v_add_u32_e32 v22, 4, v22
	s_waitcnt lgkmcnt(0)
	v_fmac_f32_e32 v21, v24, v23
	s_andn2_b64 exec, exec, s[12:13]
	s_cbranch_execnz .LBB15_255
; %bb.256:
	s_or_b64 exec, exec, s[12:13]
.LBB15_257:
	s_or_b64 exec, exec, s[10:11]
	v_mov_b32_e32 v6, 0
	ds_read_b32 v6, v6 offset:16
	s_waitcnt lgkmcnt(0)
	v_mul_f32_e32 v6, v21, v6
.LBB15_258:
	s_or_b64 exec, exec, s[8:9]
	v_cmp_gt_u32_e64 s[6:7], 5, v0
	s_waitcnt vmcnt(11)
	ds_write_b32 v69, v7
	s_waitcnt lgkmcnt(0)
	; wave barrier
	s_waitcnt lgkmcnt(0)
	s_and_saveexec_b64 s[10:11], s[6:7]
	s_cbranch_execz .LBB15_268
; %bb.259:
	s_and_b64 vcc, exec, s[0:1]
	s_cbranch_vccnz .LBB15_261
; %bb.260:
	v_cmp_eq_u32_e32 vcc, 1, v0
	s_waitcnt vmcnt(1)
	v_cndmask_b32_e32 v18, v2, v3, vcc
	v_cmp_eq_u32_e32 vcc, 2, v0
	v_cndmask_b32_e32 v18, v18, v4, vcc
	v_cmp_eq_u32_e32 vcc, 3, v0
	;; [unrolled: 2-line block ×11, first 2 shown]
	ds_read_b32 v19, v69
	v_cndmask_b32_e32 v18, v18, v14, vcc
	v_cmp_eq_u32_e32 vcc, 13, v0
	v_cndmask_b32_e32 v18, v18, v15, vcc
	v_cmp_eq_u32_e32 vcc, 14, v0
	;; [unrolled: 2-line block ×3, first 2 shown]
	s_waitcnt vmcnt(0)
	v_cndmask_b32_e32 v18, v18, v17, vcc
	s_waitcnt lgkmcnt(0)
	v_mul_f32_e32 v21, v18, v19
	s_cbranch_execz .LBB15_262
	s_branch .LBB15_263
.LBB15_261:
                                        ; implicit-def: $vgpr21
.LBB15_262:
	ds_read_b32 v21, v69
.LBB15_263:
	v_cmp_ne_u32_e32 vcc, 4, v0
	s_and_saveexec_b64 s[12:13], vcc
	s_cbranch_execz .LBB15_267
; %bb.264:
	v_mov_b32_e32 v18, 0x44
	v_lshl_add_u32 v22, v0, 2, v18
	s_mov_b64 s[14:15], 0
	v_pk_mov_b32 v[18:19], v[0:1], v[0:1] op_sel:[0,1]
.LBB15_265:                             ; =>This Inner Loop Header: Depth=1
	v_add_co_u32_e32 v18, vcc, 1, v18
	v_addc_co_u32_e32 v19, vcc, 0, v19, vcc
	v_cmp_eq_u32_e32 vcc, 1, v18
	s_waitcnt vmcnt(1)
	v_cndmask_b32_e32 v24, v2, v3, vcc
	v_cmp_lt_u32_e32 vcc, 3, v18
	v_cmp_eq_u32_e64 s[8:9], 2, v18
	v_cndmask_b32_e64 v24, v24, v4, s[8:9]
	s_or_b64 s[14:15], vcc, s[14:15]
	v_cmp_eq_u32_e32 vcc, 3, v18
	v_cndmask_b32_e32 v24, v24, v5, vcc
	v_cmp_eq_u32_e32 vcc, 4, v18
	v_cndmask_b32_e32 v24, v24, v6, vcc
	;; [unrolled: 2-line block ×8, first 2 shown]
	v_cmp_eq_u32_e32 vcc, 11, v18
	ds_read_b32 v23, v22
	v_cndmask_b32_e32 v24, v24, v13, vcc
	v_cmp_eq_u32_e32 vcc, 12, v18
	v_cndmask_b32_e32 v24, v24, v14, vcc
	v_cmp_eq_u32_e32 vcc, 13, v18
	;; [unrolled: 2-line block ×4, first 2 shown]
	s_waitcnt vmcnt(0)
	v_cndmask_b32_e32 v24, v24, v17, vcc
	v_add_u32_e32 v22, 4, v22
	s_waitcnt lgkmcnt(0)
	v_fmac_f32_e32 v21, v24, v23
	s_andn2_b64 exec, exec, s[14:15]
	s_cbranch_execnz .LBB15_265
; %bb.266:
	s_or_b64 exec, exec, s[14:15]
.LBB15_267:
	s_or_b64 exec, exec, s[12:13]
	v_mov_b32_e32 v7, 0
	ds_read_b32 v7, v7 offset:20
	s_waitcnt lgkmcnt(0)
	v_mul_f32_e32 v7, v21, v7
.LBB15_268:
	s_or_b64 exec, exec, s[10:11]
	v_cmp_gt_u32_e32 vcc, 6, v0
	s_waitcnt vmcnt(10)
	ds_write_b32 v69, v8
	s_waitcnt lgkmcnt(0)
	; wave barrier
	s_waitcnt lgkmcnt(0)
	s_and_saveexec_b64 s[10:11], vcc
	s_cbranch_execz .LBB15_278
; %bb.269:
	s_and_b64 vcc, exec, s[0:1]
	s_cbranch_vccnz .LBB15_271
; %bb.270:
	v_cmp_eq_u32_e32 vcc, 1, v0
	s_waitcnt vmcnt(1)
	v_cndmask_b32_e32 v18, v2, v3, vcc
	v_cmp_eq_u32_e32 vcc, 2, v0
	v_cndmask_b32_e32 v18, v18, v4, vcc
	v_cmp_eq_u32_e32 vcc, 3, v0
	v_cndmask_b32_e32 v18, v18, v5, vcc
	v_cmp_eq_u32_e32 vcc, 4, v0
	v_cndmask_b32_e32 v18, v18, v6, vcc
	v_cmp_eq_u32_e32 vcc, 5, v0
	v_cndmask_b32_e32 v18, v18, v7, vcc
	v_cmp_eq_u32_e32 vcc, 6, v0
	v_cndmask_b32_e32 v18, v18, v8, vcc
	v_cmp_eq_u32_e32 vcc, 7, v0
	v_cndmask_b32_e32 v18, v18, v9, vcc
	v_cmp_eq_u32_e32 vcc, 8, v0
	v_cndmask_b32_e32 v18, v18, v10, vcc
	v_cmp_eq_u32_e32 vcc, 9, v0
	v_cndmask_b32_e32 v18, v18, v11, vcc
	v_cmp_eq_u32_e32 vcc, 10, v0
	v_cndmask_b32_e32 v18, v18, v12, vcc
	v_cmp_eq_u32_e32 vcc, 11, v0
	v_cndmask_b32_e32 v18, v18, v13, vcc
	v_cmp_eq_u32_e32 vcc, 12, v0
	ds_read_b32 v19, v69
	v_cndmask_b32_e32 v18, v18, v14, vcc
	v_cmp_eq_u32_e32 vcc, 13, v0
	v_cndmask_b32_e32 v18, v18, v15, vcc
	v_cmp_eq_u32_e32 vcc, 14, v0
	;; [unrolled: 2-line block ×3, first 2 shown]
	s_waitcnt vmcnt(0)
	v_cndmask_b32_e32 v18, v18, v17, vcc
	s_waitcnt lgkmcnt(0)
	v_mul_f32_e32 v21, v18, v19
	s_cbranch_execz .LBB15_272
	s_branch .LBB15_273
.LBB15_271:
                                        ; implicit-def: $vgpr21
.LBB15_272:
	ds_read_b32 v21, v69
.LBB15_273:
	v_cmp_ne_u32_e32 vcc, 5, v0
	s_and_saveexec_b64 s[12:13], vcc
	s_cbranch_execz .LBB15_277
; %bb.274:
	v_mov_b32_e32 v18, 0x44
	v_lshl_add_u32 v22, v0, 2, v18
	s_mov_b64 s[14:15], 0
	v_pk_mov_b32 v[18:19], v[0:1], v[0:1] op_sel:[0,1]
.LBB15_275:                             ; =>This Inner Loop Header: Depth=1
	v_add_co_u32_e32 v18, vcc, 1, v18
	v_addc_co_u32_e32 v19, vcc, 0, v19, vcc
	v_cmp_eq_u32_e32 vcc, 1, v18
	s_waitcnt vmcnt(1)
	v_cndmask_b32_e32 v24, v2, v3, vcc
	v_cmp_lt_u32_e32 vcc, 4, v18
	v_cmp_eq_u32_e64 s[8:9], 2, v18
	v_cndmask_b32_e64 v24, v24, v4, s[8:9]
	s_or_b64 s[14:15], vcc, s[14:15]
	v_cmp_eq_u32_e32 vcc, 3, v18
	v_cndmask_b32_e32 v24, v24, v5, vcc
	v_cmp_eq_u32_e32 vcc, 4, v18
	v_cndmask_b32_e32 v24, v24, v6, vcc
	;; [unrolled: 2-line block ×8, first 2 shown]
	v_cmp_eq_u32_e32 vcc, 11, v18
	ds_read_b32 v23, v22
	v_cndmask_b32_e32 v24, v24, v13, vcc
	v_cmp_eq_u32_e32 vcc, 12, v18
	v_cndmask_b32_e32 v24, v24, v14, vcc
	v_cmp_eq_u32_e32 vcc, 13, v18
	;; [unrolled: 2-line block ×4, first 2 shown]
	s_waitcnt vmcnt(0)
	v_cndmask_b32_e32 v24, v24, v17, vcc
	v_add_u32_e32 v22, 4, v22
	s_waitcnt lgkmcnt(0)
	v_fmac_f32_e32 v21, v24, v23
	s_andn2_b64 exec, exec, s[14:15]
	s_cbranch_execnz .LBB15_275
; %bb.276:
	s_or_b64 exec, exec, s[14:15]
.LBB15_277:
	s_or_b64 exec, exec, s[12:13]
	v_mov_b32_e32 v8, 0
	ds_read_b32 v8, v8 offset:24
	s_waitcnt lgkmcnt(0)
	v_mul_f32_e32 v8, v21, v8
.LBB15_278:
	s_or_b64 exec, exec, s[10:11]
	v_cmp_gt_u32_e64 s[8:9], 7, v0
	s_waitcnt vmcnt(9)
	ds_write_b32 v69, v9
	s_waitcnt lgkmcnt(0)
	; wave barrier
	s_waitcnt lgkmcnt(0)
	s_and_saveexec_b64 s[12:13], s[8:9]
	s_cbranch_execz .LBB15_288
; %bb.279:
	s_and_b64 vcc, exec, s[0:1]
	s_cbranch_vccnz .LBB15_281
; %bb.280:
	v_cmp_eq_u32_e32 vcc, 1, v0
	s_waitcnt vmcnt(1)
	v_cndmask_b32_e32 v18, v2, v3, vcc
	v_cmp_eq_u32_e32 vcc, 2, v0
	v_cndmask_b32_e32 v18, v18, v4, vcc
	v_cmp_eq_u32_e32 vcc, 3, v0
	;; [unrolled: 2-line block ×11, first 2 shown]
	ds_read_b32 v19, v69
	v_cndmask_b32_e32 v18, v18, v14, vcc
	v_cmp_eq_u32_e32 vcc, 13, v0
	v_cndmask_b32_e32 v18, v18, v15, vcc
	v_cmp_eq_u32_e32 vcc, 14, v0
	;; [unrolled: 2-line block ×3, first 2 shown]
	s_waitcnt vmcnt(0)
	v_cndmask_b32_e32 v18, v18, v17, vcc
	s_waitcnt lgkmcnt(0)
	v_mul_f32_e32 v21, v18, v19
	s_cbranch_execz .LBB15_282
	s_branch .LBB15_283
.LBB15_281:
                                        ; implicit-def: $vgpr21
.LBB15_282:
	ds_read_b32 v21, v69
.LBB15_283:
	v_cmp_ne_u32_e32 vcc, 6, v0
	s_and_saveexec_b64 s[14:15], vcc
	s_cbranch_execz .LBB15_287
; %bb.284:
	v_mov_b32_e32 v18, 0x44
	v_lshl_add_u32 v22, v0, 2, v18
	s_mov_b64 s[16:17], 0
	v_pk_mov_b32 v[18:19], v[0:1], v[0:1] op_sel:[0,1]
.LBB15_285:                             ; =>This Inner Loop Header: Depth=1
	v_add_co_u32_e32 v18, vcc, 1, v18
	v_addc_co_u32_e32 v19, vcc, 0, v19, vcc
	v_cmp_eq_u32_e32 vcc, 1, v18
	s_waitcnt vmcnt(1)
	v_cndmask_b32_e32 v24, v2, v3, vcc
	v_cmp_lt_u32_e32 vcc, 5, v18
	v_cmp_eq_u32_e64 s[10:11], 2, v18
	v_cndmask_b32_e64 v24, v24, v4, s[10:11]
	s_or_b64 s[16:17], vcc, s[16:17]
	v_cmp_eq_u32_e32 vcc, 3, v18
	v_cndmask_b32_e32 v24, v24, v5, vcc
	v_cmp_eq_u32_e32 vcc, 4, v18
	v_cndmask_b32_e32 v24, v24, v6, vcc
	;; [unrolled: 2-line block ×8, first 2 shown]
	v_cmp_eq_u32_e32 vcc, 11, v18
	ds_read_b32 v23, v22
	v_cndmask_b32_e32 v24, v24, v13, vcc
	v_cmp_eq_u32_e32 vcc, 12, v18
	v_cndmask_b32_e32 v24, v24, v14, vcc
	v_cmp_eq_u32_e32 vcc, 13, v18
	;; [unrolled: 2-line block ×4, first 2 shown]
	s_waitcnt vmcnt(0)
	v_cndmask_b32_e32 v24, v24, v17, vcc
	v_add_u32_e32 v22, 4, v22
	s_waitcnt lgkmcnt(0)
	v_fmac_f32_e32 v21, v24, v23
	s_andn2_b64 exec, exec, s[16:17]
	s_cbranch_execnz .LBB15_285
; %bb.286:
	s_or_b64 exec, exec, s[16:17]
.LBB15_287:
	s_or_b64 exec, exec, s[14:15]
	v_mov_b32_e32 v9, 0
	ds_read_b32 v9, v9 offset:28
	s_waitcnt lgkmcnt(0)
	v_mul_f32_e32 v9, v21, v9
.LBB15_288:
	s_or_b64 exec, exec, s[12:13]
	v_cmp_gt_u32_e32 vcc, 8, v0
	s_waitcnt vmcnt(8)
	ds_write_b32 v69, v10
	s_waitcnt lgkmcnt(0)
	; wave barrier
	s_waitcnt lgkmcnt(0)
	s_and_saveexec_b64 s[12:13], vcc
	s_cbranch_execz .LBB15_298
; %bb.289:
	s_and_b64 vcc, exec, s[0:1]
	s_cbranch_vccnz .LBB15_291
; %bb.290:
	v_cmp_eq_u32_e32 vcc, 1, v0
	s_waitcnt vmcnt(1)
	v_cndmask_b32_e32 v18, v2, v3, vcc
	v_cmp_eq_u32_e32 vcc, 2, v0
	v_cndmask_b32_e32 v18, v18, v4, vcc
	v_cmp_eq_u32_e32 vcc, 3, v0
	;; [unrolled: 2-line block ×11, first 2 shown]
	ds_read_b32 v19, v69
	v_cndmask_b32_e32 v18, v18, v14, vcc
	v_cmp_eq_u32_e32 vcc, 13, v0
	v_cndmask_b32_e32 v18, v18, v15, vcc
	v_cmp_eq_u32_e32 vcc, 14, v0
	;; [unrolled: 2-line block ×3, first 2 shown]
	s_waitcnt vmcnt(0)
	v_cndmask_b32_e32 v18, v18, v17, vcc
	s_waitcnt lgkmcnt(0)
	v_mul_f32_e32 v21, v18, v19
	s_cbranch_execz .LBB15_292
	s_branch .LBB15_293
.LBB15_291:
                                        ; implicit-def: $vgpr21
.LBB15_292:
	ds_read_b32 v21, v69
.LBB15_293:
	v_cmp_ne_u32_e32 vcc, 7, v0
	s_and_saveexec_b64 s[14:15], vcc
	s_cbranch_execz .LBB15_297
; %bb.294:
	v_mov_b32_e32 v18, 0x44
	v_lshl_add_u32 v22, v0, 2, v18
	s_mov_b64 s[16:17], 0
	v_pk_mov_b32 v[18:19], v[0:1], v[0:1] op_sel:[0,1]
.LBB15_295:                             ; =>This Inner Loop Header: Depth=1
	v_add_co_u32_e32 v18, vcc, 1, v18
	v_addc_co_u32_e32 v19, vcc, 0, v19, vcc
	v_cmp_eq_u32_e32 vcc, 1, v18
	s_waitcnt vmcnt(1)
	v_cndmask_b32_e32 v24, v2, v3, vcc
	v_cmp_lt_u32_e32 vcc, 6, v18
	v_cmp_eq_u32_e64 s[10:11], 2, v18
	v_cndmask_b32_e64 v24, v24, v4, s[10:11]
	s_or_b64 s[16:17], vcc, s[16:17]
	v_cmp_eq_u32_e32 vcc, 3, v18
	v_cndmask_b32_e32 v24, v24, v5, vcc
	v_cmp_eq_u32_e32 vcc, 4, v18
	v_cndmask_b32_e32 v24, v24, v6, vcc
	;; [unrolled: 2-line block ×8, first 2 shown]
	v_cmp_eq_u32_e32 vcc, 11, v18
	ds_read_b32 v23, v22
	v_cndmask_b32_e32 v24, v24, v13, vcc
	v_cmp_eq_u32_e32 vcc, 12, v18
	v_cndmask_b32_e32 v24, v24, v14, vcc
	v_cmp_eq_u32_e32 vcc, 13, v18
	v_cndmask_b32_e32 v24, v24, v15, vcc
	v_cmp_eq_u32_e32 vcc, 14, v18
	v_cndmask_b32_e32 v24, v24, v16, vcc
	v_cmp_eq_u32_e32 vcc, 15, v18
	s_waitcnt vmcnt(0)
	v_cndmask_b32_e32 v24, v24, v17, vcc
	v_add_u32_e32 v22, 4, v22
	s_waitcnt lgkmcnt(0)
	v_fmac_f32_e32 v21, v24, v23
	s_andn2_b64 exec, exec, s[16:17]
	s_cbranch_execnz .LBB15_295
; %bb.296:
	s_or_b64 exec, exec, s[16:17]
.LBB15_297:
	s_or_b64 exec, exec, s[14:15]
	v_mov_b32_e32 v10, 0
	ds_read_b32 v10, v10 offset:32
	s_waitcnt lgkmcnt(0)
	v_mul_f32_e32 v10, v21, v10
.LBB15_298:
	s_or_b64 exec, exec, s[12:13]
	v_cmp_gt_u32_e32 vcc, 9, v0
	s_waitcnt vmcnt(7)
	ds_write_b32 v69, v11
	s_waitcnt lgkmcnt(0)
	; wave barrier
	s_waitcnt lgkmcnt(0)
	s_and_saveexec_b64 s[10:11], vcc
	s_cbranch_execz .LBB15_320
; %bb.299:
	s_and_b64 vcc, exec, s[0:1]
	s_cbranch_vccnz .LBB15_301
; %bb.300:
	v_cmp_eq_u32_e32 vcc, 1, v0
	s_waitcnt vmcnt(1)
	v_cndmask_b32_e32 v18, v2, v3, vcc
	v_cmp_eq_u32_e32 vcc, 2, v0
	v_cndmask_b32_e32 v18, v18, v4, vcc
	v_cmp_eq_u32_e32 vcc, 3, v0
	;; [unrolled: 2-line block ×11, first 2 shown]
	ds_read_b32 v19, v69
	v_cndmask_b32_e32 v18, v18, v14, vcc
	v_cmp_eq_u32_e32 vcc, 13, v0
	v_cndmask_b32_e32 v18, v18, v15, vcc
	v_cmp_eq_u32_e32 vcc, 14, v0
	;; [unrolled: 2-line block ×3, first 2 shown]
	s_waitcnt vmcnt(0)
	v_cndmask_b32_e32 v18, v18, v17, vcc
	s_waitcnt lgkmcnt(0)
	v_mul_f32_e32 v18, v18, v19
	s_cbranch_execz .LBB15_302
	s_branch .LBB15_303
.LBB15_301:
                                        ; implicit-def: $vgpr18
.LBB15_302:
	ds_read_b32 v18, v69
.LBB15_303:
	v_cmp_ne_u32_e32 vcc, 8, v0
	s_and_saveexec_b64 s[12:13], vcc
	s_cbranch_execz .LBB15_319
; %bb.304:
	v_cmp_eq_u32_e32 vcc, 1, v20
	s_waitcnt vmcnt(1)
	v_cndmask_b32_e32 v19, v2, v3, vcc
	v_cmp_eq_u32_e32 vcc, 2, v20
	v_cndmask_b32_e32 v19, v19, v4, vcc
	v_cmp_eq_u32_e32 vcc, 3, v20
	;; [unrolled: 2-line block ×11, first 2 shown]
	ds_read_b32 v21, v69 offset:4
	v_cndmask_b32_e32 v19, v19, v14, vcc
	v_cmp_eq_u32_e32 vcc, 13, v20
	v_cndmask_b32_e32 v19, v19, v15, vcc
	v_cmp_eq_u32_e32 vcc, 14, v20
	;; [unrolled: 2-line block ×3, first 2 shown]
	s_waitcnt vmcnt(0)
	v_cndmask_b32_e32 v19, v19, v17, vcc
	s_waitcnt lgkmcnt(0)
	v_fmac_f32_e32 v18, v19, v21
	s_and_saveexec_b64 s[14:15], s[8:9]
	s_cbranch_execz .LBB15_318
; %bb.305:
	v_add_u32_e32 v19, 2, v0
	v_cmp_eq_u32_e32 vcc, 1, v19
	v_cndmask_b32_e32 v20, v2, v3, vcc
	v_cmp_eq_u32_e32 vcc, 2, v19
	v_cndmask_b32_e32 v20, v20, v4, vcc
	;; [unrolled: 2-line block ×11, first 2 shown]
	v_cmp_eq_u32_e32 vcc, 12, v19
	ds_read_b32 v21, v69 offset:8
	v_cndmask_b32_e32 v20, v20, v14, vcc
	v_cmp_eq_u32_e32 vcc, 13, v19
	v_cndmask_b32_e32 v20, v20, v15, vcc
	v_cmp_eq_u32_e32 vcc, 14, v19
	v_cndmask_b32_e32 v20, v20, v16, vcc
	v_cmp_eq_u32_e32 vcc, 15, v19
	v_cndmask_b32_e32 v19, v20, v17, vcc
	s_waitcnt lgkmcnt(0)
	v_fmac_f32_e32 v18, v19, v21
	v_cmp_ne_u32_e32 vcc, 6, v0
	s_and_saveexec_b64 s[8:9], vcc
	s_cbranch_execz .LBB15_317
; %bb.306:
	v_add_u32_e32 v19, 3, v0
	v_cmp_eq_u32_e32 vcc, 1, v19
	v_cndmask_b32_e32 v20, v2, v3, vcc
	v_cmp_eq_u32_e32 vcc, 2, v19
	v_cndmask_b32_e32 v20, v20, v4, vcc
	;; [unrolled: 2-line block ×11, first 2 shown]
	v_cmp_eq_u32_e32 vcc, 12, v19
	ds_read_b32 v21, v69 offset:12
	v_cndmask_b32_e32 v20, v20, v14, vcc
	v_cmp_eq_u32_e32 vcc, 13, v19
	v_cndmask_b32_e32 v20, v20, v15, vcc
	v_cmp_eq_u32_e32 vcc, 14, v19
	v_cndmask_b32_e32 v20, v20, v16, vcc
	v_cmp_eq_u32_e32 vcc, 15, v19
	v_cndmask_b32_e32 v19, v20, v17, vcc
	s_waitcnt lgkmcnt(0)
	v_fmac_f32_e32 v18, v19, v21
	s_and_saveexec_b64 s[16:17], s[6:7]
	s_cbranch_execz .LBB15_316
; %bb.307:
	v_add_u32_e32 v19, 4, v0
	v_cmp_eq_u32_e32 vcc, 1, v19
	v_cndmask_b32_e32 v20, v2, v3, vcc
	v_cmp_eq_u32_e32 vcc, 2, v19
	v_cndmask_b32_e32 v20, v20, v4, vcc
	;; [unrolled: 2-line block ×11, first 2 shown]
	v_cmp_eq_u32_e32 vcc, 12, v19
	ds_read_b32 v21, v69 offset:16
	v_cndmask_b32_e32 v20, v20, v14, vcc
	v_cmp_eq_u32_e32 vcc, 13, v19
	v_cndmask_b32_e32 v20, v20, v15, vcc
	v_cmp_eq_u32_e32 vcc, 14, v19
	;; [unrolled: 2-line block ×3, first 2 shown]
	v_cndmask_b32_e32 v19, v20, v17, vcc
	s_waitcnt lgkmcnt(0)
	v_fmac_f32_e32 v18, v19, v21
	v_cmp_ne_u32_e32 vcc, 4, v0
	s_and_saveexec_b64 s[6:7], vcc
	s_cbranch_execz .LBB15_315
; %bb.308:
	v_add_u32_e32 v19, 5, v0
	v_cmp_eq_u32_e32 vcc, 1, v19
	v_cndmask_b32_e32 v20, v2, v3, vcc
	v_cmp_eq_u32_e32 vcc, 2, v19
	v_cndmask_b32_e32 v20, v20, v4, vcc
	;; [unrolled: 2-line block ×11, first 2 shown]
	v_cmp_eq_u32_e32 vcc, 12, v19
	ds_read_b32 v21, v69 offset:20
	v_cndmask_b32_e32 v20, v20, v14, vcc
	v_cmp_eq_u32_e32 vcc, 13, v19
	v_cndmask_b32_e32 v20, v20, v15, vcc
	v_cmp_eq_u32_e32 vcc, 14, v19
	;; [unrolled: 2-line block ×3, first 2 shown]
	v_cndmask_b32_e32 v19, v20, v17, vcc
	s_waitcnt lgkmcnt(0)
	v_fmac_f32_e32 v18, v19, v21
	s_and_saveexec_b64 s[18:19], s[4:5]
	s_cbranch_execz .LBB15_314
; %bb.309:
	v_add_u32_e32 v19, 6, v0
	v_cmp_eq_u32_e32 vcc, 1, v19
	v_cndmask_b32_e32 v20, v2, v3, vcc
	v_cmp_eq_u32_e32 vcc, 2, v19
	v_cndmask_b32_e32 v20, v20, v4, vcc
	;; [unrolled: 2-line block ×11, first 2 shown]
	v_cmp_eq_u32_e32 vcc, 12, v19
	ds_read_b32 v21, v69 offset:24
	v_cndmask_b32_e32 v20, v20, v14, vcc
	v_cmp_eq_u32_e32 vcc, 13, v19
	v_cndmask_b32_e32 v20, v20, v15, vcc
	v_cmp_eq_u32_e32 vcc, 14, v19
	;; [unrolled: 2-line block ×3, first 2 shown]
	v_cndmask_b32_e32 v19, v20, v17, vcc
	s_waitcnt lgkmcnt(0)
	v_fmac_f32_e32 v18, v19, v21
	v_cmp_ne_u32_e32 vcc, 2, v0
	s_and_saveexec_b64 s[4:5], vcc
	s_cbranch_execz .LBB15_313
; %bb.310:
	v_add_u32_e32 v19, 7, v0
	v_cmp_eq_u32_e32 vcc, 1, v19
	v_cndmask_b32_e32 v20, v2, v3, vcc
	v_cmp_eq_u32_e32 vcc, 2, v19
	v_cndmask_b32_e32 v20, v20, v4, vcc
	;; [unrolled: 2-line block ×11, first 2 shown]
	v_cmp_eq_u32_e32 vcc, 12, v19
	ds_read_b32 v20, v69 offset:28
	v_cndmask_b32_e32 v11, v11, v14, vcc
	v_cmp_eq_u32_e32 vcc, 13, v19
	v_cndmask_b32_e32 v11, v11, v15, vcc
	v_cmp_eq_u32_e32 vcc, 14, v19
	;; [unrolled: 2-line block ×3, first 2 shown]
	v_cndmask_b32_e32 v11, v11, v17, vcc
	s_waitcnt lgkmcnt(0)
	v_fmac_f32_e32 v18, v11, v20
	s_and_saveexec_b64 s[20:21], s[2:3]
	s_cbranch_execz .LBB15_312
; %bb.311:
	ds_read_b32 v11, v69 offset:32
	s_waitcnt lgkmcnt(0)
	v_fmac_f32_e32 v18, v10, v11
.LBB15_312:
	s_or_b64 exec, exec, s[20:21]
.LBB15_313:
	s_or_b64 exec, exec, s[4:5]
.LBB15_314:
	s_or_b64 exec, exec, s[18:19]
.LBB15_315:
	s_or_b64 exec, exec, s[6:7]
.LBB15_316:
	s_or_b64 exec, exec, s[16:17]
.LBB15_317:
	s_or_b64 exec, exec, s[8:9]
.LBB15_318:
	s_or_b64 exec, exec, s[14:15]
.LBB15_319:
	s_or_b64 exec, exec, s[12:13]
	v_mov_b32_e32 v11, 0
	ds_read_b32 v11, v11 offset:36
	s_waitcnt lgkmcnt(0)
	v_mul_f32_e32 v11, v18, v11
.LBB15_320:
	s_or_b64 exec, exec, s[10:11]
	v_cmp_gt_u32_e32 vcc, 10, v0
	s_waitcnt vmcnt(6)
	ds_write_b32 v69, v12
	s_waitcnt lgkmcnt(0)
	; wave barrier
	s_waitcnt lgkmcnt(0)
	s_and_saveexec_b64 s[4:5], vcc
	s_cbranch_execz .LBB15_330
; %bb.321:
	s_and_b64 vcc, exec, s[0:1]
	s_cbranch_vccnz .LBB15_323
; %bb.322:
	v_cmp_eq_u32_e32 vcc, 1, v0
	s_waitcnt vmcnt(1)
	v_cndmask_b32_e32 v18, v2, v3, vcc
	v_cmp_eq_u32_e32 vcc, 2, v0
	v_cndmask_b32_e32 v18, v18, v4, vcc
	v_cmp_eq_u32_e32 vcc, 3, v0
	;; [unrolled: 2-line block ×11, first 2 shown]
	ds_read_b32 v19, v69
	v_cndmask_b32_e32 v18, v18, v14, vcc
	v_cmp_eq_u32_e32 vcc, 13, v0
	v_cndmask_b32_e32 v18, v18, v15, vcc
	v_cmp_eq_u32_e32 vcc, 14, v0
	;; [unrolled: 2-line block ×3, first 2 shown]
	s_waitcnt vmcnt(0)
	v_cndmask_b32_e32 v18, v18, v17, vcc
	s_waitcnt lgkmcnt(0)
	v_mul_f32_e32 v20, v18, v19
	s_cbranch_execz .LBB15_324
	s_branch .LBB15_325
.LBB15_323:
                                        ; implicit-def: $vgpr20
.LBB15_324:
	ds_read_b32 v20, v69
.LBB15_325:
	v_cmp_ne_u32_e32 vcc, 9, v0
	s_and_saveexec_b64 s[6:7], vcc
	s_cbranch_execz .LBB15_329
; %bb.326:
	v_mov_b32_e32 v18, 0x44
	v_lshl_add_u32 v21, v0, 2, v18
	s_mov_b64 s[8:9], 0
	v_pk_mov_b32 v[18:19], v[0:1], v[0:1] op_sel:[0,1]
.LBB15_327:                             ; =>This Inner Loop Header: Depth=1
	v_add_co_u32_e32 v18, vcc, 1, v18
	v_addc_co_u32_e32 v19, vcc, 0, v19, vcc
	v_cmp_eq_u32_e32 vcc, 1, v18
	s_waitcnt vmcnt(1)
	v_cndmask_b32_e32 v23, v2, v3, vcc
	v_cmp_lt_u32_e32 vcc, 8, v18
	v_cmp_eq_u32_e64 s[2:3], 2, v18
	v_cndmask_b32_e64 v23, v23, v4, s[2:3]
	s_or_b64 s[8:9], vcc, s[8:9]
	v_cmp_eq_u32_e32 vcc, 3, v18
	v_cndmask_b32_e32 v23, v23, v5, vcc
	v_cmp_eq_u32_e32 vcc, 4, v18
	v_cndmask_b32_e32 v23, v23, v6, vcc
	;; [unrolled: 2-line block ×8, first 2 shown]
	v_cmp_eq_u32_e32 vcc, 11, v18
	ds_read_b32 v22, v21
	v_cndmask_b32_e32 v23, v23, v13, vcc
	v_cmp_eq_u32_e32 vcc, 12, v18
	v_cndmask_b32_e32 v23, v23, v14, vcc
	v_cmp_eq_u32_e32 vcc, 13, v18
	v_cndmask_b32_e32 v23, v23, v15, vcc
	v_cmp_eq_u32_e32 vcc, 14, v18
	v_cndmask_b32_e32 v23, v23, v16, vcc
	v_cmp_eq_u32_e32 vcc, 15, v18
	s_waitcnt vmcnt(0)
	v_cndmask_b32_e32 v23, v23, v17, vcc
	v_add_u32_e32 v21, 4, v21
	s_waitcnt lgkmcnt(0)
	v_fmac_f32_e32 v20, v23, v22
	s_andn2_b64 exec, exec, s[8:9]
	s_cbranch_execnz .LBB15_327
; %bb.328:
	s_or_b64 exec, exec, s[8:9]
.LBB15_329:
	s_or_b64 exec, exec, s[6:7]
	v_mov_b32_e32 v12, 0
	ds_read_b32 v12, v12 offset:40
	s_waitcnt lgkmcnt(0)
	v_mul_f32_e32 v12, v20, v12
.LBB15_330:
	s_or_b64 exec, exec, s[4:5]
	v_cmp_gt_u32_e32 vcc, 11, v0
	s_waitcnt vmcnt(5)
	ds_write_b32 v69, v13
	s_waitcnt lgkmcnt(0)
	; wave barrier
	s_waitcnt lgkmcnt(0)
	s_and_saveexec_b64 s[4:5], vcc
	s_cbranch_execz .LBB15_340
; %bb.331:
	s_and_b64 vcc, exec, s[0:1]
	s_cbranch_vccnz .LBB15_333
; %bb.332:
	v_cmp_eq_u32_e32 vcc, 1, v0
	s_waitcnt vmcnt(1)
	v_cndmask_b32_e32 v18, v2, v3, vcc
	v_cmp_eq_u32_e32 vcc, 2, v0
	v_cndmask_b32_e32 v18, v18, v4, vcc
	v_cmp_eq_u32_e32 vcc, 3, v0
	;; [unrolled: 2-line block ×11, first 2 shown]
	ds_read_b32 v19, v69
	v_cndmask_b32_e32 v18, v18, v14, vcc
	v_cmp_eq_u32_e32 vcc, 13, v0
	v_cndmask_b32_e32 v18, v18, v15, vcc
	v_cmp_eq_u32_e32 vcc, 14, v0
	;; [unrolled: 2-line block ×3, first 2 shown]
	s_waitcnt vmcnt(0)
	v_cndmask_b32_e32 v18, v18, v17, vcc
	s_waitcnt lgkmcnt(0)
	v_mul_f32_e32 v20, v18, v19
	s_cbranch_execz .LBB15_334
	s_branch .LBB15_335
.LBB15_333:
                                        ; implicit-def: $vgpr20
.LBB15_334:
	ds_read_b32 v20, v69
.LBB15_335:
	v_cmp_ne_u32_e32 vcc, 10, v0
	s_and_saveexec_b64 s[6:7], vcc
	s_cbranch_execz .LBB15_339
; %bb.336:
	v_mov_b32_e32 v18, 0x44
	v_lshl_add_u32 v21, v0, 2, v18
	s_mov_b64 s[8:9], 0
	v_pk_mov_b32 v[18:19], v[0:1], v[0:1] op_sel:[0,1]
.LBB15_337:                             ; =>This Inner Loop Header: Depth=1
	v_add_co_u32_e32 v18, vcc, 1, v18
	v_addc_co_u32_e32 v19, vcc, 0, v19, vcc
	v_cmp_eq_u32_e32 vcc, 1, v18
	s_waitcnt vmcnt(1)
	v_cndmask_b32_e32 v23, v2, v3, vcc
	v_cmp_lt_u32_e32 vcc, 9, v18
	v_cmp_eq_u32_e64 s[2:3], 2, v18
	v_cndmask_b32_e64 v23, v23, v4, s[2:3]
	s_or_b64 s[8:9], vcc, s[8:9]
	v_cmp_eq_u32_e32 vcc, 3, v18
	v_cndmask_b32_e32 v23, v23, v5, vcc
	v_cmp_eq_u32_e32 vcc, 4, v18
	v_cndmask_b32_e32 v23, v23, v6, vcc
	;; [unrolled: 2-line block ×8, first 2 shown]
	v_cmp_eq_u32_e32 vcc, 11, v18
	ds_read_b32 v22, v21
	v_cndmask_b32_e32 v23, v23, v13, vcc
	v_cmp_eq_u32_e32 vcc, 12, v18
	v_cndmask_b32_e32 v23, v23, v14, vcc
	v_cmp_eq_u32_e32 vcc, 13, v18
	;; [unrolled: 2-line block ×4, first 2 shown]
	s_waitcnt vmcnt(0)
	v_cndmask_b32_e32 v23, v23, v17, vcc
	v_add_u32_e32 v21, 4, v21
	s_waitcnt lgkmcnt(0)
	v_fmac_f32_e32 v20, v23, v22
	s_andn2_b64 exec, exec, s[8:9]
	s_cbranch_execnz .LBB15_337
; %bb.338:
	s_or_b64 exec, exec, s[8:9]
.LBB15_339:
	s_or_b64 exec, exec, s[6:7]
	v_mov_b32_e32 v13, 0
	ds_read_b32 v13, v13 offset:44
	s_waitcnt lgkmcnt(0)
	v_mul_f32_e32 v13, v20, v13
.LBB15_340:
	s_or_b64 exec, exec, s[4:5]
	v_cmp_gt_u32_e32 vcc, 12, v0
	s_waitcnt vmcnt(4)
	ds_write_b32 v69, v14
	s_waitcnt lgkmcnt(0)
	; wave barrier
	s_waitcnt lgkmcnt(0)
	s_and_saveexec_b64 s[4:5], vcc
	s_cbranch_execz .LBB15_350
; %bb.341:
	s_and_b64 vcc, exec, s[0:1]
	s_cbranch_vccnz .LBB15_343
; %bb.342:
	v_cmp_eq_u32_e32 vcc, 1, v0
	s_waitcnt vmcnt(1)
	v_cndmask_b32_e32 v18, v2, v3, vcc
	v_cmp_eq_u32_e32 vcc, 2, v0
	v_cndmask_b32_e32 v18, v18, v4, vcc
	v_cmp_eq_u32_e32 vcc, 3, v0
	;; [unrolled: 2-line block ×11, first 2 shown]
	ds_read_b32 v19, v69
	v_cndmask_b32_e32 v18, v18, v14, vcc
	v_cmp_eq_u32_e32 vcc, 13, v0
	v_cndmask_b32_e32 v18, v18, v15, vcc
	v_cmp_eq_u32_e32 vcc, 14, v0
	;; [unrolled: 2-line block ×3, first 2 shown]
	s_waitcnt vmcnt(0)
	v_cndmask_b32_e32 v18, v18, v17, vcc
	s_waitcnt lgkmcnt(0)
	v_mul_f32_e32 v20, v18, v19
	s_cbranch_execz .LBB15_344
	s_branch .LBB15_345
.LBB15_343:
                                        ; implicit-def: $vgpr20
.LBB15_344:
	ds_read_b32 v20, v69
.LBB15_345:
	v_cmp_ne_u32_e32 vcc, 11, v0
	s_and_saveexec_b64 s[6:7], vcc
	s_cbranch_execz .LBB15_349
; %bb.346:
	v_mov_b32_e32 v18, 0x44
	v_lshl_add_u32 v21, v0, 2, v18
	s_mov_b64 s[8:9], 0
	v_pk_mov_b32 v[18:19], v[0:1], v[0:1] op_sel:[0,1]
.LBB15_347:                             ; =>This Inner Loop Header: Depth=1
	v_add_co_u32_e32 v18, vcc, 1, v18
	v_addc_co_u32_e32 v19, vcc, 0, v19, vcc
	v_cmp_eq_u32_e32 vcc, 1, v18
	s_waitcnt vmcnt(1)
	v_cndmask_b32_e32 v23, v2, v3, vcc
	v_cmp_lt_u32_e32 vcc, 10, v18
	v_cmp_eq_u32_e64 s[2:3], 2, v18
	v_cndmask_b32_e64 v23, v23, v4, s[2:3]
	s_or_b64 s[8:9], vcc, s[8:9]
	v_cmp_eq_u32_e32 vcc, 3, v18
	v_cndmask_b32_e32 v23, v23, v5, vcc
	v_cmp_eq_u32_e32 vcc, 4, v18
	v_cndmask_b32_e32 v23, v23, v6, vcc
	;; [unrolled: 2-line block ×8, first 2 shown]
	v_cmp_eq_u32_e32 vcc, 11, v18
	ds_read_b32 v22, v21
	v_cndmask_b32_e32 v23, v23, v13, vcc
	v_cmp_eq_u32_e32 vcc, 12, v18
	v_cndmask_b32_e32 v23, v23, v14, vcc
	v_cmp_eq_u32_e32 vcc, 13, v18
	;; [unrolled: 2-line block ×4, first 2 shown]
	s_waitcnt vmcnt(0)
	v_cndmask_b32_e32 v23, v23, v17, vcc
	v_add_u32_e32 v21, 4, v21
	s_waitcnt lgkmcnt(0)
	v_fmac_f32_e32 v20, v23, v22
	s_andn2_b64 exec, exec, s[8:9]
	s_cbranch_execnz .LBB15_347
; %bb.348:
	s_or_b64 exec, exec, s[8:9]
.LBB15_349:
	s_or_b64 exec, exec, s[6:7]
	v_mov_b32_e32 v14, 0
	ds_read_b32 v14, v14 offset:48
	s_waitcnt lgkmcnt(0)
	v_mul_f32_e32 v14, v20, v14
.LBB15_350:
	s_or_b64 exec, exec, s[4:5]
	v_cmp_gt_u32_e32 vcc, 13, v0
	s_waitcnt vmcnt(3)
	ds_write_b32 v69, v15
	s_waitcnt lgkmcnt(0)
	; wave barrier
	s_waitcnt lgkmcnt(0)
	s_and_saveexec_b64 s[4:5], vcc
	s_cbranch_execz .LBB15_360
; %bb.351:
	s_and_b64 vcc, exec, s[0:1]
	s_cbranch_vccnz .LBB15_353
; %bb.352:
	v_cmp_eq_u32_e32 vcc, 1, v0
	s_waitcnt vmcnt(1)
	v_cndmask_b32_e32 v18, v2, v3, vcc
	v_cmp_eq_u32_e32 vcc, 2, v0
	v_cndmask_b32_e32 v18, v18, v4, vcc
	v_cmp_eq_u32_e32 vcc, 3, v0
	;; [unrolled: 2-line block ×11, first 2 shown]
	ds_read_b32 v19, v69
	v_cndmask_b32_e32 v18, v18, v14, vcc
	v_cmp_eq_u32_e32 vcc, 13, v0
	v_cndmask_b32_e32 v18, v18, v15, vcc
	v_cmp_eq_u32_e32 vcc, 14, v0
	;; [unrolled: 2-line block ×3, first 2 shown]
	s_waitcnt vmcnt(0)
	v_cndmask_b32_e32 v18, v18, v17, vcc
	s_waitcnt lgkmcnt(0)
	v_mul_f32_e32 v20, v18, v19
	s_cbranch_execz .LBB15_354
	s_branch .LBB15_355
.LBB15_353:
                                        ; implicit-def: $vgpr20
.LBB15_354:
	ds_read_b32 v20, v69
.LBB15_355:
	v_cmp_ne_u32_e32 vcc, 12, v0
	s_and_saveexec_b64 s[6:7], vcc
	s_cbranch_execz .LBB15_359
; %bb.356:
	v_mov_b32_e32 v18, 0x44
	v_lshl_add_u32 v21, v0, 2, v18
	s_mov_b64 s[8:9], 0
	v_pk_mov_b32 v[18:19], v[0:1], v[0:1] op_sel:[0,1]
.LBB15_357:                             ; =>This Inner Loop Header: Depth=1
	v_add_co_u32_e32 v18, vcc, 1, v18
	v_addc_co_u32_e32 v19, vcc, 0, v19, vcc
	v_cmp_eq_u32_e32 vcc, 1, v18
	s_waitcnt vmcnt(1)
	v_cndmask_b32_e32 v23, v2, v3, vcc
	v_cmp_lt_u32_e32 vcc, 11, v18
	v_cmp_eq_u32_e64 s[2:3], 2, v18
	v_cndmask_b32_e64 v23, v23, v4, s[2:3]
	s_or_b64 s[8:9], vcc, s[8:9]
	v_cmp_eq_u32_e32 vcc, 3, v18
	v_cndmask_b32_e32 v23, v23, v5, vcc
	v_cmp_eq_u32_e32 vcc, 4, v18
	v_cndmask_b32_e32 v23, v23, v6, vcc
	;; [unrolled: 2-line block ×8, first 2 shown]
	v_cmp_eq_u32_e32 vcc, 11, v18
	ds_read_b32 v22, v21
	v_cndmask_b32_e32 v23, v23, v13, vcc
	v_cmp_eq_u32_e32 vcc, 12, v18
	v_cndmask_b32_e32 v23, v23, v14, vcc
	v_cmp_eq_u32_e32 vcc, 13, v18
	v_cndmask_b32_e32 v23, v23, v15, vcc
	v_cmp_eq_u32_e32 vcc, 14, v18
	v_cndmask_b32_e32 v23, v23, v16, vcc
	v_cmp_eq_u32_e32 vcc, 15, v18
	s_waitcnt vmcnt(0)
	v_cndmask_b32_e32 v23, v23, v17, vcc
	v_add_u32_e32 v21, 4, v21
	s_waitcnt lgkmcnt(0)
	v_fmac_f32_e32 v20, v23, v22
	s_andn2_b64 exec, exec, s[8:9]
	s_cbranch_execnz .LBB15_357
; %bb.358:
	s_or_b64 exec, exec, s[8:9]
.LBB15_359:
	s_or_b64 exec, exec, s[6:7]
	v_mov_b32_e32 v15, 0
	ds_read_b32 v15, v15 offset:52
	s_waitcnt lgkmcnt(0)
	v_mul_f32_e32 v15, v20, v15
.LBB15_360:
	s_or_b64 exec, exec, s[4:5]
	v_cmp_gt_u32_e64 s[2:3], 14, v0
	s_waitcnt vmcnt(2)
	ds_write_b32 v69, v16
	s_waitcnt lgkmcnt(0)
	; wave barrier
	s_waitcnt lgkmcnt(0)
	s_and_saveexec_b64 s[6:7], s[2:3]
	s_cbranch_execz .LBB15_370
; %bb.361:
	s_and_b64 vcc, exec, s[0:1]
	s_cbranch_vccnz .LBB15_363
; %bb.362:
	v_cmp_eq_u32_e32 vcc, 1, v0
	s_waitcnt vmcnt(1)
	v_cndmask_b32_e32 v18, v2, v3, vcc
	v_cmp_eq_u32_e32 vcc, 2, v0
	v_cndmask_b32_e32 v18, v18, v4, vcc
	v_cmp_eq_u32_e32 vcc, 3, v0
	;; [unrolled: 2-line block ×11, first 2 shown]
	ds_read_b32 v19, v69
	v_cndmask_b32_e32 v18, v18, v14, vcc
	v_cmp_eq_u32_e32 vcc, 13, v0
	v_cndmask_b32_e32 v18, v18, v15, vcc
	v_cmp_eq_u32_e32 vcc, 14, v0
	;; [unrolled: 2-line block ×3, first 2 shown]
	s_waitcnt vmcnt(0)
	v_cndmask_b32_e32 v18, v18, v17, vcc
	s_waitcnt lgkmcnt(0)
	v_mul_f32_e32 v20, v18, v19
	s_cbranch_execz .LBB15_364
	s_branch .LBB15_365
.LBB15_363:
                                        ; implicit-def: $vgpr20
.LBB15_364:
	ds_read_b32 v20, v69
.LBB15_365:
	v_cmp_ne_u32_e32 vcc, 13, v0
	s_and_saveexec_b64 s[8:9], vcc
	s_cbranch_execz .LBB15_369
; %bb.366:
	v_mov_b32_e32 v18, 0x44
	v_lshl_add_u32 v21, v0, 2, v18
	s_mov_b64 s[10:11], 0
	v_pk_mov_b32 v[18:19], v[0:1], v[0:1] op_sel:[0,1]
.LBB15_367:                             ; =>This Inner Loop Header: Depth=1
	v_add_co_u32_e32 v18, vcc, 1, v18
	v_addc_co_u32_e32 v19, vcc, 0, v19, vcc
	v_cmp_eq_u32_e32 vcc, 1, v18
	s_waitcnt vmcnt(1)
	v_cndmask_b32_e32 v23, v2, v3, vcc
	v_cmp_lt_u32_e32 vcc, 12, v18
	v_cmp_eq_u32_e64 s[4:5], 2, v18
	v_cndmask_b32_e64 v23, v23, v4, s[4:5]
	s_or_b64 s[10:11], vcc, s[10:11]
	v_cmp_eq_u32_e32 vcc, 3, v18
	v_cndmask_b32_e32 v23, v23, v5, vcc
	v_cmp_eq_u32_e32 vcc, 4, v18
	v_cndmask_b32_e32 v23, v23, v6, vcc
	;; [unrolled: 2-line block ×8, first 2 shown]
	v_cmp_eq_u32_e32 vcc, 11, v18
	ds_read_b32 v22, v21
	v_cndmask_b32_e32 v23, v23, v13, vcc
	v_cmp_eq_u32_e32 vcc, 12, v18
	v_cndmask_b32_e32 v23, v23, v14, vcc
	v_cmp_eq_u32_e32 vcc, 13, v18
	;; [unrolled: 2-line block ×4, first 2 shown]
	s_waitcnt vmcnt(0)
	v_cndmask_b32_e32 v23, v23, v17, vcc
	v_add_u32_e32 v21, 4, v21
	s_waitcnt lgkmcnt(0)
	v_fmac_f32_e32 v20, v23, v22
	s_andn2_b64 exec, exec, s[10:11]
	s_cbranch_execnz .LBB15_367
; %bb.368:
	s_or_b64 exec, exec, s[10:11]
.LBB15_369:
	s_or_b64 exec, exec, s[8:9]
	v_mov_b32_e32 v16, 0
	ds_read_b32 v16, v16 offset:56
	s_waitcnt lgkmcnt(0)
	v_mul_f32_e32 v16, v20, v16
.LBB15_370:
	s_or_b64 exec, exec, s[6:7]
	v_cmp_ne_u32_e32 vcc, 15, v0
	s_waitcnt vmcnt(0)
	ds_write_b32 v69, v17
	s_waitcnt lgkmcnt(0)
	; wave barrier
	s_waitcnt lgkmcnt(0)
	s_and_saveexec_b64 s[4:5], vcc
	s_cbranch_execz .LBB15_380
; %bb.371:
	s_and_b64 vcc, exec, s[0:1]
	s_cbranch_vccnz .LBB15_373
; %bb.372:
	v_cmp_eq_u32_e32 vcc, 1, v0
	v_cndmask_b32_e32 v18, v2, v3, vcc
	v_cmp_eq_u32_e32 vcc, 2, v0
	v_cndmask_b32_e32 v18, v18, v4, vcc
	;; [unrolled: 2-line block ×11, first 2 shown]
	v_cmp_eq_u32_e32 vcc, 12, v0
	ds_read_b32 v19, v69
	v_cndmask_b32_e32 v18, v18, v14, vcc
	v_cmp_eq_u32_e32 vcc, 13, v0
	v_cndmask_b32_e32 v18, v18, v15, vcc
	v_cmp_eq_u32_e32 vcc, 14, v0
	;; [unrolled: 2-line block ×3, first 2 shown]
	v_cndmask_b32_e32 v18, v18, v17, vcc
	s_waitcnt lgkmcnt(0)
	v_mul_f32_e32 v18, v18, v19
	s_cbranch_execz .LBB15_374
	s_branch .LBB15_375
.LBB15_373:
                                        ; implicit-def: $vgpr18
.LBB15_374:
	ds_read_b32 v18, v69
.LBB15_375:
	s_and_saveexec_b64 s[6:7], s[2:3]
	s_cbranch_execz .LBB15_379
; %bb.376:
	v_mov_b32_e32 v19, 0x44
	v_lshl_add_u32 v19, v0, 2, v19
	s_mov_b64 s[2:3], 0
.LBB15_377:                             ; =>This Inner Loop Header: Depth=1
	v_add_co_u32_e32 v0, vcc, 1, v0
	v_addc_co_u32_e32 v1, vcc, 0, v1, vcc
	v_cmp_eq_u32_e32 vcc, 1, v0
	v_cndmask_b32_e32 v21, v2, v3, vcc
	v_cmp_lt_u32_e32 vcc, 13, v0
	v_cmp_eq_u32_e64 s[0:1], 2, v0
	v_cndmask_b32_e64 v21, v21, v4, s[0:1]
	s_or_b64 s[2:3], vcc, s[2:3]
	v_cmp_eq_u32_e32 vcc, 3, v0
	v_cndmask_b32_e32 v21, v21, v5, vcc
	v_cmp_eq_u32_e32 vcc, 4, v0
	v_cndmask_b32_e32 v21, v21, v6, vcc
	;; [unrolled: 2-line block ×8, first 2 shown]
	v_cmp_eq_u32_e32 vcc, 11, v0
	ds_read_b32 v20, v19
	v_cndmask_b32_e32 v21, v21, v13, vcc
	v_cmp_eq_u32_e32 vcc, 12, v0
	v_cndmask_b32_e32 v21, v21, v14, vcc
	v_cmp_eq_u32_e32 vcc, 13, v0
	;; [unrolled: 2-line block ×4, first 2 shown]
	v_cndmask_b32_e32 v21, v21, v17, vcc
	v_add_u32_e32 v19, 4, v19
	s_waitcnt lgkmcnt(0)
	v_fmac_f32_e32 v18, v21, v20
	s_andn2_b64 exec, exec, s[2:3]
	s_cbranch_execnz .LBB15_377
; %bb.378:
	s_or_b64 exec, exec, s[2:3]
.LBB15_379:
	s_or_b64 exec, exec, s[6:7]
	v_mov_b32_e32 v0, 0
	ds_read_b32 v0, v0 offset:60
	s_waitcnt lgkmcnt(0)
	v_mul_f32_e32 v17, v18, v0
.LBB15_380:
	s_or_b64 exec, exec, s[4:5]
	v_pk_mov_b32 v[32:33], v[16:17], v[16:17] op_sel:[0,1]
	v_pk_mov_b32 v[30:31], v[14:15], v[14:15] op_sel:[0,1]
	;; [unrolled: 1-line block ×8, first 2 shown]
.LBB15_381:
	global_store_dword v[34:35], v18, off
	global_store_dword v[36:37], v19, off
	;; [unrolled: 1-line block ×16, first 2 shown]
.LBB15_382:
	s_endpgm
	.section	.rodata,"a",@progbits
	.p2align	6, 0x0
	.amdhsa_kernel _ZN9rocsolver6v33100L18trti2_kernel_smallILi16EfPfEEv13rocblas_fill_17rocblas_diagonal_T1_iil
		.amdhsa_group_segment_fixed_size 128
		.amdhsa_private_segment_fixed_size 0
		.amdhsa_kernarg_size 32
		.amdhsa_user_sgpr_count 6
		.amdhsa_user_sgpr_private_segment_buffer 1
		.amdhsa_user_sgpr_dispatch_ptr 0
		.amdhsa_user_sgpr_queue_ptr 0
		.amdhsa_user_sgpr_kernarg_segment_ptr 1
		.amdhsa_user_sgpr_dispatch_id 0
		.amdhsa_user_sgpr_flat_scratch_init 0
		.amdhsa_user_sgpr_kernarg_preload_length 0
		.amdhsa_user_sgpr_kernarg_preload_offset 0
		.amdhsa_user_sgpr_private_segment_size 0
		.amdhsa_uses_dynamic_stack 0
		.amdhsa_system_sgpr_private_segment_wavefront_offset 0
		.amdhsa_system_sgpr_workgroup_id_x 1
		.amdhsa_system_sgpr_workgroup_id_y 0
		.amdhsa_system_sgpr_workgroup_id_z 0
		.amdhsa_system_sgpr_workgroup_info 0
		.amdhsa_system_vgpr_workitem_id 0
		.amdhsa_next_free_vgpr 80
		.amdhsa_next_free_sgpr 44
		.amdhsa_accum_offset 80
		.amdhsa_reserve_vcc 1
		.amdhsa_reserve_flat_scratch 0
		.amdhsa_float_round_mode_32 0
		.amdhsa_float_round_mode_16_64 0
		.amdhsa_float_denorm_mode_32 3
		.amdhsa_float_denorm_mode_16_64 3
		.amdhsa_dx10_clamp 1
		.amdhsa_ieee_mode 1
		.amdhsa_fp16_overflow 0
		.amdhsa_tg_split 0
		.amdhsa_exception_fp_ieee_invalid_op 0
		.amdhsa_exception_fp_denorm_src 0
		.amdhsa_exception_fp_ieee_div_zero 0
		.amdhsa_exception_fp_ieee_overflow 0
		.amdhsa_exception_fp_ieee_underflow 0
		.amdhsa_exception_fp_ieee_inexact 0
		.amdhsa_exception_int_div_zero 0
	.end_amdhsa_kernel
	.section	.text._ZN9rocsolver6v33100L18trti2_kernel_smallILi16EfPfEEv13rocblas_fill_17rocblas_diagonal_T1_iil,"axG",@progbits,_ZN9rocsolver6v33100L18trti2_kernel_smallILi16EfPfEEv13rocblas_fill_17rocblas_diagonal_T1_iil,comdat
.Lfunc_end15:
	.size	_ZN9rocsolver6v33100L18trti2_kernel_smallILi16EfPfEEv13rocblas_fill_17rocblas_diagonal_T1_iil, .Lfunc_end15-_ZN9rocsolver6v33100L18trti2_kernel_smallILi16EfPfEEv13rocblas_fill_17rocblas_diagonal_T1_iil
                                        ; -- End function
	.section	.AMDGPU.csdata,"",@progbits
; Kernel info:
; codeLenInByte = 18860
; NumSgprs: 48
; NumVgprs: 80
; NumAgprs: 0
; TotalNumVgprs: 80
; ScratchSize: 0
; MemoryBound: 0
; FloatMode: 240
; IeeeMode: 1
; LDSByteSize: 128 bytes/workgroup (compile time only)
; SGPRBlocks: 5
; VGPRBlocks: 9
; NumSGPRsForWavesPerEU: 48
; NumVGPRsForWavesPerEU: 80
; AccumOffset: 80
; Occupancy: 6
; WaveLimiterHint : 0
; COMPUTE_PGM_RSRC2:SCRATCH_EN: 0
; COMPUTE_PGM_RSRC2:USER_SGPR: 6
; COMPUTE_PGM_RSRC2:TRAP_HANDLER: 0
; COMPUTE_PGM_RSRC2:TGID_X_EN: 1
; COMPUTE_PGM_RSRC2:TGID_Y_EN: 0
; COMPUTE_PGM_RSRC2:TGID_Z_EN: 0
; COMPUTE_PGM_RSRC2:TIDIG_COMP_CNT: 0
; COMPUTE_PGM_RSRC3_GFX90A:ACCUM_OFFSET: 19
; COMPUTE_PGM_RSRC3_GFX90A:TG_SPLIT: 0
	.section	.text._ZN9rocsolver6v33100L18trti2_kernel_smallILi17EfPfEEv13rocblas_fill_17rocblas_diagonal_T1_iil,"axG",@progbits,_ZN9rocsolver6v33100L18trti2_kernel_smallILi17EfPfEEv13rocblas_fill_17rocblas_diagonal_T1_iil,comdat
	.globl	_ZN9rocsolver6v33100L18trti2_kernel_smallILi17EfPfEEv13rocblas_fill_17rocblas_diagonal_T1_iil ; -- Begin function _ZN9rocsolver6v33100L18trti2_kernel_smallILi17EfPfEEv13rocblas_fill_17rocblas_diagonal_T1_iil
	.p2align	8
	.type	_ZN9rocsolver6v33100L18trti2_kernel_smallILi17EfPfEEv13rocblas_fill_17rocblas_diagonal_T1_iil,@function
_ZN9rocsolver6v33100L18trti2_kernel_smallILi17EfPfEEv13rocblas_fill_17rocblas_diagonal_T1_iil: ; @_ZN9rocsolver6v33100L18trti2_kernel_smallILi17EfPfEEv13rocblas_fill_17rocblas_diagonal_T1_iil
; %bb.0:
	s_add_u32 s0, s0, s9
	s_addc_u32 s1, s1, 0
	v_cmp_gt_u32_e32 vcc, 17, v0
	s_and_saveexec_b64 s[6:7], vcc
	s_cbranch_execz .LBB16_312
; %bb.1:
	s_load_dwordx8 s[12:19], s[4:5], 0x0
	s_ashr_i32 s6, s8, 31
	v_lshlrev_b32_e32 v1, 2, v0
	s_waitcnt lgkmcnt(0)
	s_mul_i32 s7, s8, s19
	s_mul_hi_u32 s9, s8, s18
	s_add_i32 s7, s9, s7
	s_mul_i32 s6, s6, s18
	s_add_i32 s7, s7, s6
	s_mul_i32 s6, s8, s18
	s_ashr_i32 s5, s16, 31
	s_lshl_b64 s[6:7], s[6:7], 2
	s_mov_b32 s4, s16
	s_add_u32 s6, s14, s6
	s_addc_u32 s7, s15, s7
	s_lshl_b64 s[4:5], s[4:5], 2
	s_add_u32 s4, s6, s4
	s_addc_u32 s5, s7, s5
	v_mov_b32_e32 v3, s5
	v_add_co_u32_e32 v2, vcc, s4, v1
	s_ashr_i32 s7, s17, 31
	s_mov_b32 s6, s17
	v_addc_co_u32_e32 v3, vcc, 0, v3, vcc
	s_lshl_b64 s[6:7], s[6:7], 2
	v_add_co_u32_e32 v4, vcc, s6, v2
	s_add_i32 s6, s17, s17
	v_add_u32_e32 v8, s6, v0
	v_mov_b32_e32 v5, s7
	v_ashrrev_i32_e32 v9, 31, v8
	v_addc_co_u32_e32 v5, vcc, v3, v5, vcc
	v_lshlrev_b64 v[6:7], 2, v[8:9]
	v_add_u32_e32 v10, s17, v8
	v_mov_b32_e32 v9, s5
	v_add_co_u32_e32 v6, vcc, s4, v6
	v_ashrrev_i32_e32 v11, 31, v10
	v_addc_co_u32_e32 v7, vcc, v9, v7, vcc
	v_lshlrev_b64 v[8:9], 2, v[10:11]
	v_add_u32_e32 v12, s17, v10
	v_mov_b32_e32 v11, s5
	v_add_co_u32_e32 v8, vcc, s4, v8
	;; [unrolled: 6-line block ×13, first 2 shown]
	v_ashrrev_i32_e32 v35, 31, v34
	v_addc_co_u32_e32 v31, vcc, v33, v31, vcc
	v_lshlrev_b64 v[32:33], 2, v[34:35]
	v_mov_b32_e32 v35, s5
	v_add_co_u32_e32 v32, vcc, s4, v32
	v_add_u32_e32 v34, s17, v34
	v_addc_co_u32_e32 v33, vcc, v35, v33, vcc
	v_ashrrev_i32_e32 v35, 31, v34
	v_lshlrev_b64 v[34:35], 2, v[34:35]
	global_load_dword v36, v1, s[4:5]
	v_mov_b32_e32 v44, s5
	v_add_co_u32_e32 v34, vcc, s4, v34
	global_load_dword v37, v[4:5], off
	global_load_dword v38, v[6:7], off
	;; [unrolled: 1-line block ×11, first 2 shown]
	v_addc_co_u32_e32 v35, vcc, v44, v35, vcc
	global_load_dword v49, v[26:27], off
	global_load_dword v50, v[28:29], off
	;; [unrolled: 1-line block ×5, first 2 shown]
	s_cmpk_lg_i32 s13, 0x84
	s_waitcnt vmcnt(16)
	buffer_store_dword v36, off, s[0:3], 0
	s_waitcnt vmcnt(16)
	buffer_store_dword v37, off, s[0:3], 0 offset:4
	v_mov_b32_e32 v44, 0
	s_cselect_b64 s[10:11], -1, 0
	s_cmpk_eq_i32 s13, 0x84
	v_mov_b32_e32 v36, -1.0
	s_waitcnt vmcnt(15)
	buffer_store_dword v39, off, s[0:3], 0 offset:12
	buffer_store_dword v38, off, s[0:3], 0 offset:8
	s_waitcnt vmcnt(16)
	buffer_store_dword v40, off, s[0:3], 0 offset:16
	s_waitcnt vmcnt(16)
	;; [unrolled: 2-line block ×7, first 2 shown]
	buffer_store_dword v48, off, s[0:3], 0 offset:44
	buffer_store_dword v47, off, s[0:3], 0 offset:40
	s_waitcnt vmcnt(16)
	buffer_store_dword v49, off, s[0:3], 0 offset:48
	s_waitcnt vmcnt(16)
	;; [unrolled: 2-line block ×5, first 2 shown]
	buffer_store_dword v53, off, s[0:3], 0 offset:64
	s_cbranch_scc1 .LBB16_3
; %bb.2:
	v_lshl_add_u32 v36, v0, 2, v44
	buffer_load_dword v37, v36, s[0:3], 0 offen
	s_waitcnt vmcnt(0)
	v_div_scale_f32 v38, s[4:5], v37, v37, 1.0
	v_rcp_f32_e32 v39, v38
	v_div_scale_f32 v40, vcc, 1.0, v37, 1.0
	v_fma_f32 v41, -v38, v39, 1.0
	v_fmac_f32_e32 v39, v41, v39
	v_mul_f32_e32 v41, v40, v39
	v_fma_f32 v42, -v38, v41, v40
	v_fmac_f32_e32 v41, v42, v39
	v_fma_f32 v38, -v38, v41, v40
	v_div_fmas_f32 v38, v38, v39, v41
	v_div_fixup_f32 v37, v38, v37, 1.0
	buffer_store_dword v37, v36, s[0:3], 0 offen
	v_xor_b32_e32 v36, 0x80000000, v37
.LBB16_3:
	ds_write_b32 v1, v36
	s_cmpk_eq_i32 s12, 0x79
	v_add_u32_e32 v36, 0x50, v1
	v_add_u32_e32 v37, 0, v1
	s_mov_b64 s[4:5], -1
	s_cbranch_scc1 .LBB16_157
; %bb.4:
	buffer_load_dword v38, off, s[0:3], 0 offset:60
	v_cmp_eq_u32_e64 s[4:5], 16, v0
	s_waitcnt vmcnt(0)
	ds_write_b32 v36, v38
	s_waitcnt lgkmcnt(0)
	; wave barrier
	s_waitcnt lgkmcnt(0)
	s_and_saveexec_b64 s[6:7], s[4:5]
	s_cbranch_execz .LBB16_10
; %bb.5:
	s_and_b64 vcc, exec, s[10:11]
	s_cbranch_vccz .LBB16_7
; %bb.6:
	buffer_load_dword v38, v37, s[0:3], 0 offen
	ds_read_b32 v39, v36
	s_waitcnt vmcnt(0) lgkmcnt(0)
	v_mul_f32_e32 v38, v38, v39
	s_cbranch_execz .LBB16_8
	s_branch .LBB16_9
.LBB16_7:
                                        ; implicit-def: $vgpr38
.LBB16_8:
	ds_read_b32 v38, v36
.LBB16_9:
	v_mov_b32_e32 v39, 0
	ds_read_b32 v39, v39 offset:60
	s_waitcnt lgkmcnt(0)
	v_mul_f32_e32 v38, v38, v39
	buffer_store_dword v38, off, s[0:3], 0 offset:60
.LBB16_10:
	s_or_b64 exec, exec, s[6:7]
	buffer_load_dword v45, off, s[0:3], 0 offset:56
	v_or_b32_e32 v38, 8, v44
	v_add_u32_e32 v39, 16, v44
	v_add_u32_e32 v40, 24, v44
	;; [unrolled: 1-line block ×6, first 2 shown]
	v_cmp_lt_u32_e64 s[8:9], 14, v0
	s_waitcnt vmcnt(0)
	ds_write_b32 v36, v45
	s_waitcnt lgkmcnt(0)
	; wave barrier
	s_waitcnt lgkmcnt(0)
	s_and_saveexec_b64 s[6:7], s[8:9]
	s_cbranch_execz .LBB16_16
; %bb.11:
	s_andn2_b64 vcc, exec, s[10:11]
	s_cbranch_vccnz .LBB16_13
; %bb.12:
	buffer_load_dword v45, v37, s[0:3], 0 offen
	ds_read_b32 v46, v36
	s_waitcnt vmcnt(0) lgkmcnt(0)
	v_mul_f32_e32 v45, v45, v46
	s_cbranch_execz .LBB16_14
	s_branch .LBB16_15
.LBB16_13:
                                        ; implicit-def: $vgpr45
.LBB16_14:
	ds_read_b32 v45, v36
.LBB16_15:
	buffer_load_dword v48, off, s[0:3], 0 offset:60
	v_mov_b32_e32 v46, 0
	ds_read2_b32 v[46:47], v46 offset0:14 offset1:35
	s_waitcnt vmcnt(0) lgkmcnt(0)
	v_fma_f32 v47, v48, v47, v45
	v_cndmask_b32_e64 v45, v45, v47, s[4:5]
	v_mul_f32_e32 v45, v45, v46
	buffer_store_dword v45, off, s[0:3], 0 offset:56
.LBB16_16:
	s_or_b64 exec, exec, s[6:7]
	buffer_load_dword v45, off, s[0:3], 0 offset:52
	v_cmp_lt_u32_e64 s[6:7], 13, v0
	s_waitcnt vmcnt(0)
	ds_write_b32 v36, v45
	s_waitcnt lgkmcnt(0)
	; wave barrier
	s_waitcnt lgkmcnt(0)
	s_and_saveexec_b64 s[4:5], s[6:7]
	s_cbranch_execz .LBB16_26
; %bb.17:
	s_andn2_b64 vcc, exec, s[10:11]
	s_cbranch_vccnz .LBB16_19
; %bb.18:
	buffer_load_dword v45, v37, s[0:3], 0 offen
	ds_read_b32 v46, v36
	s_waitcnt vmcnt(0) lgkmcnt(0)
	v_mul_f32_e32 v45, v45, v46
	s_cbranch_execz .LBB16_20
	s_branch .LBB16_21
.LBB16_19:
                                        ; implicit-def: $vgpr45
.LBB16_20:
	ds_read_b32 v45, v36
.LBB16_21:
	s_and_saveexec_b64 s[12:13], s[8:9]
	s_cbranch_execz .LBB16_25
; %bb.22:
	v_add_u32_e32 v46, -14, v0
	s_movk_i32 s14, 0x88
	s_mov_b64 s[8:9], 0
.LBB16_23:                              ; =>This Inner Loop Header: Depth=1
	buffer_load_dword v47, v44, s[0:3], 0 offen
	v_mov_b32_e32 v48, s14
	ds_read_b32 v48, v48
	v_add_u32_e32 v46, -1, v46
	s_add_i32 s14, s14, 4
	v_cmp_eq_u32_e32 vcc, 0, v46
	v_add_u32_e32 v44, 4, v44
	s_or_b64 s[8:9], vcc, s[8:9]
	s_waitcnt vmcnt(0) lgkmcnt(0)
	v_fmac_f32_e32 v45, v47, v48
	s_andn2_b64 exec, exec, s[8:9]
	s_cbranch_execnz .LBB16_23
; %bb.24:
	s_or_b64 exec, exec, s[8:9]
.LBB16_25:
	s_or_b64 exec, exec, s[12:13]
	v_mov_b32_e32 v44, 0
	ds_read_b32 v44, v44 offset:52
	s_waitcnt lgkmcnt(0)
	v_mul_f32_e32 v44, v45, v44
	buffer_store_dword v44, off, s[0:3], 0 offset:52
.LBB16_26:
	s_or_b64 exec, exec, s[4:5]
	buffer_load_dword v44, off, s[0:3], 0 offset:48
	v_cmp_lt_u32_e64 s[4:5], 12, v0
	s_waitcnt vmcnt(0)
	ds_write_b32 v36, v44
	s_waitcnt lgkmcnt(0)
	; wave barrier
	s_waitcnt lgkmcnt(0)
	s_and_saveexec_b64 s[8:9], s[4:5]
	s_cbranch_execz .LBB16_36
; %bb.27:
	s_andn2_b64 vcc, exec, s[10:11]
	s_cbranch_vccnz .LBB16_29
; %bb.28:
	buffer_load_dword v44, v37, s[0:3], 0 offen
	ds_read_b32 v45, v36
	s_waitcnt vmcnt(0) lgkmcnt(0)
	v_mul_f32_e32 v44, v44, v45
	s_cbranch_execz .LBB16_30
	s_branch .LBB16_31
.LBB16_29:
                                        ; implicit-def: $vgpr44
.LBB16_30:
	ds_read_b32 v44, v36
.LBB16_31:
	s_and_saveexec_b64 s[12:13], s[6:7]
	s_cbranch_execz .LBB16_35
; %bb.32:
	v_mov_b32_e32 v45, 0
	v_add_u32_e32 v45, 52, v45
	v_add_u32_e32 v46, -13, v0
	s_movk_i32 s14, 0x84
	s_mov_b64 s[6:7], 0
.LBB16_33:                              ; =>This Inner Loop Header: Depth=1
	buffer_load_dword v47, v45, s[0:3], 0 offen
	v_mov_b32_e32 v48, s14
	ds_read_b32 v48, v48
	v_add_u32_e32 v46, -1, v46
	s_add_i32 s14, s14, 4
	v_cmp_eq_u32_e32 vcc, 0, v46
	v_add_u32_e32 v45, 4, v45
	s_or_b64 s[6:7], vcc, s[6:7]
	s_waitcnt vmcnt(0) lgkmcnt(0)
	v_fmac_f32_e32 v44, v47, v48
	s_andn2_b64 exec, exec, s[6:7]
	s_cbranch_execnz .LBB16_33
; %bb.34:
	s_or_b64 exec, exec, s[6:7]
.LBB16_35:
	s_or_b64 exec, exec, s[12:13]
	v_mov_b32_e32 v45, 0
	ds_read_b32 v45, v45 offset:48
	s_waitcnt lgkmcnt(0)
	v_mul_f32_e32 v44, v44, v45
	buffer_store_dword v44, off, s[0:3], 0 offset:48
.LBB16_36:
	s_or_b64 exec, exec, s[8:9]
	buffer_load_dword v44, off, s[0:3], 0 offset:44
	v_cmp_lt_u32_e64 s[6:7], 11, v0
	s_waitcnt vmcnt(0)
	ds_write_b32 v36, v44
	s_waitcnt lgkmcnt(0)
	; wave barrier
	s_waitcnt lgkmcnt(0)
	s_and_saveexec_b64 s[8:9], s[6:7]
	s_cbranch_execz .LBB16_46
; %bb.37:
	s_andn2_b64 vcc, exec, s[10:11]
	s_cbranch_vccnz .LBB16_39
; %bb.38:
	buffer_load_dword v44, v37, s[0:3], 0 offen
	ds_read_b32 v45, v36
	s_waitcnt vmcnt(0) lgkmcnt(0)
	v_mul_f32_e32 v44, v44, v45
	s_cbranch_execz .LBB16_40
	s_branch .LBB16_41
.LBB16_39:
                                        ; implicit-def: $vgpr44
.LBB16_40:
	ds_read_b32 v44, v36
.LBB16_41:
	s_and_saveexec_b64 s[12:13], s[4:5]
	s_cbranch_execz .LBB16_45
; %bb.42:
	v_add_u32_e32 v45, -12, v0
	s_movk_i32 s14, 0x80
	s_mov_b64 s[4:5], 0
.LBB16_43:                              ; =>This Inner Loop Header: Depth=1
	buffer_load_dword v46, v43, s[0:3], 0 offen
	v_mov_b32_e32 v47, s14
	ds_read_b32 v47, v47
	v_add_u32_e32 v45, -1, v45
	s_add_i32 s14, s14, 4
	v_cmp_eq_u32_e32 vcc, 0, v45
	v_add_u32_e32 v43, 4, v43
	s_or_b64 s[4:5], vcc, s[4:5]
	s_waitcnt vmcnt(0) lgkmcnt(0)
	v_fmac_f32_e32 v44, v46, v47
	s_andn2_b64 exec, exec, s[4:5]
	s_cbranch_execnz .LBB16_43
; %bb.44:
	s_or_b64 exec, exec, s[4:5]
.LBB16_45:
	s_or_b64 exec, exec, s[12:13]
	v_mov_b32_e32 v43, 0
	ds_read_b32 v43, v43 offset:44
	s_waitcnt lgkmcnt(0)
	v_mul_f32_e32 v43, v44, v43
	buffer_store_dword v43, off, s[0:3], 0 offset:44
.LBB16_46:
	s_or_b64 exec, exec, s[8:9]
	buffer_load_dword v43, off, s[0:3], 0 offset:40
	v_cmp_lt_u32_e64 s[4:5], 10, v0
	s_waitcnt vmcnt(0)
	ds_write_b32 v36, v43
	s_waitcnt lgkmcnt(0)
	; wave barrier
	s_waitcnt lgkmcnt(0)
	s_and_saveexec_b64 s[8:9], s[4:5]
	s_cbranch_execz .LBB16_56
; %bb.47:
	s_andn2_b64 vcc, exec, s[10:11]
	s_cbranch_vccnz .LBB16_49
; %bb.48:
	buffer_load_dword v43, v37, s[0:3], 0 offen
	ds_read_b32 v44, v36
	s_waitcnt vmcnt(0) lgkmcnt(0)
	v_mul_f32_e32 v43, v43, v44
	s_cbranch_execz .LBB16_50
	s_branch .LBB16_51
.LBB16_49:
                                        ; implicit-def: $vgpr43
.LBB16_50:
	ds_read_b32 v43, v36
.LBB16_51:
	s_and_saveexec_b64 s[12:13], s[6:7]
	s_cbranch_execz .LBB16_55
; %bb.52:
	v_mov_b32_e32 v44, 0
	v_add_u32_e32 v44, 44, v44
	v_add_u32_e32 v45, -11, v0
	s_movk_i32 s14, 0x7c
	s_mov_b64 s[6:7], 0
.LBB16_53:                              ; =>This Inner Loop Header: Depth=1
	buffer_load_dword v46, v44, s[0:3], 0 offen
	v_mov_b32_e32 v47, s14
	ds_read_b32 v47, v47
	v_add_u32_e32 v45, -1, v45
	s_add_i32 s14, s14, 4
	v_cmp_eq_u32_e32 vcc, 0, v45
	v_add_u32_e32 v44, 4, v44
	s_or_b64 s[6:7], vcc, s[6:7]
	s_waitcnt vmcnt(0) lgkmcnt(0)
	v_fmac_f32_e32 v43, v46, v47
	s_andn2_b64 exec, exec, s[6:7]
	s_cbranch_execnz .LBB16_53
; %bb.54:
	s_or_b64 exec, exec, s[6:7]
.LBB16_55:
	s_or_b64 exec, exec, s[12:13]
	v_mov_b32_e32 v44, 0
	ds_read_b32 v44, v44 offset:40
	s_waitcnt lgkmcnt(0)
	v_mul_f32_e32 v43, v43, v44
	buffer_store_dword v43, off, s[0:3], 0 offset:40
.LBB16_56:
	s_or_b64 exec, exec, s[8:9]
	buffer_load_dword v43, off, s[0:3], 0 offset:36
	v_cmp_lt_u32_e64 s[6:7], 9, v0
	s_waitcnt vmcnt(0)
	ds_write_b32 v36, v43
	s_waitcnt lgkmcnt(0)
	; wave barrier
	s_waitcnt lgkmcnt(0)
	s_and_saveexec_b64 s[8:9], s[6:7]
	s_cbranch_execz .LBB16_66
; %bb.57:
	s_andn2_b64 vcc, exec, s[10:11]
	s_cbranch_vccnz .LBB16_59
; %bb.58:
	buffer_load_dword v43, v37, s[0:3], 0 offen
	ds_read_b32 v44, v36
	s_waitcnt vmcnt(0) lgkmcnt(0)
	v_mul_f32_e32 v43, v43, v44
	s_cbranch_execz .LBB16_60
	s_branch .LBB16_61
.LBB16_59:
                                        ; implicit-def: $vgpr43
.LBB16_60:
	ds_read_b32 v43, v36
.LBB16_61:
	s_and_saveexec_b64 s[12:13], s[4:5]
	s_cbranch_execz .LBB16_65
; %bb.62:
	v_add_u32_e32 v44, -10, v0
	s_movk_i32 s14, 0x78
	s_mov_b64 s[4:5], 0
.LBB16_63:                              ; =>This Inner Loop Header: Depth=1
	buffer_load_dword v45, v42, s[0:3], 0 offen
	v_mov_b32_e32 v46, s14
	ds_read_b32 v46, v46
	v_add_u32_e32 v44, -1, v44
	s_add_i32 s14, s14, 4
	v_cmp_eq_u32_e32 vcc, 0, v44
	v_add_u32_e32 v42, 4, v42
	s_or_b64 s[4:5], vcc, s[4:5]
	s_waitcnt vmcnt(0) lgkmcnt(0)
	v_fmac_f32_e32 v43, v45, v46
	s_andn2_b64 exec, exec, s[4:5]
	s_cbranch_execnz .LBB16_63
; %bb.64:
	s_or_b64 exec, exec, s[4:5]
.LBB16_65:
	s_or_b64 exec, exec, s[12:13]
	v_mov_b32_e32 v42, 0
	ds_read_b32 v42, v42 offset:36
	s_waitcnt lgkmcnt(0)
	v_mul_f32_e32 v42, v43, v42
	buffer_store_dword v42, off, s[0:3], 0 offset:36
.LBB16_66:
	s_or_b64 exec, exec, s[8:9]
	buffer_load_dword v42, off, s[0:3], 0 offset:32
	v_cmp_lt_u32_e64 s[4:5], 8, v0
	s_waitcnt vmcnt(0)
	ds_write_b32 v36, v42
	s_waitcnt lgkmcnt(0)
	; wave barrier
	s_waitcnt lgkmcnt(0)
	s_and_saveexec_b64 s[8:9], s[4:5]
	s_cbranch_execz .LBB16_76
; %bb.67:
	s_andn2_b64 vcc, exec, s[10:11]
	s_cbranch_vccnz .LBB16_69
; %bb.68:
	buffer_load_dword v42, v37, s[0:3], 0 offen
	ds_read_b32 v43, v36
	s_waitcnt vmcnt(0) lgkmcnt(0)
	v_mul_f32_e32 v42, v42, v43
	s_cbranch_execz .LBB16_70
	s_branch .LBB16_71
.LBB16_69:
                                        ; implicit-def: $vgpr42
.LBB16_70:
	ds_read_b32 v42, v36
.LBB16_71:
	s_and_saveexec_b64 s[12:13], s[6:7]
	s_cbranch_execz .LBB16_75
; %bb.72:
	v_mov_b32_e32 v43, 0
	v_add_u32_e32 v43, 36, v43
	v_add_u32_e32 v44, -9, v0
	s_movk_i32 s14, 0x74
	s_mov_b64 s[6:7], 0
.LBB16_73:                              ; =>This Inner Loop Header: Depth=1
	buffer_load_dword v45, v43, s[0:3], 0 offen
	v_mov_b32_e32 v46, s14
	ds_read_b32 v46, v46
	v_add_u32_e32 v44, -1, v44
	s_add_i32 s14, s14, 4
	v_cmp_eq_u32_e32 vcc, 0, v44
	v_add_u32_e32 v43, 4, v43
	s_or_b64 s[6:7], vcc, s[6:7]
	s_waitcnt vmcnt(0) lgkmcnt(0)
	v_fmac_f32_e32 v42, v45, v46
	s_andn2_b64 exec, exec, s[6:7]
	s_cbranch_execnz .LBB16_73
; %bb.74:
	s_or_b64 exec, exec, s[6:7]
.LBB16_75:
	s_or_b64 exec, exec, s[12:13]
	v_mov_b32_e32 v43, 0
	ds_read_b32 v43, v43 offset:32
	s_waitcnt lgkmcnt(0)
	v_mul_f32_e32 v42, v42, v43
	buffer_store_dword v42, off, s[0:3], 0 offset:32
.LBB16_76:
	s_or_b64 exec, exec, s[8:9]
	buffer_load_dword v42, off, s[0:3], 0 offset:28
	v_cmp_lt_u32_e64 s[6:7], 7, v0
	s_waitcnt vmcnt(0)
	ds_write_b32 v36, v42
	s_waitcnt lgkmcnt(0)
	; wave barrier
	s_waitcnt lgkmcnt(0)
	s_and_saveexec_b64 s[8:9], s[6:7]
	s_cbranch_execz .LBB16_86
; %bb.77:
	s_andn2_b64 vcc, exec, s[10:11]
	s_cbranch_vccnz .LBB16_79
; %bb.78:
	buffer_load_dword v42, v37, s[0:3], 0 offen
	ds_read_b32 v43, v36
	s_waitcnt vmcnt(0) lgkmcnt(0)
	v_mul_f32_e32 v42, v42, v43
	s_cbranch_execz .LBB16_80
	s_branch .LBB16_81
.LBB16_79:
                                        ; implicit-def: $vgpr42
.LBB16_80:
	ds_read_b32 v42, v36
.LBB16_81:
	s_and_saveexec_b64 s[12:13], s[4:5]
	s_cbranch_execz .LBB16_85
; %bb.82:
	v_add_u32_e32 v43, -8, v0
	s_movk_i32 s14, 0x70
	s_mov_b64 s[4:5], 0
.LBB16_83:                              ; =>This Inner Loop Header: Depth=1
	buffer_load_dword v44, v41, s[0:3], 0 offen
	v_mov_b32_e32 v45, s14
	ds_read_b32 v45, v45
	v_add_u32_e32 v43, -1, v43
	s_add_i32 s14, s14, 4
	v_cmp_eq_u32_e32 vcc, 0, v43
	v_add_u32_e32 v41, 4, v41
	s_or_b64 s[4:5], vcc, s[4:5]
	s_waitcnt vmcnt(0) lgkmcnt(0)
	v_fmac_f32_e32 v42, v44, v45
	s_andn2_b64 exec, exec, s[4:5]
	s_cbranch_execnz .LBB16_83
; %bb.84:
	s_or_b64 exec, exec, s[4:5]
.LBB16_85:
	s_or_b64 exec, exec, s[12:13]
	v_mov_b32_e32 v41, 0
	ds_read_b32 v41, v41 offset:28
	s_waitcnt lgkmcnt(0)
	v_mul_f32_e32 v41, v42, v41
	buffer_store_dword v41, off, s[0:3], 0 offset:28
.LBB16_86:
	s_or_b64 exec, exec, s[8:9]
	buffer_load_dword v41, off, s[0:3], 0 offset:24
	v_cmp_lt_u32_e64 s[4:5], 6, v0
	s_waitcnt vmcnt(0)
	ds_write_b32 v36, v41
	s_waitcnt lgkmcnt(0)
	; wave barrier
	s_waitcnt lgkmcnt(0)
	s_and_saveexec_b64 s[8:9], s[4:5]
	s_cbranch_execz .LBB16_96
; %bb.87:
	s_andn2_b64 vcc, exec, s[10:11]
	s_cbranch_vccnz .LBB16_89
; %bb.88:
	buffer_load_dword v41, v37, s[0:3], 0 offen
	ds_read_b32 v42, v36
	s_waitcnt vmcnt(0) lgkmcnt(0)
	v_mul_f32_e32 v41, v41, v42
	s_cbranch_execz .LBB16_90
	s_branch .LBB16_91
.LBB16_89:
                                        ; implicit-def: $vgpr41
.LBB16_90:
	ds_read_b32 v41, v36
.LBB16_91:
	s_and_saveexec_b64 s[12:13], s[6:7]
	s_cbranch_execz .LBB16_95
; %bb.92:
	v_mov_b32_e32 v42, 0
	v_add_u32_e32 v42, 28, v42
	v_add_u32_e32 v43, -7, v0
	s_movk_i32 s14, 0x6c
	s_mov_b64 s[6:7], 0
.LBB16_93:                              ; =>This Inner Loop Header: Depth=1
	buffer_load_dword v44, v42, s[0:3], 0 offen
	v_mov_b32_e32 v45, s14
	ds_read_b32 v45, v45
	v_add_u32_e32 v43, -1, v43
	s_add_i32 s14, s14, 4
	v_cmp_eq_u32_e32 vcc, 0, v43
	v_add_u32_e32 v42, 4, v42
	s_or_b64 s[6:7], vcc, s[6:7]
	s_waitcnt vmcnt(0) lgkmcnt(0)
	v_fmac_f32_e32 v41, v44, v45
	s_andn2_b64 exec, exec, s[6:7]
	s_cbranch_execnz .LBB16_93
; %bb.94:
	s_or_b64 exec, exec, s[6:7]
.LBB16_95:
	s_or_b64 exec, exec, s[12:13]
	v_mov_b32_e32 v42, 0
	ds_read_b32 v42, v42 offset:24
	s_waitcnt lgkmcnt(0)
	v_mul_f32_e32 v41, v41, v42
	buffer_store_dword v41, off, s[0:3], 0 offset:24
.LBB16_96:
	s_or_b64 exec, exec, s[8:9]
	buffer_load_dword v41, off, s[0:3], 0 offset:20
	v_cmp_lt_u32_e64 s[6:7], 5, v0
	s_waitcnt vmcnt(0)
	ds_write_b32 v36, v41
	s_waitcnt lgkmcnt(0)
	; wave barrier
	s_waitcnt lgkmcnt(0)
	s_and_saveexec_b64 s[8:9], s[6:7]
	s_cbranch_execz .LBB16_106
; %bb.97:
	s_andn2_b64 vcc, exec, s[10:11]
	s_cbranch_vccnz .LBB16_99
; %bb.98:
	buffer_load_dword v41, v37, s[0:3], 0 offen
	ds_read_b32 v42, v36
	s_waitcnt vmcnt(0) lgkmcnt(0)
	v_mul_f32_e32 v41, v41, v42
	s_cbranch_execz .LBB16_100
	s_branch .LBB16_101
.LBB16_99:
                                        ; implicit-def: $vgpr41
.LBB16_100:
	ds_read_b32 v41, v36
.LBB16_101:
	s_and_saveexec_b64 s[12:13], s[4:5]
	s_cbranch_execz .LBB16_105
; %bb.102:
	v_add_u32_e32 v42, -6, v0
	s_movk_i32 s14, 0x68
	s_mov_b64 s[4:5], 0
.LBB16_103:                             ; =>This Inner Loop Header: Depth=1
	buffer_load_dword v43, v40, s[0:3], 0 offen
	v_mov_b32_e32 v44, s14
	ds_read_b32 v44, v44
	v_add_u32_e32 v42, -1, v42
	s_add_i32 s14, s14, 4
	v_cmp_eq_u32_e32 vcc, 0, v42
	v_add_u32_e32 v40, 4, v40
	s_or_b64 s[4:5], vcc, s[4:5]
	s_waitcnt vmcnt(0) lgkmcnt(0)
	v_fmac_f32_e32 v41, v43, v44
	s_andn2_b64 exec, exec, s[4:5]
	s_cbranch_execnz .LBB16_103
; %bb.104:
	s_or_b64 exec, exec, s[4:5]
.LBB16_105:
	s_or_b64 exec, exec, s[12:13]
	v_mov_b32_e32 v40, 0
	ds_read_b32 v40, v40 offset:20
	s_waitcnt lgkmcnt(0)
	v_mul_f32_e32 v40, v41, v40
	buffer_store_dword v40, off, s[0:3], 0 offset:20
.LBB16_106:
	s_or_b64 exec, exec, s[8:9]
	buffer_load_dword v40, off, s[0:3], 0 offset:16
	v_cmp_lt_u32_e64 s[4:5], 4, v0
	s_waitcnt vmcnt(0)
	ds_write_b32 v36, v40
	s_waitcnt lgkmcnt(0)
	; wave barrier
	s_waitcnt lgkmcnt(0)
	s_and_saveexec_b64 s[8:9], s[4:5]
	s_cbranch_execz .LBB16_116
; %bb.107:
	s_andn2_b64 vcc, exec, s[10:11]
	s_cbranch_vccnz .LBB16_109
; %bb.108:
	buffer_load_dword v40, v37, s[0:3], 0 offen
	ds_read_b32 v41, v36
	s_waitcnt vmcnt(0) lgkmcnt(0)
	v_mul_f32_e32 v40, v40, v41
	s_cbranch_execz .LBB16_110
	s_branch .LBB16_111
.LBB16_109:
                                        ; implicit-def: $vgpr40
.LBB16_110:
	ds_read_b32 v40, v36
.LBB16_111:
	s_and_saveexec_b64 s[12:13], s[6:7]
	s_cbranch_execz .LBB16_115
; %bb.112:
	v_mov_b32_e32 v41, 0
	v_add_u32_e32 v41, 20, v41
	v_add_u32_e32 v42, -5, v0
	s_movk_i32 s14, 0x64
	s_mov_b64 s[6:7], 0
.LBB16_113:                             ; =>This Inner Loop Header: Depth=1
	buffer_load_dword v43, v41, s[0:3], 0 offen
	v_mov_b32_e32 v44, s14
	ds_read_b32 v44, v44
	v_add_u32_e32 v42, -1, v42
	s_add_i32 s14, s14, 4
	v_cmp_eq_u32_e32 vcc, 0, v42
	v_add_u32_e32 v41, 4, v41
	s_or_b64 s[6:7], vcc, s[6:7]
	s_waitcnt vmcnt(0) lgkmcnt(0)
	v_fmac_f32_e32 v40, v43, v44
	s_andn2_b64 exec, exec, s[6:7]
	s_cbranch_execnz .LBB16_113
; %bb.114:
	s_or_b64 exec, exec, s[6:7]
.LBB16_115:
	s_or_b64 exec, exec, s[12:13]
	v_mov_b32_e32 v41, 0
	ds_read_b32 v41, v41 offset:16
	s_waitcnt lgkmcnt(0)
	v_mul_f32_e32 v40, v40, v41
	buffer_store_dword v40, off, s[0:3], 0 offset:16
.LBB16_116:
	s_or_b64 exec, exec, s[8:9]
	buffer_load_dword v40, off, s[0:3], 0 offset:12
	v_cmp_lt_u32_e64 s[6:7], 3, v0
	s_waitcnt vmcnt(0)
	ds_write_b32 v36, v40
	s_waitcnt lgkmcnt(0)
	; wave barrier
	s_waitcnt lgkmcnt(0)
	s_and_saveexec_b64 s[8:9], s[6:7]
	s_cbranch_execz .LBB16_126
; %bb.117:
	s_andn2_b64 vcc, exec, s[10:11]
	s_cbranch_vccnz .LBB16_119
; %bb.118:
	buffer_load_dword v40, v37, s[0:3], 0 offen
	ds_read_b32 v41, v36
	s_waitcnt vmcnt(0) lgkmcnt(0)
	v_mul_f32_e32 v40, v40, v41
	s_cbranch_execz .LBB16_120
	s_branch .LBB16_121
.LBB16_119:
                                        ; implicit-def: $vgpr40
.LBB16_120:
	ds_read_b32 v40, v36
.LBB16_121:
	s_and_saveexec_b64 s[12:13], s[4:5]
	s_cbranch_execz .LBB16_125
; %bb.122:
	v_add_u32_e32 v41, -4, v0
	s_movk_i32 s14, 0x60
	s_mov_b64 s[4:5], 0
.LBB16_123:                             ; =>This Inner Loop Header: Depth=1
	buffer_load_dword v42, v39, s[0:3], 0 offen
	v_mov_b32_e32 v43, s14
	ds_read_b32 v43, v43
	v_add_u32_e32 v41, -1, v41
	s_add_i32 s14, s14, 4
	v_cmp_eq_u32_e32 vcc, 0, v41
	v_add_u32_e32 v39, 4, v39
	s_or_b64 s[4:5], vcc, s[4:5]
	s_waitcnt vmcnt(0) lgkmcnt(0)
	v_fmac_f32_e32 v40, v42, v43
	s_andn2_b64 exec, exec, s[4:5]
	s_cbranch_execnz .LBB16_123
; %bb.124:
	s_or_b64 exec, exec, s[4:5]
.LBB16_125:
	s_or_b64 exec, exec, s[12:13]
	v_mov_b32_e32 v39, 0
	ds_read_b32 v39, v39 offset:12
	s_waitcnt lgkmcnt(0)
	v_mul_f32_e32 v39, v40, v39
	buffer_store_dword v39, off, s[0:3], 0 offset:12
.LBB16_126:
	s_or_b64 exec, exec, s[8:9]
	buffer_load_dword v39, off, s[0:3], 0 offset:8
	v_cmp_lt_u32_e64 s[4:5], 2, v0
	s_waitcnt vmcnt(0)
	ds_write_b32 v36, v39
	s_waitcnt lgkmcnt(0)
	; wave barrier
	s_waitcnt lgkmcnt(0)
	s_and_saveexec_b64 s[8:9], s[4:5]
	s_cbranch_execz .LBB16_136
; %bb.127:
	s_andn2_b64 vcc, exec, s[10:11]
	s_cbranch_vccnz .LBB16_129
; %bb.128:
	buffer_load_dword v39, v37, s[0:3], 0 offen
	ds_read_b32 v40, v36
	s_waitcnt vmcnt(0) lgkmcnt(0)
	v_mul_f32_e32 v39, v39, v40
	s_cbranch_execz .LBB16_130
	s_branch .LBB16_131
.LBB16_129:
                                        ; implicit-def: $vgpr39
.LBB16_130:
	ds_read_b32 v39, v36
.LBB16_131:
	s_and_saveexec_b64 s[12:13], s[6:7]
	s_cbranch_execz .LBB16_135
; %bb.132:
	v_mov_b32_e32 v40, 0
	v_or_b32_e32 v40, 12, v40
	v_add_u32_e32 v41, -3, v0
	s_movk_i32 s14, 0x5c
	s_mov_b64 s[6:7], 0
.LBB16_133:                             ; =>This Inner Loop Header: Depth=1
	buffer_load_dword v42, v40, s[0:3], 0 offen
	v_mov_b32_e32 v43, s14
	ds_read_b32 v43, v43
	v_add_u32_e32 v41, -1, v41
	s_add_i32 s14, s14, 4
	v_cmp_eq_u32_e32 vcc, 0, v41
	v_add_u32_e32 v40, 4, v40
	s_or_b64 s[6:7], vcc, s[6:7]
	s_waitcnt vmcnt(0) lgkmcnt(0)
	v_fmac_f32_e32 v39, v42, v43
	s_andn2_b64 exec, exec, s[6:7]
	s_cbranch_execnz .LBB16_133
; %bb.134:
	s_or_b64 exec, exec, s[6:7]
.LBB16_135:
	s_or_b64 exec, exec, s[12:13]
	v_mov_b32_e32 v40, 0
	ds_read_b32 v40, v40 offset:8
	s_waitcnt lgkmcnt(0)
	v_mul_f32_e32 v39, v39, v40
	buffer_store_dword v39, off, s[0:3], 0 offset:8
.LBB16_136:
	s_or_b64 exec, exec, s[8:9]
	buffer_load_dword v39, off, s[0:3], 0 offset:4
	v_cmp_lt_u32_e64 s[6:7], 1, v0
	s_waitcnt vmcnt(0)
	ds_write_b32 v36, v39
	s_waitcnt lgkmcnt(0)
	; wave barrier
	s_waitcnt lgkmcnt(0)
	s_and_saveexec_b64 s[8:9], s[6:7]
	s_cbranch_execz .LBB16_146
; %bb.137:
	s_andn2_b64 vcc, exec, s[10:11]
	s_cbranch_vccnz .LBB16_139
; %bb.138:
	buffer_load_dword v39, v37, s[0:3], 0 offen
	ds_read_b32 v40, v36
	s_waitcnt vmcnt(0) lgkmcnt(0)
	v_mul_f32_e32 v39, v39, v40
	s_cbranch_execz .LBB16_140
	s_branch .LBB16_141
.LBB16_139:
                                        ; implicit-def: $vgpr39
.LBB16_140:
	ds_read_b32 v39, v36
.LBB16_141:
	s_and_saveexec_b64 s[12:13], s[4:5]
	s_cbranch_execz .LBB16_145
; %bb.142:
	v_add_u32_e32 v40, -2, v0
	s_movk_i32 s14, 0x58
	s_mov_b64 s[4:5], 0
.LBB16_143:                             ; =>This Inner Loop Header: Depth=1
	buffer_load_dword v41, v38, s[0:3], 0 offen
	v_mov_b32_e32 v42, s14
	ds_read_b32 v42, v42
	v_add_u32_e32 v40, -1, v40
	s_add_i32 s14, s14, 4
	v_cmp_eq_u32_e32 vcc, 0, v40
	v_add_u32_e32 v38, 4, v38
	s_or_b64 s[4:5], vcc, s[4:5]
	s_waitcnt vmcnt(0) lgkmcnt(0)
	v_fmac_f32_e32 v39, v41, v42
	s_andn2_b64 exec, exec, s[4:5]
	s_cbranch_execnz .LBB16_143
; %bb.144:
	s_or_b64 exec, exec, s[4:5]
.LBB16_145:
	s_or_b64 exec, exec, s[12:13]
	v_mov_b32_e32 v38, 0
	ds_read_b32 v38, v38 offset:4
	s_waitcnt lgkmcnt(0)
	v_mul_f32_e32 v38, v39, v38
	buffer_store_dword v38, off, s[0:3], 0 offset:4
.LBB16_146:
	s_or_b64 exec, exec, s[8:9]
	buffer_load_dword v38, off, s[0:3], 0
	v_cmp_ne_u32_e32 vcc, 0, v0
	s_waitcnt vmcnt(0)
	ds_write_b32 v36, v38
	s_waitcnt lgkmcnt(0)
	; wave barrier
	s_waitcnt lgkmcnt(0)
	s_and_saveexec_b64 s[4:5], vcc
	s_cbranch_execz .LBB16_156
; %bb.147:
	s_andn2_b64 vcc, exec, s[10:11]
	s_cbranch_vccnz .LBB16_149
; %bb.148:
	buffer_load_dword v38, v37, s[0:3], 0 offen
	ds_read_b32 v39, v36
	s_waitcnt vmcnt(0) lgkmcnt(0)
	v_mul_f32_e32 v38, v38, v39
	s_cbranch_execz .LBB16_150
	s_branch .LBB16_151
.LBB16_149:
                                        ; implicit-def: $vgpr38
.LBB16_150:
	ds_read_b32 v38, v36
.LBB16_151:
	s_and_saveexec_b64 s[8:9], s[6:7]
	s_cbranch_execz .LBB16_155
; %bb.152:
	v_mov_b32_e32 v39, 0
	v_or_b32_e32 v39, 4, v39
	v_add_u32_e32 v40, -1, v0
	s_movk_i32 s12, 0x54
	s_mov_b64 s[6:7], 0
.LBB16_153:                             ; =>This Inner Loop Header: Depth=1
	buffer_load_dword v41, v39, s[0:3], 0 offen
	v_mov_b32_e32 v42, s12
	ds_read_b32 v42, v42
	v_add_u32_e32 v40, -1, v40
	s_add_i32 s12, s12, 4
	v_cmp_eq_u32_e32 vcc, 0, v40
	v_add_u32_e32 v39, 4, v39
	s_or_b64 s[6:7], vcc, s[6:7]
	s_waitcnt vmcnt(0) lgkmcnt(0)
	v_fmac_f32_e32 v38, v41, v42
	s_andn2_b64 exec, exec, s[6:7]
	s_cbranch_execnz .LBB16_153
; %bb.154:
	s_or_b64 exec, exec, s[6:7]
.LBB16_155:
	s_or_b64 exec, exec, s[8:9]
	v_mov_b32_e32 v39, 0
	ds_read_b32 v39, v39
	s_waitcnt lgkmcnt(0)
	v_mul_f32_e32 v38, v38, v39
	buffer_store_dword v38, off, s[0:3], 0
.LBB16_156:
	s_or_b64 exec, exec, s[4:5]
	s_mov_b64 s[4:5], 0
.LBB16_157:
	s_and_b64 vcc, exec, s[4:5]
	s_cbranch_vccz .LBB16_311
; %bb.158:
	buffer_load_dword v38, off, s[0:3], 0 offset:4
	v_cmp_eq_u32_e64 s[6:7], 0, v0
	s_waitcnt vmcnt(0)
	ds_write_b32 v36, v38
	s_waitcnt lgkmcnt(0)
	; wave barrier
	s_waitcnt lgkmcnt(0)
	s_and_saveexec_b64 s[4:5], s[6:7]
	s_cbranch_execz .LBB16_164
; %bb.159:
	s_and_b64 vcc, exec, s[10:11]
	s_cbranch_vccz .LBB16_161
; %bb.160:
	buffer_load_dword v38, v37, s[0:3], 0 offen
	ds_read_b32 v39, v36
	s_waitcnt vmcnt(0) lgkmcnt(0)
	v_mul_f32_e32 v38, v38, v39
	s_cbranch_execz .LBB16_162
	s_branch .LBB16_163
.LBB16_161:
                                        ; implicit-def: $vgpr38
.LBB16_162:
	ds_read_b32 v38, v36
.LBB16_163:
	v_mov_b32_e32 v39, 0
	ds_read_b32 v39, v39 offset:4
	s_waitcnt lgkmcnt(0)
	v_mul_f32_e32 v38, v38, v39
	buffer_store_dword v38, off, s[0:3], 0 offset:4
.LBB16_164:
	s_or_b64 exec, exec, s[4:5]
	buffer_load_dword v38, off, s[0:3], 0 offset:8
	v_cndmask_b32_e64 v39, 0, 1, s[10:11]
	v_cmp_gt_u32_e32 vcc, 2, v0
	v_cmp_ne_u32_e64 s[4:5], 1, v39
	s_waitcnt vmcnt(0)
	ds_write_b32 v36, v38
	s_waitcnt lgkmcnt(0)
	; wave barrier
	s_waitcnt lgkmcnt(0)
	s_and_saveexec_b64 s[8:9], vcc
	s_cbranch_execz .LBB16_172
; %bb.165:
	s_and_b64 vcc, exec, s[4:5]
	s_cbranch_vccnz .LBB16_167
; %bb.166:
	buffer_load_dword v38, v37, s[0:3], 0 offen
	ds_read_b32 v39, v36
	s_waitcnt vmcnt(0) lgkmcnt(0)
	v_mul_f32_e32 v38, v38, v39
	s_cbranch_execz .LBB16_168
	s_branch .LBB16_169
.LBB16_167:
                                        ; implicit-def: $vgpr38
.LBB16_168:
	ds_read_b32 v38, v36
.LBB16_169:
	s_and_saveexec_b64 s[10:11], s[6:7]
	s_cbranch_execz .LBB16_171
; %bb.170:
	buffer_load_dword v39, v37, s[0:3], 0 offen offset:4
	ds_read_b32 v40, v36 offset:4
	s_waitcnt vmcnt(0) lgkmcnt(0)
	v_fmac_f32_e32 v38, v39, v40
.LBB16_171:
	s_or_b64 exec, exec, s[10:11]
	v_mov_b32_e32 v39, 0
	ds_read_b32 v39, v39 offset:8
	s_waitcnt lgkmcnt(0)
	v_mul_f32_e32 v38, v38, v39
	buffer_store_dword v38, off, s[0:3], 0 offset:8
.LBB16_172:
	s_or_b64 exec, exec, s[8:9]
	buffer_load_dword v38, off, s[0:3], 0 offset:12
	v_cmp_gt_u32_e32 vcc, 3, v0
	s_waitcnt vmcnt(0)
	ds_write_b32 v36, v38
	s_waitcnt lgkmcnt(0)
	; wave barrier
	s_waitcnt lgkmcnt(0)
	s_and_saveexec_b64 s[8:9], vcc
	s_cbranch_execz .LBB16_180
; %bb.173:
	s_and_b64 vcc, exec, s[4:5]
	s_cbranch_vccnz .LBB16_175
; %bb.174:
	buffer_load_dword v38, v37, s[0:3], 0 offen
	ds_read_b32 v39, v36
	s_waitcnt vmcnt(0) lgkmcnt(0)
	v_mul_f32_e32 v38, v38, v39
	s_cbranch_execz .LBB16_176
	s_branch .LBB16_177
.LBB16_175:
                                        ; implicit-def: $vgpr38
.LBB16_176:
	ds_read_b32 v38, v36
.LBB16_177:
	v_cmp_ne_u32_e32 vcc, 2, v0
	s_and_saveexec_b64 s[10:11], vcc
	s_cbranch_execz .LBB16_179
; %bb.178:
	buffer_load_dword v39, v37, s[0:3], 0 offen offset:4
	buffer_load_dword v40, off, s[0:3], 0 offset:8
	v_mov_b32_e32 v41, 0
	ds_read_b32 v42, v36 offset:4
	ds_read_b32 v41, v41 offset:88
	s_waitcnt vmcnt(1) lgkmcnt(1)
	v_fmac_f32_e32 v38, v39, v42
	s_waitcnt vmcnt(0) lgkmcnt(0)
	v_fma_f32 v39, v40, v41, v38
	v_cndmask_b32_e64 v38, v38, v39, s[6:7]
.LBB16_179:
	s_or_b64 exec, exec, s[10:11]
	v_mov_b32_e32 v39, 0
	ds_read_b32 v39, v39 offset:12
	s_waitcnt lgkmcnt(0)
	v_mul_f32_e32 v38, v38, v39
	buffer_store_dword v38, off, s[0:3], 0 offset:12
.LBB16_180:
	s_or_b64 exec, exec, s[8:9]
	buffer_load_dword v38, off, s[0:3], 0 offset:16
	v_cmp_gt_u32_e32 vcc, 4, v0
	s_waitcnt vmcnt(0)
	ds_write_b32 v36, v38
	s_waitcnt lgkmcnt(0)
	; wave barrier
	s_waitcnt lgkmcnt(0)
	s_and_saveexec_b64 s[6:7], vcc
	s_cbranch_execz .LBB16_190
; %bb.181:
	s_and_b64 vcc, exec, s[4:5]
	s_cbranch_vccnz .LBB16_183
; %bb.182:
	buffer_load_dword v38, v37, s[0:3], 0 offen
	ds_read_b32 v39, v36
	s_waitcnt vmcnt(0) lgkmcnt(0)
	v_mul_f32_e32 v38, v38, v39
	s_cbranch_execz .LBB16_184
	s_branch .LBB16_185
.LBB16_183:
                                        ; implicit-def: $vgpr38
.LBB16_184:
	ds_read_b32 v38, v36
.LBB16_185:
	v_cmp_ne_u32_e32 vcc, 3, v0
	s_and_saveexec_b64 s[8:9], vcc
	s_cbranch_execz .LBB16_189
; %bb.186:
	v_mov_b32_e32 v40, 0
	v_add_u32_e32 v39, 0x54, v1
	v_add3_u32 v40, v1, v40, 4
	s_mov_b64 s[10:11], 0
	v_mov_b32_e32 v41, v0
.LBB16_187:                             ; =>This Inner Loop Header: Depth=1
	buffer_load_dword v42, v40, s[0:3], 0 offen
	ds_read_b32 v43, v39
	v_add_u32_e32 v41, 1, v41
	v_cmp_lt_u32_e32 vcc, 2, v41
	v_add_u32_e32 v39, 4, v39
	v_add_u32_e32 v40, 4, v40
	s_or_b64 s[10:11], vcc, s[10:11]
	s_waitcnt vmcnt(0) lgkmcnt(0)
	v_fmac_f32_e32 v38, v42, v43
	s_andn2_b64 exec, exec, s[10:11]
	s_cbranch_execnz .LBB16_187
; %bb.188:
	s_or_b64 exec, exec, s[10:11]
.LBB16_189:
	s_or_b64 exec, exec, s[8:9]
	v_mov_b32_e32 v39, 0
	ds_read_b32 v39, v39 offset:16
	s_waitcnt lgkmcnt(0)
	v_mul_f32_e32 v38, v38, v39
	buffer_store_dword v38, off, s[0:3], 0 offset:16
.LBB16_190:
	s_or_b64 exec, exec, s[6:7]
	buffer_load_dword v38, off, s[0:3], 0 offset:20
	v_cmp_gt_u32_e32 vcc, 5, v0
	s_waitcnt vmcnt(0)
	ds_write_b32 v36, v38
	s_waitcnt lgkmcnt(0)
	; wave barrier
	s_waitcnt lgkmcnt(0)
	s_and_saveexec_b64 s[6:7], vcc
	s_cbranch_execz .LBB16_200
; %bb.191:
	s_and_b64 vcc, exec, s[4:5]
	s_cbranch_vccnz .LBB16_193
; %bb.192:
	buffer_load_dword v38, v37, s[0:3], 0 offen
	ds_read_b32 v39, v36
	s_waitcnt vmcnt(0) lgkmcnt(0)
	v_mul_f32_e32 v38, v38, v39
	s_cbranch_execz .LBB16_194
	s_branch .LBB16_195
.LBB16_193:
                                        ; implicit-def: $vgpr38
.LBB16_194:
	ds_read_b32 v38, v36
.LBB16_195:
	v_cmp_ne_u32_e32 vcc, 4, v0
	s_and_saveexec_b64 s[8:9], vcc
	s_cbranch_execz .LBB16_199
; %bb.196:
	v_mov_b32_e32 v40, 0
	v_add_u32_e32 v39, 0x54, v1
	v_add3_u32 v40, v1, v40, 4
	s_mov_b64 s[10:11], 0
	v_mov_b32_e32 v41, v0
.LBB16_197:                             ; =>This Inner Loop Header: Depth=1
	buffer_load_dword v42, v40, s[0:3], 0 offen
	ds_read_b32 v43, v39
	v_add_u32_e32 v41, 1, v41
	v_cmp_lt_u32_e32 vcc, 3, v41
	v_add_u32_e32 v39, 4, v39
	v_add_u32_e32 v40, 4, v40
	s_or_b64 s[10:11], vcc, s[10:11]
	s_waitcnt vmcnt(0) lgkmcnt(0)
	v_fmac_f32_e32 v38, v42, v43
	s_andn2_b64 exec, exec, s[10:11]
	s_cbranch_execnz .LBB16_197
; %bb.198:
	s_or_b64 exec, exec, s[10:11]
.LBB16_199:
	s_or_b64 exec, exec, s[8:9]
	v_mov_b32_e32 v39, 0
	ds_read_b32 v39, v39 offset:20
	s_waitcnt lgkmcnt(0)
	v_mul_f32_e32 v38, v38, v39
	buffer_store_dword v38, off, s[0:3], 0 offset:20
.LBB16_200:
	;; [unrolled: 56-line block ×11, first 2 shown]
	s_or_b64 exec, exec, s[6:7]
	buffer_load_dword v38, off, s[0:3], 0 offset:60
	v_cmp_gt_u32_e64 s[6:7], 15, v0
	s_waitcnt vmcnt(0)
	ds_write_b32 v36, v38
	s_waitcnt lgkmcnt(0)
	; wave barrier
	s_waitcnt lgkmcnt(0)
	s_and_saveexec_b64 s[8:9], s[6:7]
	s_cbranch_execz .LBB16_300
; %bb.291:
	s_and_b64 vcc, exec, s[4:5]
	s_cbranch_vccnz .LBB16_293
; %bb.292:
	buffer_load_dword v38, v37, s[0:3], 0 offen
	ds_read_b32 v39, v36
	s_waitcnt vmcnt(0) lgkmcnt(0)
	v_mul_f32_e32 v38, v38, v39
	s_cbranch_execz .LBB16_294
	s_branch .LBB16_295
.LBB16_293:
                                        ; implicit-def: $vgpr38
.LBB16_294:
	ds_read_b32 v38, v36
.LBB16_295:
	v_cmp_ne_u32_e32 vcc, 14, v0
	s_and_saveexec_b64 s[10:11], vcc
	s_cbranch_execz .LBB16_299
; %bb.296:
	v_mov_b32_e32 v40, 0
	v_add_u32_e32 v39, 0x54, v1
	v_add3_u32 v40, v1, v40, 4
	s_mov_b64 s[12:13], 0
	v_mov_b32_e32 v41, v0
.LBB16_297:                             ; =>This Inner Loop Header: Depth=1
	buffer_load_dword v42, v40, s[0:3], 0 offen
	ds_read_b32 v43, v39
	v_add_u32_e32 v41, 1, v41
	v_cmp_lt_u32_e32 vcc, 13, v41
	v_add_u32_e32 v39, 4, v39
	v_add_u32_e32 v40, 4, v40
	s_or_b64 s[12:13], vcc, s[12:13]
	s_waitcnt vmcnt(0) lgkmcnt(0)
	v_fmac_f32_e32 v38, v42, v43
	s_andn2_b64 exec, exec, s[12:13]
	s_cbranch_execnz .LBB16_297
; %bb.298:
	s_or_b64 exec, exec, s[12:13]
.LBB16_299:
	s_or_b64 exec, exec, s[10:11]
	v_mov_b32_e32 v39, 0
	ds_read_b32 v39, v39 offset:60
	s_waitcnt lgkmcnt(0)
	v_mul_f32_e32 v38, v38, v39
	buffer_store_dword v38, off, s[0:3], 0 offset:60
.LBB16_300:
	s_or_b64 exec, exec, s[8:9]
	buffer_load_dword v38, off, s[0:3], 0 offset:64
	v_cmp_ne_u32_e32 vcc, 16, v0
	s_waitcnt vmcnt(0)
	ds_write_b32 v36, v38
	s_waitcnt lgkmcnt(0)
	; wave barrier
	s_waitcnt lgkmcnt(0)
	s_and_saveexec_b64 s[8:9], vcc
	s_cbranch_execz .LBB16_310
; %bb.301:
	s_and_b64 vcc, exec, s[4:5]
	s_cbranch_vccnz .LBB16_303
; %bb.302:
	buffer_load_dword v37, v37, s[0:3], 0 offen
	ds_read_b32 v38, v36
	s_waitcnt vmcnt(0) lgkmcnt(0)
	v_mul_f32_e32 v37, v37, v38
	s_cbranch_execz .LBB16_304
	s_branch .LBB16_305
.LBB16_303:
                                        ; implicit-def: $vgpr37
.LBB16_304:
	ds_read_b32 v37, v36
.LBB16_305:
	s_and_saveexec_b64 s[4:5], s[6:7]
	s_cbranch_execz .LBB16_309
; %bb.306:
	v_mov_b32_e32 v38, 0
	v_add_u32_e32 v36, 0x54, v1
	v_add3_u32 v1, v1, v38, 4
	s_mov_b64 s[6:7], 0
.LBB16_307:                             ; =>This Inner Loop Header: Depth=1
	buffer_load_dword v38, v1, s[0:3], 0 offen
	ds_read_b32 v39, v36
	v_add_u32_e32 v0, 1, v0
	v_cmp_lt_u32_e32 vcc, 14, v0
	v_add_u32_e32 v36, 4, v36
	v_add_u32_e32 v1, 4, v1
	s_or_b64 s[6:7], vcc, s[6:7]
	s_waitcnt vmcnt(0) lgkmcnt(0)
	v_fmac_f32_e32 v37, v38, v39
	s_andn2_b64 exec, exec, s[6:7]
	s_cbranch_execnz .LBB16_307
; %bb.308:
	s_or_b64 exec, exec, s[6:7]
.LBB16_309:
	s_or_b64 exec, exec, s[4:5]
	v_mov_b32_e32 v0, 0
	ds_read_b32 v0, v0 offset:64
	s_waitcnt lgkmcnt(0)
	v_mul_f32_e32 v0, v37, v0
	buffer_store_dword v0, off, s[0:3], 0 offset:64
.LBB16_310:
	s_or_b64 exec, exec, s[8:9]
.LBB16_311:
	buffer_load_dword v0, off, s[0:3], 0
	buffer_load_dword v1, off, s[0:3], 0 offset:4
	buffer_load_dword v36, off, s[0:3], 0 offset:8
	;; [unrolled: 1-line block ×16, first 2 shown]
	s_waitcnt vmcnt(16)
	global_store_dword v[2:3], v0, off
	s_waitcnt vmcnt(16)
	global_store_dword v[4:5], v1, off
	;; [unrolled: 2-line block ×17, first 2 shown]
.LBB16_312:
	s_endpgm
	.section	.rodata,"a",@progbits
	.p2align	6, 0x0
	.amdhsa_kernel _ZN9rocsolver6v33100L18trti2_kernel_smallILi17EfPfEEv13rocblas_fill_17rocblas_diagonal_T1_iil
		.amdhsa_group_segment_fixed_size 148
		.amdhsa_private_segment_fixed_size 80
		.amdhsa_kernarg_size 32
		.amdhsa_user_sgpr_count 8
		.amdhsa_user_sgpr_private_segment_buffer 1
		.amdhsa_user_sgpr_dispatch_ptr 0
		.amdhsa_user_sgpr_queue_ptr 0
		.amdhsa_user_sgpr_kernarg_segment_ptr 1
		.amdhsa_user_sgpr_dispatch_id 0
		.amdhsa_user_sgpr_flat_scratch_init 1
		.amdhsa_user_sgpr_kernarg_preload_length 0
		.amdhsa_user_sgpr_kernarg_preload_offset 0
		.amdhsa_user_sgpr_private_segment_size 0
		.amdhsa_uses_dynamic_stack 0
		.amdhsa_system_sgpr_private_segment_wavefront_offset 1
		.amdhsa_system_sgpr_workgroup_id_x 1
		.amdhsa_system_sgpr_workgroup_id_y 0
		.amdhsa_system_sgpr_workgroup_id_z 0
		.amdhsa_system_sgpr_workgroup_info 0
		.amdhsa_system_vgpr_workitem_id 0
		.amdhsa_next_free_vgpr 54
		.amdhsa_next_free_sgpr 20
		.amdhsa_accum_offset 56
		.amdhsa_reserve_vcc 1
		.amdhsa_reserve_flat_scratch 0
		.amdhsa_float_round_mode_32 0
		.amdhsa_float_round_mode_16_64 0
		.amdhsa_float_denorm_mode_32 3
		.amdhsa_float_denorm_mode_16_64 3
		.amdhsa_dx10_clamp 1
		.amdhsa_ieee_mode 1
		.amdhsa_fp16_overflow 0
		.amdhsa_tg_split 0
		.amdhsa_exception_fp_ieee_invalid_op 0
		.amdhsa_exception_fp_denorm_src 0
		.amdhsa_exception_fp_ieee_div_zero 0
		.amdhsa_exception_fp_ieee_overflow 0
		.amdhsa_exception_fp_ieee_underflow 0
		.amdhsa_exception_fp_ieee_inexact 0
		.amdhsa_exception_int_div_zero 0
	.end_amdhsa_kernel
	.section	.text._ZN9rocsolver6v33100L18trti2_kernel_smallILi17EfPfEEv13rocblas_fill_17rocblas_diagonal_T1_iil,"axG",@progbits,_ZN9rocsolver6v33100L18trti2_kernel_smallILi17EfPfEEv13rocblas_fill_17rocblas_diagonal_T1_iil,comdat
.Lfunc_end16:
	.size	_ZN9rocsolver6v33100L18trti2_kernel_smallILi17EfPfEEv13rocblas_fill_17rocblas_diagonal_T1_iil, .Lfunc_end16-_ZN9rocsolver6v33100L18trti2_kernel_smallILi17EfPfEEv13rocblas_fill_17rocblas_diagonal_T1_iil
                                        ; -- End function
	.section	.AMDGPU.csdata,"",@progbits
; Kernel info:
; codeLenInByte = 8024
; NumSgprs: 24
; NumVgprs: 54
; NumAgprs: 0
; TotalNumVgprs: 54
; ScratchSize: 80
; MemoryBound: 0
; FloatMode: 240
; IeeeMode: 1
; LDSByteSize: 148 bytes/workgroup (compile time only)
; SGPRBlocks: 2
; VGPRBlocks: 6
; NumSGPRsForWavesPerEU: 24
; NumVGPRsForWavesPerEU: 54
; AccumOffset: 56
; Occupancy: 8
; WaveLimiterHint : 0
; COMPUTE_PGM_RSRC2:SCRATCH_EN: 1
; COMPUTE_PGM_RSRC2:USER_SGPR: 8
; COMPUTE_PGM_RSRC2:TRAP_HANDLER: 0
; COMPUTE_PGM_RSRC2:TGID_X_EN: 1
; COMPUTE_PGM_RSRC2:TGID_Y_EN: 0
; COMPUTE_PGM_RSRC2:TGID_Z_EN: 0
; COMPUTE_PGM_RSRC2:TIDIG_COMP_CNT: 0
; COMPUTE_PGM_RSRC3_GFX90A:ACCUM_OFFSET: 13
; COMPUTE_PGM_RSRC3_GFX90A:TG_SPLIT: 0
	.section	.text._ZN9rocsolver6v33100L18trti2_kernel_smallILi18EfPfEEv13rocblas_fill_17rocblas_diagonal_T1_iil,"axG",@progbits,_ZN9rocsolver6v33100L18trti2_kernel_smallILi18EfPfEEv13rocblas_fill_17rocblas_diagonal_T1_iil,comdat
	.globl	_ZN9rocsolver6v33100L18trti2_kernel_smallILi18EfPfEEv13rocblas_fill_17rocblas_diagonal_T1_iil ; -- Begin function _ZN9rocsolver6v33100L18trti2_kernel_smallILi18EfPfEEv13rocblas_fill_17rocblas_diagonal_T1_iil
	.p2align	8
	.type	_ZN9rocsolver6v33100L18trti2_kernel_smallILi18EfPfEEv13rocblas_fill_17rocblas_diagonal_T1_iil,@function
_ZN9rocsolver6v33100L18trti2_kernel_smallILi18EfPfEEv13rocblas_fill_17rocblas_diagonal_T1_iil: ; @_ZN9rocsolver6v33100L18trti2_kernel_smallILi18EfPfEEv13rocblas_fill_17rocblas_diagonal_T1_iil
; %bb.0:
	s_add_u32 s0, s0, s9
	s_addc_u32 s1, s1, 0
	v_cmp_gt_u32_e32 vcc, 18, v0
	s_and_saveexec_b64 s[6:7], vcc
	s_cbranch_execz .LBB17_332
; %bb.1:
	s_load_dwordx8 s[12:19], s[4:5], 0x0
	s_ashr_i32 s6, s8, 31
	v_lshlrev_b32_e32 v1, 2, v0
	s_waitcnt lgkmcnt(0)
	s_mul_i32 s7, s8, s19
	s_mul_hi_u32 s9, s8, s18
	s_add_i32 s7, s9, s7
	s_mul_i32 s6, s6, s18
	s_add_i32 s7, s7, s6
	s_mul_i32 s6, s8, s18
	s_ashr_i32 s5, s16, 31
	s_lshl_b64 s[6:7], s[6:7], 2
	s_mov_b32 s4, s16
	s_add_u32 s6, s14, s6
	s_addc_u32 s7, s15, s7
	s_lshl_b64 s[4:5], s[4:5], 2
	s_add_u32 s4, s6, s4
	s_addc_u32 s5, s7, s5
	v_mov_b32_e32 v3, s5
	v_add_co_u32_e32 v2, vcc, s4, v1
	s_ashr_i32 s7, s17, 31
	s_mov_b32 s6, s17
	v_addc_co_u32_e32 v3, vcc, 0, v3, vcc
	s_lshl_b64 s[6:7], s[6:7], 2
	v_add_co_u32_e32 v4, vcc, s6, v2
	s_add_i32 s6, s17, s17
	v_add_u32_e32 v8, s6, v0
	v_mov_b32_e32 v5, s7
	v_ashrrev_i32_e32 v9, 31, v8
	v_addc_co_u32_e32 v5, vcc, v3, v5, vcc
	v_lshlrev_b64 v[6:7], 2, v[8:9]
	v_add_u32_e32 v10, s17, v8
	v_mov_b32_e32 v9, s5
	v_add_co_u32_e32 v6, vcc, s4, v6
	v_ashrrev_i32_e32 v11, 31, v10
	v_addc_co_u32_e32 v7, vcc, v9, v7, vcc
	v_lshlrev_b64 v[8:9], 2, v[10:11]
	v_add_u32_e32 v12, s17, v10
	v_mov_b32_e32 v11, s5
	v_add_co_u32_e32 v8, vcc, s4, v8
	v_ashrrev_i32_e32 v13, 31, v12
	v_addc_co_u32_e32 v9, vcc, v11, v9, vcc
	v_lshlrev_b64 v[10:11], 2, v[12:13]
	v_add_u32_e32 v14, s17, v12
	v_mov_b32_e32 v13, s5
	v_add_co_u32_e32 v10, vcc, s4, v10
	v_ashrrev_i32_e32 v15, 31, v14
	v_addc_co_u32_e32 v11, vcc, v13, v11, vcc
	v_lshlrev_b64 v[12:13], 2, v[14:15]
	v_add_u32_e32 v16, s17, v14
	v_mov_b32_e32 v15, s5
	v_add_co_u32_e32 v12, vcc, s4, v12
	v_ashrrev_i32_e32 v17, 31, v16
	v_addc_co_u32_e32 v13, vcc, v15, v13, vcc
	v_lshlrev_b64 v[14:15], 2, v[16:17]
	v_add_u32_e32 v18, s17, v16
	v_mov_b32_e32 v17, s5
	v_add_co_u32_e32 v14, vcc, s4, v14
	v_ashrrev_i32_e32 v19, 31, v18
	v_addc_co_u32_e32 v15, vcc, v17, v15, vcc
	v_lshlrev_b64 v[16:17], 2, v[18:19]
	v_add_u32_e32 v20, s17, v18
	v_mov_b32_e32 v19, s5
	v_add_co_u32_e32 v16, vcc, s4, v16
	v_ashrrev_i32_e32 v21, 31, v20
	v_addc_co_u32_e32 v17, vcc, v19, v17, vcc
	v_lshlrev_b64 v[18:19], 2, v[20:21]
	v_add_u32_e32 v22, s17, v20
	v_mov_b32_e32 v21, s5
	v_add_co_u32_e32 v18, vcc, s4, v18
	v_ashrrev_i32_e32 v23, 31, v22
	v_addc_co_u32_e32 v19, vcc, v21, v19, vcc
	v_lshlrev_b64 v[20:21], 2, v[22:23]
	v_add_u32_e32 v24, s17, v22
	v_mov_b32_e32 v23, s5
	v_add_co_u32_e32 v20, vcc, s4, v20
	v_ashrrev_i32_e32 v25, 31, v24
	v_addc_co_u32_e32 v21, vcc, v23, v21, vcc
	v_lshlrev_b64 v[22:23], 2, v[24:25]
	v_add_u32_e32 v26, s17, v24
	v_mov_b32_e32 v25, s5
	v_add_co_u32_e32 v22, vcc, s4, v22
	v_ashrrev_i32_e32 v27, 31, v26
	v_addc_co_u32_e32 v23, vcc, v25, v23, vcc
	v_lshlrev_b64 v[24:25], 2, v[26:27]
	v_add_u32_e32 v28, s17, v26
	v_mov_b32_e32 v27, s5
	v_add_co_u32_e32 v24, vcc, s4, v24
	v_ashrrev_i32_e32 v29, 31, v28
	v_addc_co_u32_e32 v25, vcc, v27, v25, vcc
	v_lshlrev_b64 v[26:27], 2, v[28:29]
	v_add_u32_e32 v30, s17, v28
	v_mov_b32_e32 v29, s5
	v_add_co_u32_e32 v26, vcc, s4, v26
	v_ashrrev_i32_e32 v31, 31, v30
	v_addc_co_u32_e32 v27, vcc, v29, v27, vcc
	v_lshlrev_b64 v[28:29], 2, v[30:31]
	v_add_u32_e32 v32, s17, v30
	v_mov_b32_e32 v31, s5
	v_add_co_u32_e32 v28, vcc, s4, v28
	v_ashrrev_i32_e32 v33, 31, v32
	v_addc_co_u32_e32 v29, vcc, v31, v29, vcc
	v_lshlrev_b64 v[30:31], 2, v[32:33]
	v_add_u32_e32 v34, s17, v32
	v_mov_b32_e32 v33, s5
	v_add_co_u32_e32 v30, vcc, s4, v30
	v_ashrrev_i32_e32 v35, 31, v34
	v_addc_co_u32_e32 v31, vcc, v33, v31, vcc
	v_lshlrev_b64 v[32:33], 2, v[34:35]
	v_add_u32_e32 v36, s17, v34
	v_mov_b32_e32 v35, s5
	v_add_co_u32_e32 v32, vcc, s4, v32
	v_ashrrev_i32_e32 v37, 31, v36
	v_addc_co_u32_e32 v33, vcc, v35, v33, vcc
	v_lshlrev_b64 v[34:35], 2, v[36:37]
	global_load_dword v38, v1, s[4:5]
	v_mov_b32_e32 v37, s5
	v_add_co_u32_e32 v34, vcc, s4, v34
	global_load_dword v39, v[4:5], off
	global_load_dword v40, v[6:7], off
	;; [unrolled: 1-line block ×8, first 2 shown]
	v_addc_co_u32_e32 v35, vcc, v37, v35, vcc
	global_load_dword v48, v[20:21], off
	global_load_dword v49, v[22:23], off
	;; [unrolled: 1-line block ×8, first 2 shown]
	v_add_u32_e32 v36, s17, v36
	v_ashrrev_i32_e32 v37, 31, v36
	v_lshlrev_b64 v[36:37], 2, v[36:37]
	v_mov_b32_e32 v46, s5
	v_add_co_u32_e32 v36, vcc, s4, v36
	v_addc_co_u32_e32 v37, vcc, v46, v37, vcc
	global_load_dword v56, v[36:37], off
	s_cmpk_lg_i32 s13, 0x84
	s_waitcnt vmcnt(17)
	buffer_store_dword v38, off, s[0:3], 0
	s_waitcnt vmcnt(17)
	buffer_store_dword v39, off, s[0:3], 0 offset:4
	v_mov_b32_e32 v46, 0
	s_cselect_b64 s[8:9], -1, 0
	s_cmpk_eq_i32 s13, 0x84
	v_mov_b32_e32 v38, -1.0
	s_waitcnt vmcnt(16)
	buffer_store_dword v41, off, s[0:3], 0 offset:12
	buffer_store_dword v40, off, s[0:3], 0 offset:8
	s_waitcnt vmcnt(17)
	buffer_store_dword v42, off, s[0:3], 0 offset:16
	s_waitcnt vmcnt(17)
	;; [unrolled: 2-line block ×7, first 2 shown]
	buffer_store_dword v50, off, s[0:3], 0 offset:44
	buffer_store_dword v49, off, s[0:3], 0 offset:40
	s_waitcnt vmcnt(17)
	buffer_store_dword v51, off, s[0:3], 0 offset:48
	s_waitcnt vmcnt(17)
	;; [unrolled: 2-line block ×6, first 2 shown]
	buffer_store_dword v56, off, s[0:3], 0 offset:68
	s_cbranch_scc1 .LBB17_3
; %bb.2:
	v_lshl_add_u32 v38, v0, 2, v46
	buffer_load_dword v39, v38, s[0:3], 0 offen
	s_waitcnt vmcnt(0)
	v_div_scale_f32 v40, s[4:5], v39, v39, 1.0
	v_rcp_f32_e32 v41, v40
	v_div_scale_f32 v42, vcc, 1.0, v39, 1.0
	v_fma_f32 v43, -v40, v41, 1.0
	v_fmac_f32_e32 v41, v43, v41
	v_mul_f32_e32 v43, v42, v41
	v_fma_f32 v44, -v40, v43, v42
	v_fmac_f32_e32 v43, v44, v41
	v_fma_f32 v40, -v40, v43, v42
	v_div_fmas_f32 v40, v40, v41, v43
	v_div_fixup_f32 v39, v40, v39, 1.0
	buffer_store_dword v39, v38, s[0:3], 0 offen
	v_xor_b32_e32 v38, 0x80000000, v39
.LBB17_3:
	ds_write_b32 v1, v38
	s_cmpk_eq_i32 s12, 0x79
	v_add_u32_e32 v38, 0x50, v1
	v_add_u32_e32 v39, 0, v1
	s_mov_b64 s[4:5], -1
	s_cbranch_scc1 .LBB17_167
; %bb.4:
	buffer_load_dword v40, off, s[0:3], 0 offset:64
	v_cmp_eq_u32_e64 s[4:5], 17, v0
	s_waitcnt vmcnt(0)
	ds_write_b32 v38, v40
	s_waitcnt lgkmcnt(0)
	; wave barrier
	s_waitcnt lgkmcnt(0)
	s_and_saveexec_b64 s[6:7], s[4:5]
	s_cbranch_execz .LBB17_10
; %bb.5:
	s_and_b64 vcc, exec, s[8:9]
	s_cbranch_vccz .LBB17_7
; %bb.6:
	buffer_load_dword v40, v39, s[0:3], 0 offen
	ds_read_b32 v41, v38
	s_waitcnt vmcnt(0) lgkmcnt(0)
	v_mul_f32_e32 v40, v40, v41
	s_cbranch_execz .LBB17_8
	s_branch .LBB17_9
.LBB17_7:
                                        ; implicit-def: $vgpr40
.LBB17_8:
	ds_read_b32 v40, v38
.LBB17_9:
	v_mov_b32_e32 v41, 0
	ds_read_b32 v41, v41 offset:64
	s_waitcnt lgkmcnt(0)
	v_mul_f32_e32 v40, v40, v41
	buffer_store_dword v40, off, s[0:3], 0 offset:64
.LBB17_10:
	s_or_b64 exec, exec, s[6:7]
	buffer_load_dword v47, off, s[0:3], 0 offset:60
	v_or_b32_e32 v40, 8, v46
	v_add_u32_e32 v41, 16, v46
	v_add_u32_e32 v42, 24, v46
	;; [unrolled: 1-line block ×6, first 2 shown]
	v_cmp_lt_u32_e64 s[6:7], 15, v0
	s_waitcnt vmcnt(0)
	ds_write_b32 v38, v47
	s_waitcnt lgkmcnt(0)
	; wave barrier
	s_waitcnt lgkmcnt(0)
	s_and_saveexec_b64 s[10:11], s[6:7]
	s_cbranch_execz .LBB17_16
; %bb.11:
	s_andn2_b64 vcc, exec, s[8:9]
	s_cbranch_vccnz .LBB17_13
; %bb.12:
	buffer_load_dword v47, v39, s[0:3], 0 offen
	ds_read_b32 v48, v38
	s_waitcnt vmcnt(0) lgkmcnt(0)
	v_mul_f32_e32 v47, v47, v48
	s_cbranch_execz .LBB17_14
	s_branch .LBB17_15
.LBB17_13:
                                        ; implicit-def: $vgpr47
.LBB17_14:
	ds_read_b32 v47, v38
.LBB17_15:
	buffer_load_dword v50, off, s[0:3], 0 offset:64
	v_mov_b32_e32 v48, 0
	ds_read2_b32 v[48:49], v48 offset0:15 offset1:36
	s_waitcnt vmcnt(0) lgkmcnt(0)
	v_fma_f32 v49, v50, v49, v47
	v_cndmask_b32_e64 v47, v47, v49, s[4:5]
	v_mul_f32_e32 v47, v47, v48
	buffer_store_dword v47, off, s[0:3], 0 offset:60
.LBB17_16:
	s_or_b64 exec, exec, s[10:11]
	buffer_load_dword v47, off, s[0:3], 0 offset:56
	v_cmp_lt_u32_e64 s[4:5], 14, v0
	s_waitcnt vmcnt(0)
	ds_write_b32 v38, v47
	s_waitcnt lgkmcnt(0)
	; wave barrier
	s_waitcnt lgkmcnt(0)
	s_and_saveexec_b64 s[10:11], s[4:5]
	s_cbranch_execz .LBB17_26
; %bb.17:
	s_andn2_b64 vcc, exec, s[8:9]
	s_cbranch_vccnz .LBB17_19
; %bb.18:
	buffer_load_dword v47, v39, s[0:3], 0 offen
	ds_read_b32 v48, v38
	s_waitcnt vmcnt(0) lgkmcnt(0)
	v_mul_f32_e32 v47, v47, v48
	s_cbranch_execz .LBB17_20
	s_branch .LBB17_21
.LBB17_19:
                                        ; implicit-def: $vgpr47
.LBB17_20:
	ds_read_b32 v47, v38
.LBB17_21:
	s_and_saveexec_b64 s[12:13], s[6:7]
	s_cbranch_execz .LBB17_25
; %bb.22:
	v_mov_b32_e32 v48, 0
	v_add_u32_e32 v48, 60, v48
	v_add_u32_e32 v49, -15, v0
	s_movk_i32 s14, 0x8c
	s_mov_b64 s[6:7], 0
.LBB17_23:                              ; =>This Inner Loop Header: Depth=1
	buffer_load_dword v50, v48, s[0:3], 0 offen
	v_mov_b32_e32 v51, s14
	ds_read_b32 v51, v51
	v_add_u32_e32 v49, -1, v49
	s_add_i32 s14, s14, 4
	v_cmp_eq_u32_e32 vcc, 0, v49
	v_add_u32_e32 v48, 4, v48
	s_or_b64 s[6:7], vcc, s[6:7]
	s_waitcnt vmcnt(0) lgkmcnt(0)
	v_fmac_f32_e32 v47, v50, v51
	s_andn2_b64 exec, exec, s[6:7]
	s_cbranch_execnz .LBB17_23
; %bb.24:
	s_or_b64 exec, exec, s[6:7]
.LBB17_25:
	s_or_b64 exec, exec, s[12:13]
	v_mov_b32_e32 v48, 0
	ds_read_b32 v48, v48 offset:56
	s_waitcnt lgkmcnt(0)
	v_mul_f32_e32 v47, v47, v48
	buffer_store_dword v47, off, s[0:3], 0 offset:56
.LBB17_26:
	s_or_b64 exec, exec, s[10:11]
	buffer_load_dword v47, off, s[0:3], 0 offset:52
	v_cmp_lt_u32_e64 s[6:7], 13, v0
	s_waitcnt vmcnt(0)
	ds_write_b32 v38, v47
	s_waitcnt lgkmcnt(0)
	; wave barrier
	s_waitcnt lgkmcnt(0)
	s_and_saveexec_b64 s[10:11], s[6:7]
	s_cbranch_execz .LBB17_36
; %bb.27:
	s_andn2_b64 vcc, exec, s[8:9]
	s_cbranch_vccnz .LBB17_29
; %bb.28:
	buffer_load_dword v47, v39, s[0:3], 0 offen
	ds_read_b32 v48, v38
	s_waitcnt vmcnt(0) lgkmcnt(0)
	v_mul_f32_e32 v47, v47, v48
	s_cbranch_execz .LBB17_30
	s_branch .LBB17_31
.LBB17_29:
                                        ; implicit-def: $vgpr47
.LBB17_30:
	ds_read_b32 v47, v38
.LBB17_31:
	s_and_saveexec_b64 s[12:13], s[4:5]
	s_cbranch_execz .LBB17_35
; %bb.32:
	v_add_u32_e32 v48, -14, v0
	s_movk_i32 s14, 0x88
	s_mov_b64 s[4:5], 0
.LBB17_33:                              ; =>This Inner Loop Header: Depth=1
	buffer_load_dword v49, v46, s[0:3], 0 offen
	v_mov_b32_e32 v50, s14
	ds_read_b32 v50, v50
	v_add_u32_e32 v48, -1, v48
	s_add_i32 s14, s14, 4
	v_cmp_eq_u32_e32 vcc, 0, v48
	v_add_u32_e32 v46, 4, v46
	s_or_b64 s[4:5], vcc, s[4:5]
	s_waitcnt vmcnt(0) lgkmcnt(0)
	v_fmac_f32_e32 v47, v49, v50
	s_andn2_b64 exec, exec, s[4:5]
	s_cbranch_execnz .LBB17_33
; %bb.34:
	s_or_b64 exec, exec, s[4:5]
.LBB17_35:
	s_or_b64 exec, exec, s[12:13]
	v_mov_b32_e32 v46, 0
	ds_read_b32 v46, v46 offset:52
	s_waitcnt lgkmcnt(0)
	v_mul_f32_e32 v46, v47, v46
	buffer_store_dword v46, off, s[0:3], 0 offset:52
.LBB17_36:
	s_or_b64 exec, exec, s[10:11]
	buffer_load_dword v46, off, s[0:3], 0 offset:48
	v_cmp_lt_u32_e64 s[4:5], 12, v0
	s_waitcnt vmcnt(0)
	ds_write_b32 v38, v46
	s_waitcnt lgkmcnt(0)
	; wave barrier
	s_waitcnt lgkmcnt(0)
	s_and_saveexec_b64 s[10:11], s[4:5]
	s_cbranch_execz .LBB17_46
; %bb.37:
	s_andn2_b64 vcc, exec, s[8:9]
	s_cbranch_vccnz .LBB17_39
; %bb.38:
	buffer_load_dword v46, v39, s[0:3], 0 offen
	ds_read_b32 v47, v38
	s_waitcnt vmcnt(0) lgkmcnt(0)
	v_mul_f32_e32 v46, v46, v47
	s_cbranch_execz .LBB17_40
	s_branch .LBB17_41
.LBB17_39:
                                        ; implicit-def: $vgpr46
.LBB17_40:
	ds_read_b32 v46, v38
.LBB17_41:
	s_and_saveexec_b64 s[12:13], s[6:7]
	s_cbranch_execz .LBB17_45
; %bb.42:
	v_mov_b32_e32 v47, 0
	v_add_u32_e32 v47, 52, v47
	v_add_u32_e32 v48, -13, v0
	s_movk_i32 s14, 0x84
	s_mov_b64 s[6:7], 0
.LBB17_43:                              ; =>This Inner Loop Header: Depth=1
	buffer_load_dword v49, v47, s[0:3], 0 offen
	v_mov_b32_e32 v50, s14
	ds_read_b32 v50, v50
	v_add_u32_e32 v48, -1, v48
	s_add_i32 s14, s14, 4
	v_cmp_eq_u32_e32 vcc, 0, v48
	v_add_u32_e32 v47, 4, v47
	s_or_b64 s[6:7], vcc, s[6:7]
	s_waitcnt vmcnt(0) lgkmcnt(0)
	v_fmac_f32_e32 v46, v49, v50
	s_andn2_b64 exec, exec, s[6:7]
	s_cbranch_execnz .LBB17_43
; %bb.44:
	s_or_b64 exec, exec, s[6:7]
.LBB17_45:
	s_or_b64 exec, exec, s[12:13]
	v_mov_b32_e32 v47, 0
	ds_read_b32 v47, v47 offset:48
	s_waitcnt lgkmcnt(0)
	v_mul_f32_e32 v46, v46, v47
	buffer_store_dword v46, off, s[0:3], 0 offset:48
.LBB17_46:
	s_or_b64 exec, exec, s[10:11]
	buffer_load_dword v46, off, s[0:3], 0 offset:44
	v_cmp_lt_u32_e64 s[6:7], 11, v0
	s_waitcnt vmcnt(0)
	ds_write_b32 v38, v46
	s_waitcnt lgkmcnt(0)
	; wave barrier
	s_waitcnt lgkmcnt(0)
	s_and_saveexec_b64 s[10:11], s[6:7]
	s_cbranch_execz .LBB17_56
; %bb.47:
	s_andn2_b64 vcc, exec, s[8:9]
	s_cbranch_vccnz .LBB17_49
; %bb.48:
	buffer_load_dword v46, v39, s[0:3], 0 offen
	ds_read_b32 v47, v38
	s_waitcnt vmcnt(0) lgkmcnt(0)
	v_mul_f32_e32 v46, v46, v47
	s_cbranch_execz .LBB17_50
	s_branch .LBB17_51
.LBB17_49:
                                        ; implicit-def: $vgpr46
.LBB17_50:
	ds_read_b32 v46, v38
.LBB17_51:
	s_and_saveexec_b64 s[12:13], s[4:5]
	s_cbranch_execz .LBB17_55
; %bb.52:
	v_add_u32_e32 v47, -12, v0
	s_movk_i32 s14, 0x80
	s_mov_b64 s[4:5], 0
.LBB17_53:                              ; =>This Inner Loop Header: Depth=1
	buffer_load_dword v48, v45, s[0:3], 0 offen
	v_mov_b32_e32 v49, s14
	ds_read_b32 v49, v49
	v_add_u32_e32 v47, -1, v47
	s_add_i32 s14, s14, 4
	v_cmp_eq_u32_e32 vcc, 0, v47
	v_add_u32_e32 v45, 4, v45
	s_or_b64 s[4:5], vcc, s[4:5]
	s_waitcnt vmcnt(0) lgkmcnt(0)
	v_fmac_f32_e32 v46, v48, v49
	s_andn2_b64 exec, exec, s[4:5]
	s_cbranch_execnz .LBB17_53
; %bb.54:
	s_or_b64 exec, exec, s[4:5]
.LBB17_55:
	s_or_b64 exec, exec, s[12:13]
	v_mov_b32_e32 v45, 0
	ds_read_b32 v45, v45 offset:44
	s_waitcnt lgkmcnt(0)
	v_mul_f32_e32 v45, v46, v45
	buffer_store_dword v45, off, s[0:3], 0 offset:44
.LBB17_56:
	s_or_b64 exec, exec, s[10:11]
	buffer_load_dword v45, off, s[0:3], 0 offset:40
	v_cmp_lt_u32_e64 s[4:5], 10, v0
	s_waitcnt vmcnt(0)
	ds_write_b32 v38, v45
	s_waitcnt lgkmcnt(0)
	; wave barrier
	s_waitcnt lgkmcnt(0)
	s_and_saveexec_b64 s[10:11], s[4:5]
	s_cbranch_execz .LBB17_66
; %bb.57:
	s_andn2_b64 vcc, exec, s[8:9]
	s_cbranch_vccnz .LBB17_59
; %bb.58:
	buffer_load_dword v45, v39, s[0:3], 0 offen
	ds_read_b32 v46, v38
	s_waitcnt vmcnt(0) lgkmcnt(0)
	v_mul_f32_e32 v45, v45, v46
	s_cbranch_execz .LBB17_60
	s_branch .LBB17_61
.LBB17_59:
                                        ; implicit-def: $vgpr45
.LBB17_60:
	ds_read_b32 v45, v38
.LBB17_61:
	s_and_saveexec_b64 s[12:13], s[6:7]
	s_cbranch_execz .LBB17_65
; %bb.62:
	v_mov_b32_e32 v46, 0
	v_add_u32_e32 v46, 44, v46
	v_add_u32_e32 v47, -11, v0
	s_movk_i32 s14, 0x7c
	s_mov_b64 s[6:7], 0
.LBB17_63:                              ; =>This Inner Loop Header: Depth=1
	buffer_load_dword v48, v46, s[0:3], 0 offen
	v_mov_b32_e32 v49, s14
	ds_read_b32 v49, v49
	v_add_u32_e32 v47, -1, v47
	s_add_i32 s14, s14, 4
	v_cmp_eq_u32_e32 vcc, 0, v47
	v_add_u32_e32 v46, 4, v46
	s_or_b64 s[6:7], vcc, s[6:7]
	s_waitcnt vmcnt(0) lgkmcnt(0)
	v_fmac_f32_e32 v45, v48, v49
	s_andn2_b64 exec, exec, s[6:7]
	s_cbranch_execnz .LBB17_63
; %bb.64:
	s_or_b64 exec, exec, s[6:7]
.LBB17_65:
	s_or_b64 exec, exec, s[12:13]
	v_mov_b32_e32 v46, 0
	ds_read_b32 v46, v46 offset:40
	s_waitcnt lgkmcnt(0)
	v_mul_f32_e32 v45, v45, v46
	buffer_store_dword v45, off, s[0:3], 0 offset:40
.LBB17_66:
	s_or_b64 exec, exec, s[10:11]
	buffer_load_dword v45, off, s[0:3], 0 offset:36
	v_cmp_lt_u32_e64 s[6:7], 9, v0
	s_waitcnt vmcnt(0)
	ds_write_b32 v38, v45
	s_waitcnt lgkmcnt(0)
	; wave barrier
	s_waitcnt lgkmcnt(0)
	s_and_saveexec_b64 s[10:11], s[6:7]
	s_cbranch_execz .LBB17_76
; %bb.67:
	s_andn2_b64 vcc, exec, s[8:9]
	s_cbranch_vccnz .LBB17_69
; %bb.68:
	buffer_load_dword v45, v39, s[0:3], 0 offen
	ds_read_b32 v46, v38
	s_waitcnt vmcnt(0) lgkmcnt(0)
	v_mul_f32_e32 v45, v45, v46
	s_cbranch_execz .LBB17_70
	s_branch .LBB17_71
.LBB17_69:
                                        ; implicit-def: $vgpr45
.LBB17_70:
	ds_read_b32 v45, v38
.LBB17_71:
	s_and_saveexec_b64 s[12:13], s[4:5]
	s_cbranch_execz .LBB17_75
; %bb.72:
	v_add_u32_e32 v46, -10, v0
	s_movk_i32 s14, 0x78
	s_mov_b64 s[4:5], 0
.LBB17_73:                              ; =>This Inner Loop Header: Depth=1
	buffer_load_dword v47, v44, s[0:3], 0 offen
	v_mov_b32_e32 v48, s14
	ds_read_b32 v48, v48
	v_add_u32_e32 v46, -1, v46
	s_add_i32 s14, s14, 4
	v_cmp_eq_u32_e32 vcc, 0, v46
	v_add_u32_e32 v44, 4, v44
	s_or_b64 s[4:5], vcc, s[4:5]
	s_waitcnt vmcnt(0) lgkmcnt(0)
	v_fmac_f32_e32 v45, v47, v48
	s_andn2_b64 exec, exec, s[4:5]
	s_cbranch_execnz .LBB17_73
; %bb.74:
	s_or_b64 exec, exec, s[4:5]
.LBB17_75:
	s_or_b64 exec, exec, s[12:13]
	v_mov_b32_e32 v44, 0
	ds_read_b32 v44, v44 offset:36
	s_waitcnt lgkmcnt(0)
	v_mul_f32_e32 v44, v45, v44
	buffer_store_dword v44, off, s[0:3], 0 offset:36
.LBB17_76:
	s_or_b64 exec, exec, s[10:11]
	buffer_load_dword v44, off, s[0:3], 0 offset:32
	v_cmp_lt_u32_e64 s[4:5], 8, v0
	s_waitcnt vmcnt(0)
	ds_write_b32 v38, v44
	s_waitcnt lgkmcnt(0)
	; wave barrier
	s_waitcnt lgkmcnt(0)
	s_and_saveexec_b64 s[10:11], s[4:5]
	s_cbranch_execz .LBB17_86
; %bb.77:
	s_andn2_b64 vcc, exec, s[8:9]
	s_cbranch_vccnz .LBB17_79
; %bb.78:
	buffer_load_dword v44, v39, s[0:3], 0 offen
	ds_read_b32 v45, v38
	s_waitcnt vmcnt(0) lgkmcnt(0)
	v_mul_f32_e32 v44, v44, v45
	s_cbranch_execz .LBB17_80
	s_branch .LBB17_81
.LBB17_79:
                                        ; implicit-def: $vgpr44
.LBB17_80:
	ds_read_b32 v44, v38
.LBB17_81:
	s_and_saveexec_b64 s[12:13], s[6:7]
	s_cbranch_execz .LBB17_85
; %bb.82:
	v_mov_b32_e32 v45, 0
	v_add_u32_e32 v45, 36, v45
	v_add_u32_e32 v46, -9, v0
	s_movk_i32 s14, 0x74
	s_mov_b64 s[6:7], 0
.LBB17_83:                              ; =>This Inner Loop Header: Depth=1
	buffer_load_dword v47, v45, s[0:3], 0 offen
	v_mov_b32_e32 v48, s14
	ds_read_b32 v48, v48
	v_add_u32_e32 v46, -1, v46
	s_add_i32 s14, s14, 4
	v_cmp_eq_u32_e32 vcc, 0, v46
	v_add_u32_e32 v45, 4, v45
	s_or_b64 s[6:7], vcc, s[6:7]
	s_waitcnt vmcnt(0) lgkmcnt(0)
	v_fmac_f32_e32 v44, v47, v48
	s_andn2_b64 exec, exec, s[6:7]
	s_cbranch_execnz .LBB17_83
; %bb.84:
	s_or_b64 exec, exec, s[6:7]
.LBB17_85:
	s_or_b64 exec, exec, s[12:13]
	v_mov_b32_e32 v45, 0
	ds_read_b32 v45, v45 offset:32
	s_waitcnt lgkmcnt(0)
	v_mul_f32_e32 v44, v44, v45
	buffer_store_dword v44, off, s[0:3], 0 offset:32
.LBB17_86:
	s_or_b64 exec, exec, s[10:11]
	buffer_load_dword v44, off, s[0:3], 0 offset:28
	v_cmp_lt_u32_e64 s[6:7], 7, v0
	s_waitcnt vmcnt(0)
	ds_write_b32 v38, v44
	s_waitcnt lgkmcnt(0)
	; wave barrier
	s_waitcnt lgkmcnt(0)
	s_and_saveexec_b64 s[10:11], s[6:7]
	s_cbranch_execz .LBB17_96
; %bb.87:
	s_andn2_b64 vcc, exec, s[8:9]
	s_cbranch_vccnz .LBB17_89
; %bb.88:
	buffer_load_dword v44, v39, s[0:3], 0 offen
	ds_read_b32 v45, v38
	s_waitcnt vmcnt(0) lgkmcnt(0)
	v_mul_f32_e32 v44, v44, v45
	s_cbranch_execz .LBB17_90
	s_branch .LBB17_91
.LBB17_89:
                                        ; implicit-def: $vgpr44
.LBB17_90:
	ds_read_b32 v44, v38
.LBB17_91:
	s_and_saveexec_b64 s[12:13], s[4:5]
	s_cbranch_execz .LBB17_95
; %bb.92:
	v_add_u32_e32 v45, -8, v0
	s_movk_i32 s14, 0x70
	s_mov_b64 s[4:5], 0
.LBB17_93:                              ; =>This Inner Loop Header: Depth=1
	buffer_load_dword v46, v43, s[0:3], 0 offen
	v_mov_b32_e32 v47, s14
	ds_read_b32 v47, v47
	v_add_u32_e32 v45, -1, v45
	s_add_i32 s14, s14, 4
	v_cmp_eq_u32_e32 vcc, 0, v45
	v_add_u32_e32 v43, 4, v43
	s_or_b64 s[4:5], vcc, s[4:5]
	s_waitcnt vmcnt(0) lgkmcnt(0)
	v_fmac_f32_e32 v44, v46, v47
	s_andn2_b64 exec, exec, s[4:5]
	s_cbranch_execnz .LBB17_93
; %bb.94:
	s_or_b64 exec, exec, s[4:5]
.LBB17_95:
	s_or_b64 exec, exec, s[12:13]
	v_mov_b32_e32 v43, 0
	ds_read_b32 v43, v43 offset:28
	s_waitcnt lgkmcnt(0)
	v_mul_f32_e32 v43, v44, v43
	buffer_store_dword v43, off, s[0:3], 0 offset:28
.LBB17_96:
	s_or_b64 exec, exec, s[10:11]
	buffer_load_dword v43, off, s[0:3], 0 offset:24
	v_cmp_lt_u32_e64 s[4:5], 6, v0
	s_waitcnt vmcnt(0)
	ds_write_b32 v38, v43
	s_waitcnt lgkmcnt(0)
	; wave barrier
	s_waitcnt lgkmcnt(0)
	s_and_saveexec_b64 s[10:11], s[4:5]
	s_cbranch_execz .LBB17_106
; %bb.97:
	s_andn2_b64 vcc, exec, s[8:9]
	s_cbranch_vccnz .LBB17_99
; %bb.98:
	buffer_load_dword v43, v39, s[0:3], 0 offen
	ds_read_b32 v44, v38
	s_waitcnt vmcnt(0) lgkmcnt(0)
	v_mul_f32_e32 v43, v43, v44
	s_cbranch_execz .LBB17_100
	s_branch .LBB17_101
.LBB17_99:
                                        ; implicit-def: $vgpr43
.LBB17_100:
	ds_read_b32 v43, v38
.LBB17_101:
	s_and_saveexec_b64 s[12:13], s[6:7]
	s_cbranch_execz .LBB17_105
; %bb.102:
	v_mov_b32_e32 v44, 0
	v_add_u32_e32 v44, 28, v44
	v_add_u32_e32 v45, -7, v0
	s_movk_i32 s14, 0x6c
	s_mov_b64 s[6:7], 0
.LBB17_103:                             ; =>This Inner Loop Header: Depth=1
	buffer_load_dword v46, v44, s[0:3], 0 offen
	v_mov_b32_e32 v47, s14
	ds_read_b32 v47, v47
	v_add_u32_e32 v45, -1, v45
	s_add_i32 s14, s14, 4
	v_cmp_eq_u32_e32 vcc, 0, v45
	v_add_u32_e32 v44, 4, v44
	s_or_b64 s[6:7], vcc, s[6:7]
	s_waitcnt vmcnt(0) lgkmcnt(0)
	v_fmac_f32_e32 v43, v46, v47
	s_andn2_b64 exec, exec, s[6:7]
	s_cbranch_execnz .LBB17_103
; %bb.104:
	s_or_b64 exec, exec, s[6:7]
.LBB17_105:
	s_or_b64 exec, exec, s[12:13]
	v_mov_b32_e32 v44, 0
	ds_read_b32 v44, v44 offset:24
	s_waitcnt lgkmcnt(0)
	v_mul_f32_e32 v43, v43, v44
	buffer_store_dword v43, off, s[0:3], 0 offset:24
.LBB17_106:
	s_or_b64 exec, exec, s[10:11]
	buffer_load_dword v43, off, s[0:3], 0 offset:20
	v_cmp_lt_u32_e64 s[6:7], 5, v0
	s_waitcnt vmcnt(0)
	ds_write_b32 v38, v43
	s_waitcnt lgkmcnt(0)
	; wave barrier
	s_waitcnt lgkmcnt(0)
	s_and_saveexec_b64 s[10:11], s[6:7]
	s_cbranch_execz .LBB17_116
; %bb.107:
	s_andn2_b64 vcc, exec, s[8:9]
	s_cbranch_vccnz .LBB17_109
; %bb.108:
	buffer_load_dword v43, v39, s[0:3], 0 offen
	ds_read_b32 v44, v38
	s_waitcnt vmcnt(0) lgkmcnt(0)
	v_mul_f32_e32 v43, v43, v44
	s_cbranch_execz .LBB17_110
	s_branch .LBB17_111
.LBB17_109:
                                        ; implicit-def: $vgpr43
.LBB17_110:
	ds_read_b32 v43, v38
.LBB17_111:
	s_and_saveexec_b64 s[12:13], s[4:5]
	s_cbranch_execz .LBB17_115
; %bb.112:
	v_add_u32_e32 v44, -6, v0
	s_movk_i32 s14, 0x68
	s_mov_b64 s[4:5], 0
.LBB17_113:                             ; =>This Inner Loop Header: Depth=1
	buffer_load_dword v45, v42, s[0:3], 0 offen
	v_mov_b32_e32 v46, s14
	ds_read_b32 v46, v46
	v_add_u32_e32 v44, -1, v44
	s_add_i32 s14, s14, 4
	v_cmp_eq_u32_e32 vcc, 0, v44
	v_add_u32_e32 v42, 4, v42
	s_or_b64 s[4:5], vcc, s[4:5]
	s_waitcnt vmcnt(0) lgkmcnt(0)
	v_fmac_f32_e32 v43, v45, v46
	s_andn2_b64 exec, exec, s[4:5]
	s_cbranch_execnz .LBB17_113
; %bb.114:
	s_or_b64 exec, exec, s[4:5]
.LBB17_115:
	s_or_b64 exec, exec, s[12:13]
	v_mov_b32_e32 v42, 0
	ds_read_b32 v42, v42 offset:20
	s_waitcnt lgkmcnt(0)
	v_mul_f32_e32 v42, v43, v42
	buffer_store_dword v42, off, s[0:3], 0 offset:20
.LBB17_116:
	s_or_b64 exec, exec, s[10:11]
	buffer_load_dword v42, off, s[0:3], 0 offset:16
	v_cmp_lt_u32_e64 s[4:5], 4, v0
	s_waitcnt vmcnt(0)
	ds_write_b32 v38, v42
	s_waitcnt lgkmcnt(0)
	; wave barrier
	s_waitcnt lgkmcnt(0)
	s_and_saveexec_b64 s[10:11], s[4:5]
	s_cbranch_execz .LBB17_126
; %bb.117:
	s_andn2_b64 vcc, exec, s[8:9]
	s_cbranch_vccnz .LBB17_119
; %bb.118:
	buffer_load_dword v42, v39, s[0:3], 0 offen
	ds_read_b32 v43, v38
	s_waitcnt vmcnt(0) lgkmcnt(0)
	v_mul_f32_e32 v42, v42, v43
	s_cbranch_execz .LBB17_120
	s_branch .LBB17_121
.LBB17_119:
                                        ; implicit-def: $vgpr42
.LBB17_120:
	ds_read_b32 v42, v38
.LBB17_121:
	s_and_saveexec_b64 s[12:13], s[6:7]
	s_cbranch_execz .LBB17_125
; %bb.122:
	v_mov_b32_e32 v43, 0
	v_add_u32_e32 v43, 20, v43
	v_add_u32_e32 v44, -5, v0
	s_movk_i32 s14, 0x64
	s_mov_b64 s[6:7], 0
.LBB17_123:                             ; =>This Inner Loop Header: Depth=1
	buffer_load_dword v45, v43, s[0:3], 0 offen
	v_mov_b32_e32 v46, s14
	ds_read_b32 v46, v46
	v_add_u32_e32 v44, -1, v44
	s_add_i32 s14, s14, 4
	v_cmp_eq_u32_e32 vcc, 0, v44
	v_add_u32_e32 v43, 4, v43
	s_or_b64 s[6:7], vcc, s[6:7]
	s_waitcnt vmcnt(0) lgkmcnt(0)
	v_fmac_f32_e32 v42, v45, v46
	s_andn2_b64 exec, exec, s[6:7]
	s_cbranch_execnz .LBB17_123
; %bb.124:
	s_or_b64 exec, exec, s[6:7]
.LBB17_125:
	s_or_b64 exec, exec, s[12:13]
	v_mov_b32_e32 v43, 0
	ds_read_b32 v43, v43 offset:16
	s_waitcnt lgkmcnt(0)
	v_mul_f32_e32 v42, v42, v43
	buffer_store_dword v42, off, s[0:3], 0 offset:16
.LBB17_126:
	s_or_b64 exec, exec, s[10:11]
	buffer_load_dword v42, off, s[0:3], 0 offset:12
	v_cmp_lt_u32_e64 s[6:7], 3, v0
	s_waitcnt vmcnt(0)
	ds_write_b32 v38, v42
	s_waitcnt lgkmcnt(0)
	; wave barrier
	s_waitcnt lgkmcnt(0)
	s_and_saveexec_b64 s[10:11], s[6:7]
	s_cbranch_execz .LBB17_136
; %bb.127:
	s_andn2_b64 vcc, exec, s[8:9]
	s_cbranch_vccnz .LBB17_129
; %bb.128:
	buffer_load_dword v42, v39, s[0:3], 0 offen
	ds_read_b32 v43, v38
	s_waitcnt vmcnt(0) lgkmcnt(0)
	v_mul_f32_e32 v42, v42, v43
	s_cbranch_execz .LBB17_130
	s_branch .LBB17_131
.LBB17_129:
                                        ; implicit-def: $vgpr42
.LBB17_130:
	ds_read_b32 v42, v38
.LBB17_131:
	s_and_saveexec_b64 s[12:13], s[4:5]
	s_cbranch_execz .LBB17_135
; %bb.132:
	v_add_u32_e32 v43, -4, v0
	s_movk_i32 s14, 0x60
	s_mov_b64 s[4:5], 0
.LBB17_133:                             ; =>This Inner Loop Header: Depth=1
	buffer_load_dword v44, v41, s[0:3], 0 offen
	v_mov_b32_e32 v45, s14
	ds_read_b32 v45, v45
	v_add_u32_e32 v43, -1, v43
	s_add_i32 s14, s14, 4
	v_cmp_eq_u32_e32 vcc, 0, v43
	v_add_u32_e32 v41, 4, v41
	s_or_b64 s[4:5], vcc, s[4:5]
	s_waitcnt vmcnt(0) lgkmcnt(0)
	v_fmac_f32_e32 v42, v44, v45
	s_andn2_b64 exec, exec, s[4:5]
	s_cbranch_execnz .LBB17_133
; %bb.134:
	s_or_b64 exec, exec, s[4:5]
.LBB17_135:
	s_or_b64 exec, exec, s[12:13]
	v_mov_b32_e32 v41, 0
	ds_read_b32 v41, v41 offset:12
	s_waitcnt lgkmcnt(0)
	v_mul_f32_e32 v41, v42, v41
	buffer_store_dword v41, off, s[0:3], 0 offset:12
.LBB17_136:
	s_or_b64 exec, exec, s[10:11]
	buffer_load_dword v41, off, s[0:3], 0 offset:8
	v_cmp_lt_u32_e64 s[4:5], 2, v0
	s_waitcnt vmcnt(0)
	ds_write_b32 v38, v41
	s_waitcnt lgkmcnt(0)
	; wave barrier
	s_waitcnt lgkmcnt(0)
	s_and_saveexec_b64 s[10:11], s[4:5]
	s_cbranch_execz .LBB17_146
; %bb.137:
	s_andn2_b64 vcc, exec, s[8:9]
	s_cbranch_vccnz .LBB17_139
; %bb.138:
	buffer_load_dword v41, v39, s[0:3], 0 offen
	ds_read_b32 v42, v38
	s_waitcnt vmcnt(0) lgkmcnt(0)
	v_mul_f32_e32 v41, v41, v42
	s_cbranch_execz .LBB17_140
	s_branch .LBB17_141
.LBB17_139:
                                        ; implicit-def: $vgpr41
.LBB17_140:
	ds_read_b32 v41, v38
.LBB17_141:
	s_and_saveexec_b64 s[12:13], s[6:7]
	s_cbranch_execz .LBB17_145
; %bb.142:
	v_mov_b32_e32 v42, 0
	v_or_b32_e32 v42, 12, v42
	v_add_u32_e32 v43, -3, v0
	s_movk_i32 s14, 0x5c
	s_mov_b64 s[6:7], 0
.LBB17_143:                             ; =>This Inner Loop Header: Depth=1
	buffer_load_dword v44, v42, s[0:3], 0 offen
	v_mov_b32_e32 v45, s14
	ds_read_b32 v45, v45
	v_add_u32_e32 v43, -1, v43
	s_add_i32 s14, s14, 4
	v_cmp_eq_u32_e32 vcc, 0, v43
	v_add_u32_e32 v42, 4, v42
	s_or_b64 s[6:7], vcc, s[6:7]
	s_waitcnt vmcnt(0) lgkmcnt(0)
	v_fmac_f32_e32 v41, v44, v45
	s_andn2_b64 exec, exec, s[6:7]
	s_cbranch_execnz .LBB17_143
; %bb.144:
	s_or_b64 exec, exec, s[6:7]
.LBB17_145:
	s_or_b64 exec, exec, s[12:13]
	v_mov_b32_e32 v42, 0
	ds_read_b32 v42, v42 offset:8
	s_waitcnt lgkmcnt(0)
	v_mul_f32_e32 v41, v41, v42
	buffer_store_dword v41, off, s[0:3], 0 offset:8
.LBB17_146:
	s_or_b64 exec, exec, s[10:11]
	buffer_load_dword v41, off, s[0:3], 0 offset:4
	v_cmp_lt_u32_e64 s[6:7], 1, v0
	s_waitcnt vmcnt(0)
	ds_write_b32 v38, v41
	s_waitcnt lgkmcnt(0)
	; wave barrier
	s_waitcnt lgkmcnt(0)
	s_and_saveexec_b64 s[10:11], s[6:7]
	s_cbranch_execz .LBB17_156
; %bb.147:
	s_andn2_b64 vcc, exec, s[8:9]
	s_cbranch_vccnz .LBB17_149
; %bb.148:
	buffer_load_dword v41, v39, s[0:3], 0 offen
	ds_read_b32 v42, v38
	s_waitcnt vmcnt(0) lgkmcnt(0)
	v_mul_f32_e32 v41, v41, v42
	s_cbranch_execz .LBB17_150
	s_branch .LBB17_151
.LBB17_149:
                                        ; implicit-def: $vgpr41
.LBB17_150:
	ds_read_b32 v41, v38
.LBB17_151:
	s_and_saveexec_b64 s[12:13], s[4:5]
	s_cbranch_execz .LBB17_155
; %bb.152:
	v_add_u32_e32 v42, -2, v0
	s_movk_i32 s14, 0x58
	s_mov_b64 s[4:5], 0
.LBB17_153:                             ; =>This Inner Loop Header: Depth=1
	buffer_load_dword v43, v40, s[0:3], 0 offen
	v_mov_b32_e32 v44, s14
	ds_read_b32 v44, v44
	v_add_u32_e32 v42, -1, v42
	s_add_i32 s14, s14, 4
	v_cmp_eq_u32_e32 vcc, 0, v42
	v_add_u32_e32 v40, 4, v40
	s_or_b64 s[4:5], vcc, s[4:5]
	s_waitcnt vmcnt(0) lgkmcnt(0)
	v_fmac_f32_e32 v41, v43, v44
	s_andn2_b64 exec, exec, s[4:5]
	s_cbranch_execnz .LBB17_153
; %bb.154:
	s_or_b64 exec, exec, s[4:5]
.LBB17_155:
	s_or_b64 exec, exec, s[12:13]
	v_mov_b32_e32 v40, 0
	ds_read_b32 v40, v40 offset:4
	s_waitcnt lgkmcnt(0)
	v_mul_f32_e32 v40, v41, v40
	buffer_store_dword v40, off, s[0:3], 0 offset:4
.LBB17_156:
	s_or_b64 exec, exec, s[10:11]
	buffer_load_dword v40, off, s[0:3], 0
	v_cmp_ne_u32_e32 vcc, 0, v0
	s_waitcnt vmcnt(0)
	ds_write_b32 v38, v40
	s_waitcnt lgkmcnt(0)
	; wave barrier
	s_waitcnt lgkmcnt(0)
	s_and_saveexec_b64 s[4:5], vcc
	s_cbranch_execz .LBB17_166
; %bb.157:
	s_andn2_b64 vcc, exec, s[8:9]
	s_cbranch_vccnz .LBB17_159
; %bb.158:
	buffer_load_dword v40, v39, s[0:3], 0 offen
	ds_read_b32 v41, v38
	s_waitcnt vmcnt(0) lgkmcnt(0)
	v_mul_f32_e32 v40, v40, v41
	s_cbranch_execz .LBB17_160
	s_branch .LBB17_161
.LBB17_159:
                                        ; implicit-def: $vgpr40
.LBB17_160:
	ds_read_b32 v40, v38
.LBB17_161:
	s_and_saveexec_b64 s[10:11], s[6:7]
	s_cbranch_execz .LBB17_165
; %bb.162:
	v_mov_b32_e32 v41, 0
	v_or_b32_e32 v41, 4, v41
	v_add_u32_e32 v42, -1, v0
	s_movk_i32 s12, 0x54
	s_mov_b64 s[6:7], 0
.LBB17_163:                             ; =>This Inner Loop Header: Depth=1
	buffer_load_dword v43, v41, s[0:3], 0 offen
	v_mov_b32_e32 v44, s12
	ds_read_b32 v44, v44
	v_add_u32_e32 v42, -1, v42
	s_add_i32 s12, s12, 4
	v_cmp_eq_u32_e32 vcc, 0, v42
	v_add_u32_e32 v41, 4, v41
	s_or_b64 s[6:7], vcc, s[6:7]
	s_waitcnt vmcnt(0) lgkmcnt(0)
	v_fmac_f32_e32 v40, v43, v44
	s_andn2_b64 exec, exec, s[6:7]
	s_cbranch_execnz .LBB17_163
; %bb.164:
	s_or_b64 exec, exec, s[6:7]
.LBB17_165:
	s_or_b64 exec, exec, s[10:11]
	v_mov_b32_e32 v41, 0
	ds_read_b32 v41, v41
	s_waitcnt lgkmcnt(0)
	v_mul_f32_e32 v40, v40, v41
	buffer_store_dword v40, off, s[0:3], 0
.LBB17_166:
	s_or_b64 exec, exec, s[4:5]
	s_mov_b64 s[4:5], 0
.LBB17_167:
	s_and_b64 vcc, exec, s[4:5]
	s_cbranch_vccz .LBB17_331
; %bb.168:
	buffer_load_dword v40, off, s[0:3], 0 offset:4
	v_cmp_eq_u32_e64 s[6:7], 0, v0
	s_waitcnt vmcnt(0)
	ds_write_b32 v38, v40
	s_waitcnt lgkmcnt(0)
	; wave barrier
	s_waitcnt lgkmcnt(0)
	s_and_saveexec_b64 s[4:5], s[6:7]
	s_cbranch_execz .LBB17_174
; %bb.169:
	s_and_b64 vcc, exec, s[8:9]
	s_cbranch_vccz .LBB17_171
; %bb.170:
	buffer_load_dword v40, v39, s[0:3], 0 offen
	ds_read_b32 v41, v38
	s_waitcnt vmcnt(0) lgkmcnt(0)
	v_mul_f32_e32 v40, v40, v41
	s_cbranch_execz .LBB17_172
	s_branch .LBB17_173
.LBB17_171:
                                        ; implicit-def: $vgpr40
.LBB17_172:
	ds_read_b32 v40, v38
.LBB17_173:
	v_mov_b32_e32 v41, 0
	ds_read_b32 v41, v41 offset:4
	s_waitcnt lgkmcnt(0)
	v_mul_f32_e32 v40, v40, v41
	buffer_store_dword v40, off, s[0:3], 0 offset:4
.LBB17_174:
	s_or_b64 exec, exec, s[4:5]
	buffer_load_dword v40, off, s[0:3], 0 offset:8
	v_cndmask_b32_e64 v41, 0, 1, s[8:9]
	v_cmp_gt_u32_e32 vcc, 2, v0
	v_cmp_ne_u32_e64 s[4:5], 1, v41
	s_waitcnt vmcnt(0)
	ds_write_b32 v38, v40
	s_waitcnt lgkmcnt(0)
	; wave barrier
	s_waitcnt lgkmcnt(0)
	s_and_saveexec_b64 s[8:9], vcc
	s_cbranch_execz .LBB17_182
; %bb.175:
	s_and_b64 vcc, exec, s[4:5]
	s_cbranch_vccnz .LBB17_177
; %bb.176:
	buffer_load_dword v40, v39, s[0:3], 0 offen
	ds_read_b32 v41, v38
	s_waitcnt vmcnt(0) lgkmcnt(0)
	v_mul_f32_e32 v40, v40, v41
	s_cbranch_execz .LBB17_178
	s_branch .LBB17_179
.LBB17_177:
                                        ; implicit-def: $vgpr40
.LBB17_178:
	ds_read_b32 v40, v38
.LBB17_179:
	s_and_saveexec_b64 s[10:11], s[6:7]
	s_cbranch_execz .LBB17_181
; %bb.180:
	buffer_load_dword v41, v39, s[0:3], 0 offen offset:4
	ds_read_b32 v42, v38 offset:4
	s_waitcnt vmcnt(0) lgkmcnt(0)
	v_fmac_f32_e32 v40, v41, v42
.LBB17_181:
	s_or_b64 exec, exec, s[10:11]
	v_mov_b32_e32 v41, 0
	ds_read_b32 v41, v41 offset:8
	s_waitcnt lgkmcnt(0)
	v_mul_f32_e32 v40, v40, v41
	buffer_store_dword v40, off, s[0:3], 0 offset:8
.LBB17_182:
	s_or_b64 exec, exec, s[8:9]
	buffer_load_dword v40, off, s[0:3], 0 offset:12
	v_cmp_gt_u32_e32 vcc, 3, v0
	s_waitcnt vmcnt(0)
	ds_write_b32 v38, v40
	s_waitcnt lgkmcnt(0)
	; wave barrier
	s_waitcnt lgkmcnt(0)
	s_and_saveexec_b64 s[8:9], vcc
	s_cbranch_execz .LBB17_190
; %bb.183:
	s_and_b64 vcc, exec, s[4:5]
	s_cbranch_vccnz .LBB17_185
; %bb.184:
	buffer_load_dword v40, v39, s[0:3], 0 offen
	ds_read_b32 v41, v38
	s_waitcnt vmcnt(0) lgkmcnt(0)
	v_mul_f32_e32 v40, v40, v41
	s_cbranch_execz .LBB17_186
	s_branch .LBB17_187
.LBB17_185:
                                        ; implicit-def: $vgpr40
.LBB17_186:
	ds_read_b32 v40, v38
.LBB17_187:
	v_cmp_ne_u32_e32 vcc, 2, v0
	s_and_saveexec_b64 s[10:11], vcc
	s_cbranch_execz .LBB17_189
; %bb.188:
	buffer_load_dword v41, v39, s[0:3], 0 offen offset:4
	buffer_load_dword v42, off, s[0:3], 0 offset:8
	v_mov_b32_e32 v43, 0
	ds_read_b32 v44, v38 offset:4
	ds_read_b32 v43, v43 offset:88
	s_waitcnt vmcnt(1) lgkmcnt(1)
	v_fmac_f32_e32 v40, v41, v44
	s_waitcnt vmcnt(0) lgkmcnt(0)
	v_fma_f32 v41, v42, v43, v40
	v_cndmask_b32_e64 v40, v40, v41, s[6:7]
.LBB17_189:
	s_or_b64 exec, exec, s[10:11]
	v_mov_b32_e32 v41, 0
	ds_read_b32 v41, v41 offset:12
	s_waitcnt lgkmcnt(0)
	v_mul_f32_e32 v40, v40, v41
	buffer_store_dword v40, off, s[0:3], 0 offset:12
.LBB17_190:
	s_or_b64 exec, exec, s[8:9]
	buffer_load_dword v40, off, s[0:3], 0 offset:16
	v_cmp_gt_u32_e32 vcc, 4, v0
	s_waitcnt vmcnt(0)
	ds_write_b32 v38, v40
	s_waitcnt lgkmcnt(0)
	; wave barrier
	s_waitcnt lgkmcnt(0)
	s_and_saveexec_b64 s[6:7], vcc
	s_cbranch_execz .LBB17_200
; %bb.191:
	s_and_b64 vcc, exec, s[4:5]
	s_cbranch_vccnz .LBB17_193
; %bb.192:
	buffer_load_dword v40, v39, s[0:3], 0 offen
	ds_read_b32 v41, v38
	s_waitcnt vmcnt(0) lgkmcnt(0)
	v_mul_f32_e32 v40, v40, v41
	s_cbranch_execz .LBB17_194
	s_branch .LBB17_195
.LBB17_193:
                                        ; implicit-def: $vgpr40
.LBB17_194:
	ds_read_b32 v40, v38
.LBB17_195:
	v_cmp_ne_u32_e32 vcc, 3, v0
	s_and_saveexec_b64 s[8:9], vcc
	s_cbranch_execz .LBB17_199
; %bb.196:
	v_mov_b32_e32 v42, 0
	v_add_u32_e32 v41, 0x54, v1
	v_add3_u32 v42, v1, v42, 4
	s_mov_b64 s[10:11], 0
	v_mov_b32_e32 v43, v0
.LBB17_197:                             ; =>This Inner Loop Header: Depth=1
	buffer_load_dword v44, v42, s[0:3], 0 offen
	ds_read_b32 v45, v41
	v_add_u32_e32 v43, 1, v43
	v_cmp_lt_u32_e32 vcc, 2, v43
	v_add_u32_e32 v41, 4, v41
	v_add_u32_e32 v42, 4, v42
	s_or_b64 s[10:11], vcc, s[10:11]
	s_waitcnt vmcnt(0) lgkmcnt(0)
	v_fmac_f32_e32 v40, v44, v45
	s_andn2_b64 exec, exec, s[10:11]
	s_cbranch_execnz .LBB17_197
; %bb.198:
	s_or_b64 exec, exec, s[10:11]
.LBB17_199:
	s_or_b64 exec, exec, s[8:9]
	v_mov_b32_e32 v41, 0
	ds_read_b32 v41, v41 offset:16
	s_waitcnt lgkmcnt(0)
	v_mul_f32_e32 v40, v40, v41
	buffer_store_dword v40, off, s[0:3], 0 offset:16
.LBB17_200:
	s_or_b64 exec, exec, s[6:7]
	buffer_load_dword v40, off, s[0:3], 0 offset:20
	v_cmp_gt_u32_e32 vcc, 5, v0
	s_waitcnt vmcnt(0)
	ds_write_b32 v38, v40
	s_waitcnt lgkmcnt(0)
	; wave barrier
	s_waitcnt lgkmcnt(0)
	s_and_saveexec_b64 s[6:7], vcc
	s_cbranch_execz .LBB17_210
; %bb.201:
	s_and_b64 vcc, exec, s[4:5]
	s_cbranch_vccnz .LBB17_203
; %bb.202:
	buffer_load_dword v40, v39, s[0:3], 0 offen
	ds_read_b32 v41, v38
	s_waitcnt vmcnt(0) lgkmcnt(0)
	v_mul_f32_e32 v40, v40, v41
	s_cbranch_execz .LBB17_204
	s_branch .LBB17_205
.LBB17_203:
                                        ; implicit-def: $vgpr40
.LBB17_204:
	ds_read_b32 v40, v38
.LBB17_205:
	v_cmp_ne_u32_e32 vcc, 4, v0
	s_and_saveexec_b64 s[8:9], vcc
	s_cbranch_execz .LBB17_209
; %bb.206:
	v_mov_b32_e32 v42, 0
	v_add_u32_e32 v41, 0x54, v1
	v_add3_u32 v42, v1, v42, 4
	s_mov_b64 s[10:11], 0
	v_mov_b32_e32 v43, v0
.LBB17_207:                             ; =>This Inner Loop Header: Depth=1
	buffer_load_dword v44, v42, s[0:3], 0 offen
	ds_read_b32 v45, v41
	v_add_u32_e32 v43, 1, v43
	v_cmp_lt_u32_e32 vcc, 3, v43
	v_add_u32_e32 v41, 4, v41
	v_add_u32_e32 v42, 4, v42
	s_or_b64 s[10:11], vcc, s[10:11]
	s_waitcnt vmcnt(0) lgkmcnt(0)
	v_fmac_f32_e32 v40, v44, v45
	s_andn2_b64 exec, exec, s[10:11]
	s_cbranch_execnz .LBB17_207
; %bb.208:
	s_or_b64 exec, exec, s[10:11]
.LBB17_209:
	s_or_b64 exec, exec, s[8:9]
	v_mov_b32_e32 v41, 0
	ds_read_b32 v41, v41 offset:20
	s_waitcnt lgkmcnt(0)
	v_mul_f32_e32 v40, v40, v41
	buffer_store_dword v40, off, s[0:3], 0 offset:20
.LBB17_210:
	;; [unrolled: 56-line block ×12, first 2 shown]
	s_or_b64 exec, exec, s[6:7]
	buffer_load_dword v40, off, s[0:3], 0 offset:64
	v_cmp_gt_u32_e64 s[6:7], 16, v0
	s_waitcnt vmcnt(0)
	ds_write_b32 v38, v40
	s_waitcnt lgkmcnt(0)
	; wave barrier
	s_waitcnt lgkmcnt(0)
	s_and_saveexec_b64 s[8:9], s[6:7]
	s_cbranch_execz .LBB17_320
; %bb.311:
	s_and_b64 vcc, exec, s[4:5]
	s_cbranch_vccnz .LBB17_313
; %bb.312:
	buffer_load_dword v40, v39, s[0:3], 0 offen
	ds_read_b32 v41, v38
	s_waitcnt vmcnt(0) lgkmcnt(0)
	v_mul_f32_e32 v40, v40, v41
	s_cbranch_execz .LBB17_314
	s_branch .LBB17_315
.LBB17_313:
                                        ; implicit-def: $vgpr40
.LBB17_314:
	ds_read_b32 v40, v38
.LBB17_315:
	v_cmp_ne_u32_e32 vcc, 15, v0
	s_and_saveexec_b64 s[10:11], vcc
	s_cbranch_execz .LBB17_319
; %bb.316:
	v_mov_b32_e32 v42, 0
	v_add_u32_e32 v41, 0x54, v1
	v_add3_u32 v42, v1, v42, 4
	s_mov_b64 s[12:13], 0
	v_mov_b32_e32 v43, v0
.LBB17_317:                             ; =>This Inner Loop Header: Depth=1
	buffer_load_dword v44, v42, s[0:3], 0 offen
	ds_read_b32 v45, v41
	v_add_u32_e32 v43, 1, v43
	v_cmp_lt_u32_e32 vcc, 14, v43
	v_add_u32_e32 v41, 4, v41
	v_add_u32_e32 v42, 4, v42
	s_or_b64 s[12:13], vcc, s[12:13]
	s_waitcnt vmcnt(0) lgkmcnt(0)
	v_fmac_f32_e32 v40, v44, v45
	s_andn2_b64 exec, exec, s[12:13]
	s_cbranch_execnz .LBB17_317
; %bb.318:
	s_or_b64 exec, exec, s[12:13]
.LBB17_319:
	s_or_b64 exec, exec, s[10:11]
	v_mov_b32_e32 v41, 0
	ds_read_b32 v41, v41 offset:64
	s_waitcnt lgkmcnt(0)
	v_mul_f32_e32 v40, v40, v41
	buffer_store_dword v40, off, s[0:3], 0 offset:64
.LBB17_320:
	s_or_b64 exec, exec, s[8:9]
	buffer_load_dword v40, off, s[0:3], 0 offset:68
	v_cmp_ne_u32_e32 vcc, 17, v0
	s_waitcnt vmcnt(0)
	ds_write_b32 v38, v40
	s_waitcnt lgkmcnt(0)
	; wave barrier
	s_waitcnt lgkmcnt(0)
	s_and_saveexec_b64 s[8:9], vcc
	s_cbranch_execz .LBB17_330
; %bb.321:
	s_and_b64 vcc, exec, s[4:5]
	s_cbranch_vccnz .LBB17_323
; %bb.322:
	buffer_load_dword v39, v39, s[0:3], 0 offen
	ds_read_b32 v40, v38
	s_waitcnt vmcnt(0) lgkmcnt(0)
	v_mul_f32_e32 v39, v39, v40
	s_cbranch_execz .LBB17_324
	s_branch .LBB17_325
.LBB17_323:
                                        ; implicit-def: $vgpr39
.LBB17_324:
	ds_read_b32 v39, v38
.LBB17_325:
	s_and_saveexec_b64 s[4:5], s[6:7]
	s_cbranch_execz .LBB17_329
; %bb.326:
	v_mov_b32_e32 v40, 0
	v_add_u32_e32 v38, 0x54, v1
	v_add3_u32 v1, v1, v40, 4
	s_mov_b64 s[6:7], 0
.LBB17_327:                             ; =>This Inner Loop Header: Depth=1
	buffer_load_dword v40, v1, s[0:3], 0 offen
	ds_read_b32 v41, v38
	v_add_u32_e32 v0, 1, v0
	v_cmp_lt_u32_e32 vcc, 15, v0
	v_add_u32_e32 v38, 4, v38
	v_add_u32_e32 v1, 4, v1
	s_or_b64 s[6:7], vcc, s[6:7]
	s_waitcnt vmcnt(0) lgkmcnt(0)
	v_fmac_f32_e32 v39, v40, v41
	s_andn2_b64 exec, exec, s[6:7]
	s_cbranch_execnz .LBB17_327
; %bb.328:
	s_or_b64 exec, exec, s[6:7]
.LBB17_329:
	s_or_b64 exec, exec, s[4:5]
	v_mov_b32_e32 v0, 0
	ds_read_b32 v0, v0 offset:68
	s_waitcnt lgkmcnt(0)
	v_mul_f32_e32 v0, v39, v0
	buffer_store_dword v0, off, s[0:3], 0 offset:68
.LBB17_330:
	s_or_b64 exec, exec, s[8:9]
.LBB17_331:
	buffer_load_dword v0, off, s[0:3], 0
	buffer_load_dword v1, off, s[0:3], 0 offset:4
	buffer_load_dword v38, off, s[0:3], 0 offset:8
	;; [unrolled: 1-line block ×17, first 2 shown]
	s_waitcnt vmcnt(17)
	global_store_dword v[2:3], v0, off
	s_waitcnt vmcnt(17)
	global_store_dword v[4:5], v1, off
	;; [unrolled: 2-line block ×18, first 2 shown]
.LBB17_332:
	s_endpgm
	.section	.rodata,"a",@progbits
	.p2align	6, 0x0
	.amdhsa_kernel _ZN9rocsolver6v33100L18trti2_kernel_smallILi18EfPfEEv13rocblas_fill_17rocblas_diagonal_T1_iil
		.amdhsa_group_segment_fixed_size 152
		.amdhsa_private_segment_fixed_size 80
		.amdhsa_kernarg_size 32
		.amdhsa_user_sgpr_count 8
		.amdhsa_user_sgpr_private_segment_buffer 1
		.amdhsa_user_sgpr_dispatch_ptr 0
		.amdhsa_user_sgpr_queue_ptr 0
		.amdhsa_user_sgpr_kernarg_segment_ptr 1
		.amdhsa_user_sgpr_dispatch_id 0
		.amdhsa_user_sgpr_flat_scratch_init 1
		.amdhsa_user_sgpr_kernarg_preload_length 0
		.amdhsa_user_sgpr_kernarg_preload_offset 0
		.amdhsa_user_sgpr_private_segment_size 0
		.amdhsa_uses_dynamic_stack 0
		.amdhsa_system_sgpr_private_segment_wavefront_offset 1
		.amdhsa_system_sgpr_workgroup_id_x 1
		.amdhsa_system_sgpr_workgroup_id_y 0
		.amdhsa_system_sgpr_workgroup_id_z 0
		.amdhsa_system_sgpr_workgroup_info 0
		.amdhsa_system_vgpr_workitem_id 0
		.amdhsa_next_free_vgpr 57
		.amdhsa_next_free_sgpr 20
		.amdhsa_accum_offset 60
		.amdhsa_reserve_vcc 1
		.amdhsa_reserve_flat_scratch 0
		.amdhsa_float_round_mode_32 0
		.amdhsa_float_round_mode_16_64 0
		.amdhsa_float_denorm_mode_32 3
		.amdhsa_float_denorm_mode_16_64 3
		.amdhsa_dx10_clamp 1
		.amdhsa_ieee_mode 1
		.amdhsa_fp16_overflow 0
		.amdhsa_tg_split 0
		.amdhsa_exception_fp_ieee_invalid_op 0
		.amdhsa_exception_fp_denorm_src 0
		.amdhsa_exception_fp_ieee_div_zero 0
		.amdhsa_exception_fp_ieee_overflow 0
		.amdhsa_exception_fp_ieee_underflow 0
		.amdhsa_exception_fp_ieee_inexact 0
		.amdhsa_exception_int_div_zero 0
	.end_amdhsa_kernel
	.section	.text._ZN9rocsolver6v33100L18trti2_kernel_smallILi18EfPfEEv13rocblas_fill_17rocblas_diagonal_T1_iil,"axG",@progbits,_ZN9rocsolver6v33100L18trti2_kernel_smallILi18EfPfEEv13rocblas_fill_17rocblas_diagonal_T1_iil,comdat
.Lfunc_end17:
	.size	_ZN9rocsolver6v33100L18trti2_kernel_smallILi18EfPfEEv13rocblas_fill_17rocblas_diagonal_T1_iil, .Lfunc_end17-_ZN9rocsolver6v33100L18trti2_kernel_smallILi18EfPfEEv13rocblas_fill_17rocblas_diagonal_T1_iil
                                        ; -- End function
	.section	.AMDGPU.csdata,"",@progbits
; Kernel info:
; codeLenInByte = 8528
; NumSgprs: 24
; NumVgprs: 57
; NumAgprs: 0
; TotalNumVgprs: 57
; ScratchSize: 80
; MemoryBound: 0
; FloatMode: 240
; IeeeMode: 1
; LDSByteSize: 152 bytes/workgroup (compile time only)
; SGPRBlocks: 2
; VGPRBlocks: 7
; NumSGPRsForWavesPerEU: 24
; NumVGPRsForWavesPerEU: 57
; AccumOffset: 60
; Occupancy: 8
; WaveLimiterHint : 0
; COMPUTE_PGM_RSRC2:SCRATCH_EN: 1
; COMPUTE_PGM_RSRC2:USER_SGPR: 8
; COMPUTE_PGM_RSRC2:TRAP_HANDLER: 0
; COMPUTE_PGM_RSRC2:TGID_X_EN: 1
; COMPUTE_PGM_RSRC2:TGID_Y_EN: 0
; COMPUTE_PGM_RSRC2:TGID_Z_EN: 0
; COMPUTE_PGM_RSRC2:TIDIG_COMP_CNT: 0
; COMPUTE_PGM_RSRC3_GFX90A:ACCUM_OFFSET: 14
; COMPUTE_PGM_RSRC3_GFX90A:TG_SPLIT: 0
	.section	.text._ZN9rocsolver6v33100L18trti2_kernel_smallILi19EfPfEEv13rocblas_fill_17rocblas_diagonal_T1_iil,"axG",@progbits,_ZN9rocsolver6v33100L18trti2_kernel_smallILi19EfPfEEv13rocblas_fill_17rocblas_diagonal_T1_iil,comdat
	.globl	_ZN9rocsolver6v33100L18trti2_kernel_smallILi19EfPfEEv13rocblas_fill_17rocblas_diagonal_T1_iil ; -- Begin function _ZN9rocsolver6v33100L18trti2_kernel_smallILi19EfPfEEv13rocblas_fill_17rocblas_diagonal_T1_iil
	.p2align	8
	.type	_ZN9rocsolver6v33100L18trti2_kernel_smallILi19EfPfEEv13rocblas_fill_17rocblas_diagonal_T1_iil,@function
_ZN9rocsolver6v33100L18trti2_kernel_smallILi19EfPfEEv13rocblas_fill_17rocblas_diagonal_T1_iil: ; @_ZN9rocsolver6v33100L18trti2_kernel_smallILi19EfPfEEv13rocblas_fill_17rocblas_diagonal_T1_iil
; %bb.0:
	s_add_u32 s0, s0, s9
	s_addc_u32 s1, s1, 0
	v_cmp_gt_u32_e32 vcc, 19, v0
	s_and_saveexec_b64 s[6:7], vcc
	s_cbranch_execz .LBB18_352
; %bb.1:
	s_load_dwordx8 s[12:19], s[4:5], 0x0
	s_ashr_i32 s6, s8, 31
	v_lshlrev_b32_e32 v1, 2, v0
	s_waitcnt lgkmcnt(0)
	s_mul_i32 s7, s8, s19
	s_mul_hi_u32 s9, s8, s18
	s_add_i32 s7, s9, s7
	s_mul_i32 s6, s6, s18
	s_add_i32 s7, s7, s6
	s_mul_i32 s6, s8, s18
	s_ashr_i32 s5, s16, 31
	s_lshl_b64 s[6:7], s[6:7], 2
	s_mov_b32 s4, s16
	s_add_u32 s6, s14, s6
	s_addc_u32 s7, s15, s7
	s_lshl_b64 s[4:5], s[4:5], 2
	s_add_u32 s4, s6, s4
	s_addc_u32 s5, s7, s5
	v_mov_b32_e32 v3, s5
	v_add_co_u32_e32 v2, vcc, s4, v1
	s_ashr_i32 s7, s17, 31
	s_mov_b32 s6, s17
	v_addc_co_u32_e32 v3, vcc, 0, v3, vcc
	s_lshl_b64 s[6:7], s[6:7], 2
	v_add_co_u32_e32 v4, vcc, s6, v2
	s_add_i32 s6, s17, s17
	v_add_u32_e32 v8, s6, v0
	v_mov_b32_e32 v5, s7
	v_ashrrev_i32_e32 v9, 31, v8
	v_addc_co_u32_e32 v5, vcc, v3, v5, vcc
	v_lshlrev_b64 v[6:7], 2, v[8:9]
	v_add_u32_e32 v10, s17, v8
	v_mov_b32_e32 v9, s5
	v_add_co_u32_e32 v6, vcc, s4, v6
	v_ashrrev_i32_e32 v11, 31, v10
	v_addc_co_u32_e32 v7, vcc, v9, v7, vcc
	v_lshlrev_b64 v[8:9], 2, v[10:11]
	v_add_u32_e32 v12, s17, v10
	v_mov_b32_e32 v11, s5
	v_add_co_u32_e32 v8, vcc, s4, v8
	;; [unrolled: 6-line block ×15, first 2 shown]
	v_ashrrev_i32_e32 v39, 31, v38
	v_addc_co_u32_e32 v35, vcc, v37, v35, vcc
	v_lshlrev_b64 v[36:37], 2, v[38:39]
	v_mov_b32_e32 v39, s5
	v_add_co_u32_e32 v36, vcc, s4, v36
	v_add_u32_e32 v38, s17, v38
	v_addc_co_u32_e32 v37, vcc, v39, v37, vcc
	v_ashrrev_i32_e32 v39, 31, v38
	v_lshlrev_b64 v[38:39], 2, v[38:39]
	global_load_dword v40, v1, s[4:5]
	v_mov_b32_e32 v49, s5
	v_add_co_u32_e32 v38, vcc, s4, v38
	global_load_dword v41, v[4:5], off
	global_load_dword v42, v[6:7], off
	;; [unrolled: 1-line block ×16, first 2 shown]
	v_addc_co_u32_e32 v39, vcc, v49, v39, vcc
	global_load_dword v58, v[36:37], off
	global_load_dword v59, v[38:39], off
	s_cmpk_lg_i32 s13, 0x84
	s_waitcnt vmcnt(18)
	buffer_store_dword v40, off, s[0:3], 0
	s_waitcnt vmcnt(18)
	buffer_store_dword v41, off, s[0:3], 0 offset:4
	v_mov_b32_e32 v49, 0
	s_cselect_b64 s[10:11], -1, 0
	s_cmpk_eq_i32 s13, 0x84
	v_mov_b32_e32 v40, -1.0
	s_waitcnt vmcnt(17)
	buffer_store_dword v43, off, s[0:3], 0 offset:12
	buffer_store_dword v42, off, s[0:3], 0 offset:8
	s_waitcnt vmcnt(18)
	buffer_store_dword v44, off, s[0:3], 0 offset:16
	s_waitcnt vmcnt(18)
	;; [unrolled: 2-line block ×7, first 2 shown]
	buffer_store_dword v52, off, s[0:3], 0 offset:44
	buffer_store_dword v51, off, s[0:3], 0 offset:40
	s_waitcnt vmcnt(18)
	buffer_store_dword v53, off, s[0:3], 0 offset:48
	s_waitcnt vmcnt(18)
	buffer_store_dword v54, off, s[0:3], 0 offset:52
	s_waitcnt vmcnt(18)
	buffer_store_dword v55, off, s[0:3], 0 offset:56
	s_waitcnt vmcnt(18)
	buffer_store_dword v56, off, s[0:3], 0 offset:60
	s_waitcnt vmcnt(18)
	buffer_store_dword v57, off, s[0:3], 0 offset:64
	s_waitcnt vmcnt(18)
	buffer_store_dword v58, off, s[0:3], 0 offset:68
	s_waitcnt vmcnt(18)
	buffer_store_dword v59, off, s[0:3], 0 offset:72
	s_cbranch_scc1 .LBB18_3
; %bb.2:
	v_lshl_add_u32 v40, v0, 2, v49
	buffer_load_dword v41, v40, s[0:3], 0 offen
	s_waitcnt vmcnt(0)
	v_div_scale_f32 v42, s[4:5], v41, v41, 1.0
	v_rcp_f32_e32 v43, v42
	v_div_scale_f32 v44, vcc, 1.0, v41, 1.0
	v_fma_f32 v45, -v42, v43, 1.0
	v_fmac_f32_e32 v43, v45, v43
	v_mul_f32_e32 v45, v44, v43
	v_fma_f32 v46, -v42, v45, v44
	v_fmac_f32_e32 v45, v46, v43
	v_fma_f32 v42, -v42, v45, v44
	v_div_fmas_f32 v42, v42, v43, v45
	v_div_fixup_f32 v41, v42, v41, 1.0
	buffer_store_dword v41, v40, s[0:3], 0 offen
	v_xor_b32_e32 v40, 0x80000000, v41
.LBB18_3:
	ds_write_b32 v1, v40
	s_cmpk_eq_i32 s12, 0x79
	v_add_u32_e32 v40, 0x50, v1
	v_add_u32_e32 v41, 0, v1
	s_mov_b64 s[4:5], -1
	s_cbranch_scc1 .LBB18_177
; %bb.4:
	buffer_load_dword v42, off, s[0:3], 0 offset:68
	v_cmp_eq_u32_e64 s[4:5], 18, v0
	s_waitcnt vmcnt(0)
	ds_write_b32 v40, v42
	s_waitcnt lgkmcnt(0)
	; wave barrier
	s_waitcnt lgkmcnt(0)
	s_and_saveexec_b64 s[6:7], s[4:5]
	s_cbranch_execz .LBB18_10
; %bb.5:
	s_and_b64 vcc, exec, s[10:11]
	s_cbranch_vccz .LBB18_7
; %bb.6:
	buffer_load_dword v42, v41, s[0:3], 0 offen
	ds_read_b32 v43, v40
	s_waitcnt vmcnt(0) lgkmcnt(0)
	v_mul_f32_e32 v42, v42, v43
	s_cbranch_execz .LBB18_8
	s_branch .LBB18_9
.LBB18_7:
                                        ; implicit-def: $vgpr42
.LBB18_8:
	ds_read_b32 v42, v40
.LBB18_9:
	v_mov_b32_e32 v43, 0
	ds_read_b32 v43, v43 offset:68
	s_waitcnt lgkmcnt(0)
	v_mul_f32_e32 v42, v42, v43
	buffer_store_dword v42, off, s[0:3], 0 offset:68
.LBB18_10:
	s_or_b64 exec, exec, s[6:7]
	buffer_load_dword v50, off, s[0:3], 0 offset:64
	v_or_b32_e32 v42, 8, v49
	v_add_u32_e32 v43, 16, v49
	v_add_u32_e32 v44, 24, v49
	v_add_u32_e32 v45, 32, v49
	v_add_u32_e32 v46, 40, v49
	v_add_u32_e32 v47, 48, v49
	v_add_u32_e32 v48, 56, v49
	v_add_u32_e32 v49, 64, v49
	v_cmp_lt_u32_e64 s[8:9], 16, v0
	s_waitcnt vmcnt(0)
	ds_write_b32 v40, v50
	s_waitcnt lgkmcnt(0)
	; wave barrier
	s_waitcnt lgkmcnt(0)
	s_and_saveexec_b64 s[6:7], s[8:9]
	s_cbranch_execz .LBB18_16
; %bb.11:
	s_andn2_b64 vcc, exec, s[10:11]
	s_cbranch_vccnz .LBB18_13
; %bb.12:
	buffer_load_dword v50, v41, s[0:3], 0 offen
	ds_read_b32 v51, v40
	s_waitcnt vmcnt(0) lgkmcnt(0)
	v_mul_f32_e32 v50, v50, v51
	s_cbranch_execz .LBB18_14
	s_branch .LBB18_15
.LBB18_13:
                                        ; implicit-def: $vgpr50
.LBB18_14:
	ds_read_b32 v50, v40
.LBB18_15:
	buffer_load_dword v51, off, s[0:3], 0 offset:68
	v_mov_b32_e32 v52, 0
	ds_read2_b32 v[52:53], v52 offset0:16 offset1:37
	s_waitcnt vmcnt(0) lgkmcnt(0)
	v_fma_f32 v51, v51, v53, v50
	v_cndmask_b32_e64 v50, v50, v51, s[4:5]
	v_mul_f32_e32 v50, v50, v52
	buffer_store_dword v50, off, s[0:3], 0 offset:64
.LBB18_16:
	s_or_b64 exec, exec, s[6:7]
	buffer_load_dword v50, off, s[0:3], 0 offset:60
	v_cmp_lt_u32_e64 s[6:7], 15, v0
	s_waitcnt vmcnt(0)
	ds_write_b32 v40, v50
	s_waitcnt lgkmcnt(0)
	; wave barrier
	s_waitcnt lgkmcnt(0)
	s_and_saveexec_b64 s[4:5], s[6:7]
	s_cbranch_execz .LBB18_26
; %bb.17:
	s_andn2_b64 vcc, exec, s[10:11]
	s_cbranch_vccnz .LBB18_19
; %bb.18:
	buffer_load_dword v50, v41, s[0:3], 0 offen
	ds_read_b32 v51, v40
	s_waitcnt vmcnt(0) lgkmcnt(0)
	v_mul_f32_e32 v50, v50, v51
	s_cbranch_execz .LBB18_20
	s_branch .LBB18_21
.LBB18_19:
                                        ; implicit-def: $vgpr50
.LBB18_20:
	ds_read_b32 v50, v40
.LBB18_21:
	s_and_saveexec_b64 s[12:13], s[8:9]
	s_cbranch_execz .LBB18_25
; %bb.22:
	v_add_u32_e32 v51, -16, v0
	s_movk_i32 s14, 0x90
	s_mov_b64 s[8:9], 0
.LBB18_23:                              ; =>This Inner Loop Header: Depth=1
	buffer_load_dword v52, v49, s[0:3], 0 offen
	v_mov_b32_e32 v53, s14
	ds_read_b32 v53, v53
	v_add_u32_e32 v51, -1, v51
	s_add_i32 s14, s14, 4
	v_cmp_eq_u32_e32 vcc, 0, v51
	v_add_u32_e32 v49, 4, v49
	s_or_b64 s[8:9], vcc, s[8:9]
	s_waitcnt vmcnt(0) lgkmcnt(0)
	v_fmac_f32_e32 v50, v52, v53
	s_andn2_b64 exec, exec, s[8:9]
	s_cbranch_execnz .LBB18_23
; %bb.24:
	s_or_b64 exec, exec, s[8:9]
.LBB18_25:
	s_or_b64 exec, exec, s[12:13]
	v_mov_b32_e32 v49, 0
	ds_read_b32 v49, v49 offset:60
	s_waitcnt lgkmcnt(0)
	v_mul_f32_e32 v49, v50, v49
	buffer_store_dword v49, off, s[0:3], 0 offset:60
.LBB18_26:
	s_or_b64 exec, exec, s[4:5]
	buffer_load_dword v49, off, s[0:3], 0 offset:56
	v_cmp_lt_u32_e64 s[4:5], 14, v0
	s_waitcnt vmcnt(0)
	ds_write_b32 v40, v49
	s_waitcnt lgkmcnt(0)
	; wave barrier
	s_waitcnt lgkmcnt(0)
	s_and_saveexec_b64 s[8:9], s[4:5]
	s_cbranch_execz .LBB18_36
; %bb.27:
	s_andn2_b64 vcc, exec, s[10:11]
	s_cbranch_vccnz .LBB18_29
; %bb.28:
	buffer_load_dword v49, v41, s[0:3], 0 offen
	ds_read_b32 v50, v40
	s_waitcnt vmcnt(0) lgkmcnt(0)
	v_mul_f32_e32 v49, v49, v50
	s_cbranch_execz .LBB18_30
	s_branch .LBB18_31
.LBB18_29:
                                        ; implicit-def: $vgpr49
.LBB18_30:
	ds_read_b32 v49, v40
.LBB18_31:
	s_and_saveexec_b64 s[12:13], s[6:7]
	s_cbranch_execz .LBB18_35
; %bb.32:
	v_mov_b32_e32 v50, 0
	v_add_u32_e32 v50, 60, v50
	v_add_u32_e32 v51, -15, v0
	s_movk_i32 s14, 0x8c
	s_mov_b64 s[6:7], 0
.LBB18_33:                              ; =>This Inner Loop Header: Depth=1
	buffer_load_dword v52, v50, s[0:3], 0 offen
	v_mov_b32_e32 v53, s14
	ds_read_b32 v53, v53
	v_add_u32_e32 v51, -1, v51
	s_add_i32 s14, s14, 4
	v_cmp_eq_u32_e32 vcc, 0, v51
	v_add_u32_e32 v50, 4, v50
	s_or_b64 s[6:7], vcc, s[6:7]
	s_waitcnt vmcnt(0) lgkmcnt(0)
	v_fmac_f32_e32 v49, v52, v53
	s_andn2_b64 exec, exec, s[6:7]
	s_cbranch_execnz .LBB18_33
; %bb.34:
	s_or_b64 exec, exec, s[6:7]
.LBB18_35:
	s_or_b64 exec, exec, s[12:13]
	v_mov_b32_e32 v50, 0
	ds_read_b32 v50, v50 offset:56
	s_waitcnt lgkmcnt(0)
	v_mul_f32_e32 v49, v49, v50
	buffer_store_dword v49, off, s[0:3], 0 offset:56
.LBB18_36:
	s_or_b64 exec, exec, s[8:9]
	buffer_load_dword v49, off, s[0:3], 0 offset:52
	v_cmp_lt_u32_e64 s[6:7], 13, v0
	s_waitcnt vmcnt(0)
	ds_write_b32 v40, v49
	s_waitcnt lgkmcnt(0)
	; wave barrier
	s_waitcnt lgkmcnt(0)
	s_and_saveexec_b64 s[8:9], s[6:7]
	s_cbranch_execz .LBB18_46
; %bb.37:
	s_andn2_b64 vcc, exec, s[10:11]
	s_cbranch_vccnz .LBB18_39
; %bb.38:
	buffer_load_dword v49, v41, s[0:3], 0 offen
	ds_read_b32 v50, v40
	s_waitcnt vmcnt(0) lgkmcnt(0)
	v_mul_f32_e32 v49, v49, v50
	s_cbranch_execz .LBB18_40
	s_branch .LBB18_41
.LBB18_39:
                                        ; implicit-def: $vgpr49
.LBB18_40:
	ds_read_b32 v49, v40
.LBB18_41:
	s_and_saveexec_b64 s[12:13], s[4:5]
	s_cbranch_execz .LBB18_45
; %bb.42:
	v_add_u32_e32 v50, -14, v0
	s_movk_i32 s14, 0x88
	s_mov_b64 s[4:5], 0
.LBB18_43:                              ; =>This Inner Loop Header: Depth=1
	buffer_load_dword v51, v48, s[0:3], 0 offen
	v_mov_b32_e32 v52, s14
	ds_read_b32 v52, v52
	v_add_u32_e32 v50, -1, v50
	s_add_i32 s14, s14, 4
	v_cmp_eq_u32_e32 vcc, 0, v50
	v_add_u32_e32 v48, 4, v48
	s_or_b64 s[4:5], vcc, s[4:5]
	s_waitcnt vmcnt(0) lgkmcnt(0)
	v_fmac_f32_e32 v49, v51, v52
	s_andn2_b64 exec, exec, s[4:5]
	s_cbranch_execnz .LBB18_43
; %bb.44:
	s_or_b64 exec, exec, s[4:5]
.LBB18_45:
	s_or_b64 exec, exec, s[12:13]
	v_mov_b32_e32 v48, 0
	ds_read_b32 v48, v48 offset:52
	s_waitcnt lgkmcnt(0)
	v_mul_f32_e32 v48, v49, v48
	buffer_store_dword v48, off, s[0:3], 0 offset:52
.LBB18_46:
	s_or_b64 exec, exec, s[8:9]
	buffer_load_dword v48, off, s[0:3], 0 offset:48
	v_cmp_lt_u32_e64 s[4:5], 12, v0
	s_waitcnt vmcnt(0)
	ds_write_b32 v40, v48
	s_waitcnt lgkmcnt(0)
	; wave barrier
	s_waitcnt lgkmcnt(0)
	s_and_saveexec_b64 s[8:9], s[4:5]
	s_cbranch_execz .LBB18_56
; %bb.47:
	s_andn2_b64 vcc, exec, s[10:11]
	s_cbranch_vccnz .LBB18_49
; %bb.48:
	buffer_load_dword v48, v41, s[0:3], 0 offen
	ds_read_b32 v49, v40
	s_waitcnt vmcnt(0) lgkmcnt(0)
	v_mul_f32_e32 v48, v48, v49
	s_cbranch_execz .LBB18_50
	s_branch .LBB18_51
.LBB18_49:
                                        ; implicit-def: $vgpr48
.LBB18_50:
	ds_read_b32 v48, v40
.LBB18_51:
	s_and_saveexec_b64 s[12:13], s[6:7]
	s_cbranch_execz .LBB18_55
; %bb.52:
	v_mov_b32_e32 v49, 0
	v_add_u32_e32 v49, 52, v49
	v_add_u32_e32 v50, -13, v0
	s_movk_i32 s14, 0x84
	s_mov_b64 s[6:7], 0
.LBB18_53:                              ; =>This Inner Loop Header: Depth=1
	buffer_load_dword v51, v49, s[0:3], 0 offen
	v_mov_b32_e32 v52, s14
	ds_read_b32 v52, v52
	v_add_u32_e32 v50, -1, v50
	s_add_i32 s14, s14, 4
	v_cmp_eq_u32_e32 vcc, 0, v50
	v_add_u32_e32 v49, 4, v49
	s_or_b64 s[6:7], vcc, s[6:7]
	s_waitcnt vmcnt(0) lgkmcnt(0)
	v_fmac_f32_e32 v48, v51, v52
	s_andn2_b64 exec, exec, s[6:7]
	s_cbranch_execnz .LBB18_53
; %bb.54:
	s_or_b64 exec, exec, s[6:7]
.LBB18_55:
	s_or_b64 exec, exec, s[12:13]
	v_mov_b32_e32 v49, 0
	ds_read_b32 v49, v49 offset:48
	s_waitcnt lgkmcnt(0)
	v_mul_f32_e32 v48, v48, v49
	buffer_store_dword v48, off, s[0:3], 0 offset:48
.LBB18_56:
	s_or_b64 exec, exec, s[8:9]
	buffer_load_dword v48, off, s[0:3], 0 offset:44
	v_cmp_lt_u32_e64 s[6:7], 11, v0
	s_waitcnt vmcnt(0)
	ds_write_b32 v40, v48
	s_waitcnt lgkmcnt(0)
	; wave barrier
	s_waitcnt lgkmcnt(0)
	s_and_saveexec_b64 s[8:9], s[6:7]
	s_cbranch_execz .LBB18_66
; %bb.57:
	s_andn2_b64 vcc, exec, s[10:11]
	s_cbranch_vccnz .LBB18_59
; %bb.58:
	buffer_load_dword v48, v41, s[0:3], 0 offen
	ds_read_b32 v49, v40
	s_waitcnt vmcnt(0) lgkmcnt(0)
	v_mul_f32_e32 v48, v48, v49
	s_cbranch_execz .LBB18_60
	s_branch .LBB18_61
.LBB18_59:
                                        ; implicit-def: $vgpr48
.LBB18_60:
	ds_read_b32 v48, v40
.LBB18_61:
	s_and_saveexec_b64 s[12:13], s[4:5]
	s_cbranch_execz .LBB18_65
; %bb.62:
	v_add_u32_e32 v49, -12, v0
	s_movk_i32 s14, 0x80
	s_mov_b64 s[4:5], 0
.LBB18_63:                              ; =>This Inner Loop Header: Depth=1
	buffer_load_dword v50, v47, s[0:3], 0 offen
	v_mov_b32_e32 v51, s14
	ds_read_b32 v51, v51
	v_add_u32_e32 v49, -1, v49
	s_add_i32 s14, s14, 4
	v_cmp_eq_u32_e32 vcc, 0, v49
	v_add_u32_e32 v47, 4, v47
	s_or_b64 s[4:5], vcc, s[4:5]
	s_waitcnt vmcnt(0) lgkmcnt(0)
	v_fmac_f32_e32 v48, v50, v51
	s_andn2_b64 exec, exec, s[4:5]
	s_cbranch_execnz .LBB18_63
; %bb.64:
	s_or_b64 exec, exec, s[4:5]
.LBB18_65:
	s_or_b64 exec, exec, s[12:13]
	v_mov_b32_e32 v47, 0
	ds_read_b32 v47, v47 offset:44
	s_waitcnt lgkmcnt(0)
	v_mul_f32_e32 v47, v48, v47
	buffer_store_dword v47, off, s[0:3], 0 offset:44
.LBB18_66:
	s_or_b64 exec, exec, s[8:9]
	buffer_load_dword v47, off, s[0:3], 0 offset:40
	v_cmp_lt_u32_e64 s[4:5], 10, v0
	s_waitcnt vmcnt(0)
	ds_write_b32 v40, v47
	s_waitcnt lgkmcnt(0)
	; wave barrier
	s_waitcnt lgkmcnt(0)
	s_and_saveexec_b64 s[8:9], s[4:5]
	s_cbranch_execz .LBB18_76
; %bb.67:
	s_andn2_b64 vcc, exec, s[10:11]
	s_cbranch_vccnz .LBB18_69
; %bb.68:
	buffer_load_dword v47, v41, s[0:3], 0 offen
	ds_read_b32 v48, v40
	s_waitcnt vmcnt(0) lgkmcnt(0)
	v_mul_f32_e32 v47, v47, v48
	s_cbranch_execz .LBB18_70
	s_branch .LBB18_71
.LBB18_69:
                                        ; implicit-def: $vgpr47
.LBB18_70:
	ds_read_b32 v47, v40
.LBB18_71:
	s_and_saveexec_b64 s[12:13], s[6:7]
	s_cbranch_execz .LBB18_75
; %bb.72:
	v_mov_b32_e32 v48, 0
	v_add_u32_e32 v48, 44, v48
	v_add_u32_e32 v49, -11, v0
	s_movk_i32 s14, 0x7c
	s_mov_b64 s[6:7], 0
.LBB18_73:                              ; =>This Inner Loop Header: Depth=1
	buffer_load_dword v50, v48, s[0:3], 0 offen
	v_mov_b32_e32 v51, s14
	ds_read_b32 v51, v51
	v_add_u32_e32 v49, -1, v49
	s_add_i32 s14, s14, 4
	v_cmp_eq_u32_e32 vcc, 0, v49
	v_add_u32_e32 v48, 4, v48
	s_or_b64 s[6:7], vcc, s[6:7]
	s_waitcnt vmcnt(0) lgkmcnt(0)
	v_fmac_f32_e32 v47, v50, v51
	s_andn2_b64 exec, exec, s[6:7]
	s_cbranch_execnz .LBB18_73
; %bb.74:
	s_or_b64 exec, exec, s[6:7]
.LBB18_75:
	s_or_b64 exec, exec, s[12:13]
	v_mov_b32_e32 v48, 0
	ds_read_b32 v48, v48 offset:40
	s_waitcnt lgkmcnt(0)
	v_mul_f32_e32 v47, v47, v48
	buffer_store_dword v47, off, s[0:3], 0 offset:40
.LBB18_76:
	s_or_b64 exec, exec, s[8:9]
	buffer_load_dword v47, off, s[0:3], 0 offset:36
	v_cmp_lt_u32_e64 s[6:7], 9, v0
	s_waitcnt vmcnt(0)
	ds_write_b32 v40, v47
	s_waitcnt lgkmcnt(0)
	; wave barrier
	s_waitcnt lgkmcnt(0)
	s_and_saveexec_b64 s[8:9], s[6:7]
	s_cbranch_execz .LBB18_86
; %bb.77:
	s_andn2_b64 vcc, exec, s[10:11]
	s_cbranch_vccnz .LBB18_79
; %bb.78:
	buffer_load_dword v47, v41, s[0:3], 0 offen
	ds_read_b32 v48, v40
	s_waitcnt vmcnt(0) lgkmcnt(0)
	v_mul_f32_e32 v47, v47, v48
	s_cbranch_execz .LBB18_80
	s_branch .LBB18_81
.LBB18_79:
                                        ; implicit-def: $vgpr47
.LBB18_80:
	ds_read_b32 v47, v40
.LBB18_81:
	s_and_saveexec_b64 s[12:13], s[4:5]
	s_cbranch_execz .LBB18_85
; %bb.82:
	v_add_u32_e32 v48, -10, v0
	s_movk_i32 s14, 0x78
	s_mov_b64 s[4:5], 0
.LBB18_83:                              ; =>This Inner Loop Header: Depth=1
	buffer_load_dword v49, v46, s[0:3], 0 offen
	v_mov_b32_e32 v50, s14
	ds_read_b32 v50, v50
	v_add_u32_e32 v48, -1, v48
	s_add_i32 s14, s14, 4
	v_cmp_eq_u32_e32 vcc, 0, v48
	v_add_u32_e32 v46, 4, v46
	s_or_b64 s[4:5], vcc, s[4:5]
	s_waitcnt vmcnt(0) lgkmcnt(0)
	v_fmac_f32_e32 v47, v49, v50
	s_andn2_b64 exec, exec, s[4:5]
	s_cbranch_execnz .LBB18_83
; %bb.84:
	s_or_b64 exec, exec, s[4:5]
.LBB18_85:
	s_or_b64 exec, exec, s[12:13]
	v_mov_b32_e32 v46, 0
	ds_read_b32 v46, v46 offset:36
	s_waitcnt lgkmcnt(0)
	v_mul_f32_e32 v46, v47, v46
	buffer_store_dword v46, off, s[0:3], 0 offset:36
.LBB18_86:
	s_or_b64 exec, exec, s[8:9]
	buffer_load_dword v46, off, s[0:3], 0 offset:32
	v_cmp_lt_u32_e64 s[4:5], 8, v0
	s_waitcnt vmcnt(0)
	ds_write_b32 v40, v46
	s_waitcnt lgkmcnt(0)
	; wave barrier
	s_waitcnt lgkmcnt(0)
	s_and_saveexec_b64 s[8:9], s[4:5]
	s_cbranch_execz .LBB18_96
; %bb.87:
	s_andn2_b64 vcc, exec, s[10:11]
	s_cbranch_vccnz .LBB18_89
; %bb.88:
	buffer_load_dword v46, v41, s[0:3], 0 offen
	ds_read_b32 v47, v40
	s_waitcnt vmcnt(0) lgkmcnt(0)
	v_mul_f32_e32 v46, v46, v47
	s_cbranch_execz .LBB18_90
	s_branch .LBB18_91
.LBB18_89:
                                        ; implicit-def: $vgpr46
.LBB18_90:
	ds_read_b32 v46, v40
.LBB18_91:
	s_and_saveexec_b64 s[12:13], s[6:7]
	s_cbranch_execz .LBB18_95
; %bb.92:
	v_mov_b32_e32 v47, 0
	v_add_u32_e32 v47, 36, v47
	v_add_u32_e32 v48, -9, v0
	s_movk_i32 s14, 0x74
	s_mov_b64 s[6:7], 0
.LBB18_93:                              ; =>This Inner Loop Header: Depth=1
	buffer_load_dword v49, v47, s[0:3], 0 offen
	v_mov_b32_e32 v50, s14
	ds_read_b32 v50, v50
	v_add_u32_e32 v48, -1, v48
	s_add_i32 s14, s14, 4
	v_cmp_eq_u32_e32 vcc, 0, v48
	v_add_u32_e32 v47, 4, v47
	s_or_b64 s[6:7], vcc, s[6:7]
	s_waitcnt vmcnt(0) lgkmcnt(0)
	v_fmac_f32_e32 v46, v49, v50
	s_andn2_b64 exec, exec, s[6:7]
	s_cbranch_execnz .LBB18_93
; %bb.94:
	s_or_b64 exec, exec, s[6:7]
.LBB18_95:
	s_or_b64 exec, exec, s[12:13]
	v_mov_b32_e32 v47, 0
	ds_read_b32 v47, v47 offset:32
	s_waitcnt lgkmcnt(0)
	v_mul_f32_e32 v46, v46, v47
	buffer_store_dword v46, off, s[0:3], 0 offset:32
.LBB18_96:
	s_or_b64 exec, exec, s[8:9]
	buffer_load_dword v46, off, s[0:3], 0 offset:28
	v_cmp_lt_u32_e64 s[6:7], 7, v0
	s_waitcnt vmcnt(0)
	ds_write_b32 v40, v46
	s_waitcnt lgkmcnt(0)
	; wave barrier
	s_waitcnt lgkmcnt(0)
	s_and_saveexec_b64 s[8:9], s[6:7]
	s_cbranch_execz .LBB18_106
; %bb.97:
	s_andn2_b64 vcc, exec, s[10:11]
	s_cbranch_vccnz .LBB18_99
; %bb.98:
	buffer_load_dword v46, v41, s[0:3], 0 offen
	ds_read_b32 v47, v40
	s_waitcnt vmcnt(0) lgkmcnt(0)
	v_mul_f32_e32 v46, v46, v47
	s_cbranch_execz .LBB18_100
	s_branch .LBB18_101
.LBB18_99:
                                        ; implicit-def: $vgpr46
.LBB18_100:
	ds_read_b32 v46, v40
.LBB18_101:
	s_and_saveexec_b64 s[12:13], s[4:5]
	s_cbranch_execz .LBB18_105
; %bb.102:
	v_add_u32_e32 v47, -8, v0
	s_movk_i32 s14, 0x70
	s_mov_b64 s[4:5], 0
.LBB18_103:                             ; =>This Inner Loop Header: Depth=1
	buffer_load_dword v48, v45, s[0:3], 0 offen
	v_mov_b32_e32 v49, s14
	ds_read_b32 v49, v49
	v_add_u32_e32 v47, -1, v47
	s_add_i32 s14, s14, 4
	v_cmp_eq_u32_e32 vcc, 0, v47
	v_add_u32_e32 v45, 4, v45
	s_or_b64 s[4:5], vcc, s[4:5]
	s_waitcnt vmcnt(0) lgkmcnt(0)
	v_fmac_f32_e32 v46, v48, v49
	s_andn2_b64 exec, exec, s[4:5]
	s_cbranch_execnz .LBB18_103
; %bb.104:
	s_or_b64 exec, exec, s[4:5]
.LBB18_105:
	s_or_b64 exec, exec, s[12:13]
	v_mov_b32_e32 v45, 0
	ds_read_b32 v45, v45 offset:28
	s_waitcnt lgkmcnt(0)
	v_mul_f32_e32 v45, v46, v45
	buffer_store_dword v45, off, s[0:3], 0 offset:28
.LBB18_106:
	s_or_b64 exec, exec, s[8:9]
	buffer_load_dword v45, off, s[0:3], 0 offset:24
	v_cmp_lt_u32_e64 s[4:5], 6, v0
	s_waitcnt vmcnt(0)
	ds_write_b32 v40, v45
	s_waitcnt lgkmcnt(0)
	; wave barrier
	s_waitcnt lgkmcnt(0)
	s_and_saveexec_b64 s[8:9], s[4:5]
	s_cbranch_execz .LBB18_116
; %bb.107:
	s_andn2_b64 vcc, exec, s[10:11]
	s_cbranch_vccnz .LBB18_109
; %bb.108:
	buffer_load_dword v45, v41, s[0:3], 0 offen
	ds_read_b32 v46, v40
	s_waitcnt vmcnt(0) lgkmcnt(0)
	v_mul_f32_e32 v45, v45, v46
	s_cbranch_execz .LBB18_110
	s_branch .LBB18_111
.LBB18_109:
                                        ; implicit-def: $vgpr45
.LBB18_110:
	ds_read_b32 v45, v40
.LBB18_111:
	s_and_saveexec_b64 s[12:13], s[6:7]
	s_cbranch_execz .LBB18_115
; %bb.112:
	v_mov_b32_e32 v46, 0
	v_add_u32_e32 v46, 28, v46
	v_add_u32_e32 v47, -7, v0
	s_movk_i32 s14, 0x6c
	s_mov_b64 s[6:7], 0
.LBB18_113:                             ; =>This Inner Loop Header: Depth=1
	buffer_load_dword v48, v46, s[0:3], 0 offen
	v_mov_b32_e32 v49, s14
	ds_read_b32 v49, v49
	v_add_u32_e32 v47, -1, v47
	s_add_i32 s14, s14, 4
	v_cmp_eq_u32_e32 vcc, 0, v47
	v_add_u32_e32 v46, 4, v46
	s_or_b64 s[6:7], vcc, s[6:7]
	s_waitcnt vmcnt(0) lgkmcnt(0)
	v_fmac_f32_e32 v45, v48, v49
	s_andn2_b64 exec, exec, s[6:7]
	s_cbranch_execnz .LBB18_113
; %bb.114:
	s_or_b64 exec, exec, s[6:7]
.LBB18_115:
	s_or_b64 exec, exec, s[12:13]
	v_mov_b32_e32 v46, 0
	ds_read_b32 v46, v46 offset:24
	s_waitcnt lgkmcnt(0)
	v_mul_f32_e32 v45, v45, v46
	buffer_store_dword v45, off, s[0:3], 0 offset:24
.LBB18_116:
	s_or_b64 exec, exec, s[8:9]
	buffer_load_dword v45, off, s[0:3], 0 offset:20
	v_cmp_lt_u32_e64 s[6:7], 5, v0
	s_waitcnt vmcnt(0)
	ds_write_b32 v40, v45
	s_waitcnt lgkmcnt(0)
	; wave barrier
	s_waitcnt lgkmcnt(0)
	s_and_saveexec_b64 s[8:9], s[6:7]
	s_cbranch_execz .LBB18_126
; %bb.117:
	s_andn2_b64 vcc, exec, s[10:11]
	s_cbranch_vccnz .LBB18_119
; %bb.118:
	buffer_load_dword v45, v41, s[0:3], 0 offen
	ds_read_b32 v46, v40
	s_waitcnt vmcnt(0) lgkmcnt(0)
	v_mul_f32_e32 v45, v45, v46
	s_cbranch_execz .LBB18_120
	s_branch .LBB18_121
.LBB18_119:
                                        ; implicit-def: $vgpr45
.LBB18_120:
	ds_read_b32 v45, v40
.LBB18_121:
	s_and_saveexec_b64 s[12:13], s[4:5]
	s_cbranch_execz .LBB18_125
; %bb.122:
	v_add_u32_e32 v46, -6, v0
	s_movk_i32 s14, 0x68
	s_mov_b64 s[4:5], 0
.LBB18_123:                             ; =>This Inner Loop Header: Depth=1
	buffer_load_dword v47, v44, s[0:3], 0 offen
	v_mov_b32_e32 v48, s14
	ds_read_b32 v48, v48
	v_add_u32_e32 v46, -1, v46
	s_add_i32 s14, s14, 4
	v_cmp_eq_u32_e32 vcc, 0, v46
	v_add_u32_e32 v44, 4, v44
	s_or_b64 s[4:5], vcc, s[4:5]
	s_waitcnt vmcnt(0) lgkmcnt(0)
	v_fmac_f32_e32 v45, v47, v48
	s_andn2_b64 exec, exec, s[4:5]
	s_cbranch_execnz .LBB18_123
; %bb.124:
	s_or_b64 exec, exec, s[4:5]
.LBB18_125:
	s_or_b64 exec, exec, s[12:13]
	v_mov_b32_e32 v44, 0
	ds_read_b32 v44, v44 offset:20
	s_waitcnt lgkmcnt(0)
	v_mul_f32_e32 v44, v45, v44
	buffer_store_dword v44, off, s[0:3], 0 offset:20
.LBB18_126:
	s_or_b64 exec, exec, s[8:9]
	buffer_load_dword v44, off, s[0:3], 0 offset:16
	v_cmp_lt_u32_e64 s[4:5], 4, v0
	s_waitcnt vmcnt(0)
	ds_write_b32 v40, v44
	s_waitcnt lgkmcnt(0)
	; wave barrier
	s_waitcnt lgkmcnt(0)
	s_and_saveexec_b64 s[8:9], s[4:5]
	s_cbranch_execz .LBB18_136
; %bb.127:
	s_andn2_b64 vcc, exec, s[10:11]
	s_cbranch_vccnz .LBB18_129
; %bb.128:
	buffer_load_dword v44, v41, s[0:3], 0 offen
	ds_read_b32 v45, v40
	s_waitcnt vmcnt(0) lgkmcnt(0)
	v_mul_f32_e32 v44, v44, v45
	s_cbranch_execz .LBB18_130
	s_branch .LBB18_131
.LBB18_129:
                                        ; implicit-def: $vgpr44
.LBB18_130:
	ds_read_b32 v44, v40
.LBB18_131:
	s_and_saveexec_b64 s[12:13], s[6:7]
	s_cbranch_execz .LBB18_135
; %bb.132:
	v_mov_b32_e32 v45, 0
	v_add_u32_e32 v45, 20, v45
	v_add_u32_e32 v46, -5, v0
	s_movk_i32 s14, 0x64
	s_mov_b64 s[6:7], 0
.LBB18_133:                             ; =>This Inner Loop Header: Depth=1
	buffer_load_dword v47, v45, s[0:3], 0 offen
	v_mov_b32_e32 v48, s14
	ds_read_b32 v48, v48
	v_add_u32_e32 v46, -1, v46
	s_add_i32 s14, s14, 4
	v_cmp_eq_u32_e32 vcc, 0, v46
	v_add_u32_e32 v45, 4, v45
	s_or_b64 s[6:7], vcc, s[6:7]
	s_waitcnt vmcnt(0) lgkmcnt(0)
	v_fmac_f32_e32 v44, v47, v48
	s_andn2_b64 exec, exec, s[6:7]
	s_cbranch_execnz .LBB18_133
; %bb.134:
	s_or_b64 exec, exec, s[6:7]
.LBB18_135:
	s_or_b64 exec, exec, s[12:13]
	v_mov_b32_e32 v45, 0
	ds_read_b32 v45, v45 offset:16
	s_waitcnt lgkmcnt(0)
	v_mul_f32_e32 v44, v44, v45
	buffer_store_dword v44, off, s[0:3], 0 offset:16
.LBB18_136:
	s_or_b64 exec, exec, s[8:9]
	buffer_load_dword v44, off, s[0:3], 0 offset:12
	v_cmp_lt_u32_e64 s[6:7], 3, v0
	s_waitcnt vmcnt(0)
	ds_write_b32 v40, v44
	s_waitcnt lgkmcnt(0)
	; wave barrier
	s_waitcnt lgkmcnt(0)
	s_and_saveexec_b64 s[8:9], s[6:7]
	s_cbranch_execz .LBB18_146
; %bb.137:
	s_andn2_b64 vcc, exec, s[10:11]
	s_cbranch_vccnz .LBB18_139
; %bb.138:
	buffer_load_dword v44, v41, s[0:3], 0 offen
	ds_read_b32 v45, v40
	s_waitcnt vmcnt(0) lgkmcnt(0)
	v_mul_f32_e32 v44, v44, v45
	s_cbranch_execz .LBB18_140
	s_branch .LBB18_141
.LBB18_139:
                                        ; implicit-def: $vgpr44
.LBB18_140:
	ds_read_b32 v44, v40
.LBB18_141:
	s_and_saveexec_b64 s[12:13], s[4:5]
	s_cbranch_execz .LBB18_145
; %bb.142:
	v_add_u32_e32 v45, -4, v0
	s_movk_i32 s14, 0x60
	s_mov_b64 s[4:5], 0
.LBB18_143:                             ; =>This Inner Loop Header: Depth=1
	buffer_load_dword v46, v43, s[0:3], 0 offen
	v_mov_b32_e32 v47, s14
	ds_read_b32 v47, v47
	v_add_u32_e32 v45, -1, v45
	s_add_i32 s14, s14, 4
	v_cmp_eq_u32_e32 vcc, 0, v45
	v_add_u32_e32 v43, 4, v43
	s_or_b64 s[4:5], vcc, s[4:5]
	s_waitcnt vmcnt(0) lgkmcnt(0)
	v_fmac_f32_e32 v44, v46, v47
	s_andn2_b64 exec, exec, s[4:5]
	s_cbranch_execnz .LBB18_143
; %bb.144:
	s_or_b64 exec, exec, s[4:5]
.LBB18_145:
	s_or_b64 exec, exec, s[12:13]
	v_mov_b32_e32 v43, 0
	ds_read_b32 v43, v43 offset:12
	s_waitcnt lgkmcnt(0)
	v_mul_f32_e32 v43, v44, v43
	buffer_store_dword v43, off, s[0:3], 0 offset:12
.LBB18_146:
	s_or_b64 exec, exec, s[8:9]
	buffer_load_dword v43, off, s[0:3], 0 offset:8
	v_cmp_lt_u32_e64 s[4:5], 2, v0
	s_waitcnt vmcnt(0)
	ds_write_b32 v40, v43
	s_waitcnt lgkmcnt(0)
	; wave barrier
	s_waitcnt lgkmcnt(0)
	s_and_saveexec_b64 s[8:9], s[4:5]
	s_cbranch_execz .LBB18_156
; %bb.147:
	s_andn2_b64 vcc, exec, s[10:11]
	s_cbranch_vccnz .LBB18_149
; %bb.148:
	buffer_load_dword v43, v41, s[0:3], 0 offen
	ds_read_b32 v44, v40
	s_waitcnt vmcnt(0) lgkmcnt(0)
	v_mul_f32_e32 v43, v43, v44
	s_cbranch_execz .LBB18_150
	s_branch .LBB18_151
.LBB18_149:
                                        ; implicit-def: $vgpr43
.LBB18_150:
	ds_read_b32 v43, v40
.LBB18_151:
	s_and_saveexec_b64 s[12:13], s[6:7]
	s_cbranch_execz .LBB18_155
; %bb.152:
	v_mov_b32_e32 v44, 0
	v_or_b32_e32 v44, 12, v44
	v_add_u32_e32 v45, -3, v0
	s_movk_i32 s14, 0x5c
	s_mov_b64 s[6:7], 0
.LBB18_153:                             ; =>This Inner Loop Header: Depth=1
	buffer_load_dword v46, v44, s[0:3], 0 offen
	v_mov_b32_e32 v47, s14
	ds_read_b32 v47, v47
	v_add_u32_e32 v45, -1, v45
	s_add_i32 s14, s14, 4
	v_cmp_eq_u32_e32 vcc, 0, v45
	v_add_u32_e32 v44, 4, v44
	s_or_b64 s[6:7], vcc, s[6:7]
	s_waitcnt vmcnt(0) lgkmcnt(0)
	v_fmac_f32_e32 v43, v46, v47
	s_andn2_b64 exec, exec, s[6:7]
	s_cbranch_execnz .LBB18_153
; %bb.154:
	s_or_b64 exec, exec, s[6:7]
.LBB18_155:
	s_or_b64 exec, exec, s[12:13]
	v_mov_b32_e32 v44, 0
	ds_read_b32 v44, v44 offset:8
	s_waitcnt lgkmcnt(0)
	v_mul_f32_e32 v43, v43, v44
	buffer_store_dword v43, off, s[0:3], 0 offset:8
.LBB18_156:
	s_or_b64 exec, exec, s[8:9]
	buffer_load_dword v43, off, s[0:3], 0 offset:4
	v_cmp_lt_u32_e64 s[6:7], 1, v0
	s_waitcnt vmcnt(0)
	ds_write_b32 v40, v43
	s_waitcnt lgkmcnt(0)
	; wave barrier
	s_waitcnt lgkmcnt(0)
	s_and_saveexec_b64 s[8:9], s[6:7]
	s_cbranch_execz .LBB18_166
; %bb.157:
	s_andn2_b64 vcc, exec, s[10:11]
	s_cbranch_vccnz .LBB18_159
; %bb.158:
	buffer_load_dword v43, v41, s[0:3], 0 offen
	ds_read_b32 v44, v40
	s_waitcnt vmcnt(0) lgkmcnt(0)
	v_mul_f32_e32 v43, v43, v44
	s_cbranch_execz .LBB18_160
	s_branch .LBB18_161
.LBB18_159:
                                        ; implicit-def: $vgpr43
.LBB18_160:
	ds_read_b32 v43, v40
.LBB18_161:
	s_and_saveexec_b64 s[12:13], s[4:5]
	s_cbranch_execz .LBB18_165
; %bb.162:
	v_add_u32_e32 v44, -2, v0
	s_movk_i32 s14, 0x58
	s_mov_b64 s[4:5], 0
.LBB18_163:                             ; =>This Inner Loop Header: Depth=1
	buffer_load_dword v45, v42, s[0:3], 0 offen
	v_mov_b32_e32 v46, s14
	ds_read_b32 v46, v46
	v_add_u32_e32 v44, -1, v44
	s_add_i32 s14, s14, 4
	v_cmp_eq_u32_e32 vcc, 0, v44
	v_add_u32_e32 v42, 4, v42
	s_or_b64 s[4:5], vcc, s[4:5]
	s_waitcnt vmcnt(0) lgkmcnt(0)
	v_fmac_f32_e32 v43, v45, v46
	s_andn2_b64 exec, exec, s[4:5]
	s_cbranch_execnz .LBB18_163
; %bb.164:
	s_or_b64 exec, exec, s[4:5]
.LBB18_165:
	s_or_b64 exec, exec, s[12:13]
	v_mov_b32_e32 v42, 0
	ds_read_b32 v42, v42 offset:4
	s_waitcnt lgkmcnt(0)
	v_mul_f32_e32 v42, v43, v42
	buffer_store_dword v42, off, s[0:3], 0 offset:4
.LBB18_166:
	s_or_b64 exec, exec, s[8:9]
	buffer_load_dword v42, off, s[0:3], 0
	v_cmp_ne_u32_e32 vcc, 0, v0
	s_waitcnt vmcnt(0)
	ds_write_b32 v40, v42
	s_waitcnt lgkmcnt(0)
	; wave barrier
	s_waitcnt lgkmcnt(0)
	s_and_saveexec_b64 s[4:5], vcc
	s_cbranch_execz .LBB18_176
; %bb.167:
	s_andn2_b64 vcc, exec, s[10:11]
	s_cbranch_vccnz .LBB18_169
; %bb.168:
	buffer_load_dword v42, v41, s[0:3], 0 offen
	ds_read_b32 v43, v40
	s_waitcnt vmcnt(0) lgkmcnt(0)
	v_mul_f32_e32 v42, v42, v43
	s_cbranch_execz .LBB18_170
	s_branch .LBB18_171
.LBB18_169:
                                        ; implicit-def: $vgpr42
.LBB18_170:
	ds_read_b32 v42, v40
.LBB18_171:
	s_and_saveexec_b64 s[8:9], s[6:7]
	s_cbranch_execz .LBB18_175
; %bb.172:
	v_mov_b32_e32 v43, 0
	v_or_b32_e32 v43, 4, v43
	v_add_u32_e32 v44, -1, v0
	s_movk_i32 s12, 0x54
	s_mov_b64 s[6:7], 0
.LBB18_173:                             ; =>This Inner Loop Header: Depth=1
	buffer_load_dword v45, v43, s[0:3], 0 offen
	v_mov_b32_e32 v46, s12
	ds_read_b32 v46, v46
	v_add_u32_e32 v44, -1, v44
	s_add_i32 s12, s12, 4
	v_cmp_eq_u32_e32 vcc, 0, v44
	v_add_u32_e32 v43, 4, v43
	s_or_b64 s[6:7], vcc, s[6:7]
	s_waitcnt vmcnt(0) lgkmcnt(0)
	v_fmac_f32_e32 v42, v45, v46
	s_andn2_b64 exec, exec, s[6:7]
	s_cbranch_execnz .LBB18_173
; %bb.174:
	s_or_b64 exec, exec, s[6:7]
.LBB18_175:
	s_or_b64 exec, exec, s[8:9]
	v_mov_b32_e32 v43, 0
	ds_read_b32 v43, v43
	s_waitcnt lgkmcnt(0)
	v_mul_f32_e32 v42, v42, v43
	buffer_store_dword v42, off, s[0:3], 0
.LBB18_176:
	s_or_b64 exec, exec, s[4:5]
	s_mov_b64 s[4:5], 0
.LBB18_177:
	s_and_b64 vcc, exec, s[4:5]
	s_cbranch_vccz .LBB18_351
; %bb.178:
	buffer_load_dword v42, off, s[0:3], 0 offset:4
	v_cmp_eq_u32_e64 s[6:7], 0, v0
	s_waitcnt vmcnt(0)
	ds_write_b32 v40, v42
	s_waitcnt lgkmcnt(0)
	; wave barrier
	s_waitcnt lgkmcnt(0)
	s_and_saveexec_b64 s[4:5], s[6:7]
	s_cbranch_execz .LBB18_184
; %bb.179:
	s_and_b64 vcc, exec, s[10:11]
	s_cbranch_vccz .LBB18_181
; %bb.180:
	buffer_load_dword v42, v41, s[0:3], 0 offen
	ds_read_b32 v43, v40
	s_waitcnt vmcnt(0) lgkmcnt(0)
	v_mul_f32_e32 v42, v42, v43
	s_cbranch_execz .LBB18_182
	s_branch .LBB18_183
.LBB18_181:
                                        ; implicit-def: $vgpr42
.LBB18_182:
	ds_read_b32 v42, v40
.LBB18_183:
	v_mov_b32_e32 v43, 0
	ds_read_b32 v43, v43 offset:4
	s_waitcnt lgkmcnt(0)
	v_mul_f32_e32 v42, v42, v43
	buffer_store_dword v42, off, s[0:3], 0 offset:4
.LBB18_184:
	s_or_b64 exec, exec, s[4:5]
	buffer_load_dword v42, off, s[0:3], 0 offset:8
	v_cndmask_b32_e64 v43, 0, 1, s[10:11]
	v_cmp_gt_u32_e32 vcc, 2, v0
	v_cmp_ne_u32_e64 s[4:5], 1, v43
	s_waitcnt vmcnt(0)
	ds_write_b32 v40, v42
	s_waitcnt lgkmcnt(0)
	; wave barrier
	s_waitcnt lgkmcnt(0)
	s_and_saveexec_b64 s[8:9], vcc
	s_cbranch_execz .LBB18_192
; %bb.185:
	s_and_b64 vcc, exec, s[4:5]
	s_cbranch_vccnz .LBB18_187
; %bb.186:
	buffer_load_dword v42, v41, s[0:3], 0 offen
	ds_read_b32 v43, v40
	s_waitcnt vmcnt(0) lgkmcnt(0)
	v_mul_f32_e32 v42, v42, v43
	s_cbranch_execz .LBB18_188
	s_branch .LBB18_189
.LBB18_187:
                                        ; implicit-def: $vgpr42
.LBB18_188:
	ds_read_b32 v42, v40
.LBB18_189:
	s_and_saveexec_b64 s[10:11], s[6:7]
	s_cbranch_execz .LBB18_191
; %bb.190:
	buffer_load_dword v43, v41, s[0:3], 0 offen offset:4
	ds_read_b32 v44, v40 offset:4
	s_waitcnt vmcnt(0) lgkmcnt(0)
	v_fmac_f32_e32 v42, v43, v44
.LBB18_191:
	s_or_b64 exec, exec, s[10:11]
	v_mov_b32_e32 v43, 0
	ds_read_b32 v43, v43 offset:8
	s_waitcnt lgkmcnt(0)
	v_mul_f32_e32 v42, v42, v43
	buffer_store_dword v42, off, s[0:3], 0 offset:8
.LBB18_192:
	s_or_b64 exec, exec, s[8:9]
	buffer_load_dword v42, off, s[0:3], 0 offset:12
	v_cmp_gt_u32_e32 vcc, 3, v0
	s_waitcnt vmcnt(0)
	ds_write_b32 v40, v42
	s_waitcnt lgkmcnt(0)
	; wave barrier
	s_waitcnt lgkmcnt(0)
	s_and_saveexec_b64 s[8:9], vcc
	s_cbranch_execz .LBB18_200
; %bb.193:
	s_and_b64 vcc, exec, s[4:5]
	s_cbranch_vccnz .LBB18_195
; %bb.194:
	buffer_load_dword v42, v41, s[0:3], 0 offen
	ds_read_b32 v43, v40
	s_waitcnt vmcnt(0) lgkmcnt(0)
	v_mul_f32_e32 v42, v42, v43
	s_cbranch_execz .LBB18_196
	s_branch .LBB18_197
.LBB18_195:
                                        ; implicit-def: $vgpr42
.LBB18_196:
	ds_read_b32 v42, v40
.LBB18_197:
	v_cmp_ne_u32_e32 vcc, 2, v0
	s_and_saveexec_b64 s[10:11], vcc
	s_cbranch_execz .LBB18_199
; %bb.198:
	buffer_load_dword v43, v41, s[0:3], 0 offen offset:4
	buffer_load_dword v44, off, s[0:3], 0 offset:8
	v_mov_b32_e32 v45, 0
	ds_read_b32 v46, v40 offset:4
	ds_read_b32 v45, v45 offset:88
	s_waitcnt vmcnt(1) lgkmcnt(1)
	v_fmac_f32_e32 v42, v43, v46
	s_waitcnt vmcnt(0) lgkmcnt(0)
	v_fma_f32 v43, v44, v45, v42
	v_cndmask_b32_e64 v42, v42, v43, s[6:7]
.LBB18_199:
	s_or_b64 exec, exec, s[10:11]
	v_mov_b32_e32 v43, 0
	ds_read_b32 v43, v43 offset:12
	s_waitcnt lgkmcnt(0)
	v_mul_f32_e32 v42, v42, v43
	buffer_store_dword v42, off, s[0:3], 0 offset:12
.LBB18_200:
	s_or_b64 exec, exec, s[8:9]
	buffer_load_dword v42, off, s[0:3], 0 offset:16
	v_cmp_gt_u32_e32 vcc, 4, v0
	s_waitcnt vmcnt(0)
	ds_write_b32 v40, v42
	s_waitcnt lgkmcnt(0)
	; wave barrier
	s_waitcnt lgkmcnt(0)
	s_and_saveexec_b64 s[6:7], vcc
	s_cbranch_execz .LBB18_210
; %bb.201:
	s_and_b64 vcc, exec, s[4:5]
	s_cbranch_vccnz .LBB18_203
; %bb.202:
	buffer_load_dword v42, v41, s[0:3], 0 offen
	ds_read_b32 v43, v40
	s_waitcnt vmcnt(0) lgkmcnt(0)
	v_mul_f32_e32 v42, v42, v43
	s_cbranch_execz .LBB18_204
	s_branch .LBB18_205
.LBB18_203:
                                        ; implicit-def: $vgpr42
.LBB18_204:
	ds_read_b32 v42, v40
.LBB18_205:
	v_cmp_ne_u32_e32 vcc, 3, v0
	s_and_saveexec_b64 s[8:9], vcc
	s_cbranch_execz .LBB18_209
; %bb.206:
	v_mov_b32_e32 v44, 0
	v_add_u32_e32 v43, 0x54, v1
	v_add3_u32 v44, v1, v44, 4
	s_mov_b64 s[10:11], 0
	v_mov_b32_e32 v45, v0
.LBB18_207:                             ; =>This Inner Loop Header: Depth=1
	buffer_load_dword v46, v44, s[0:3], 0 offen
	ds_read_b32 v47, v43
	v_add_u32_e32 v45, 1, v45
	v_cmp_lt_u32_e32 vcc, 2, v45
	v_add_u32_e32 v43, 4, v43
	v_add_u32_e32 v44, 4, v44
	s_or_b64 s[10:11], vcc, s[10:11]
	s_waitcnt vmcnt(0) lgkmcnt(0)
	v_fmac_f32_e32 v42, v46, v47
	s_andn2_b64 exec, exec, s[10:11]
	s_cbranch_execnz .LBB18_207
; %bb.208:
	s_or_b64 exec, exec, s[10:11]
.LBB18_209:
	s_or_b64 exec, exec, s[8:9]
	v_mov_b32_e32 v43, 0
	ds_read_b32 v43, v43 offset:16
	s_waitcnt lgkmcnt(0)
	v_mul_f32_e32 v42, v42, v43
	buffer_store_dword v42, off, s[0:3], 0 offset:16
.LBB18_210:
	s_or_b64 exec, exec, s[6:7]
	buffer_load_dword v42, off, s[0:3], 0 offset:20
	v_cmp_gt_u32_e32 vcc, 5, v0
	s_waitcnt vmcnt(0)
	ds_write_b32 v40, v42
	s_waitcnt lgkmcnt(0)
	; wave barrier
	s_waitcnt lgkmcnt(0)
	s_and_saveexec_b64 s[6:7], vcc
	s_cbranch_execz .LBB18_220
; %bb.211:
	s_and_b64 vcc, exec, s[4:5]
	s_cbranch_vccnz .LBB18_213
; %bb.212:
	buffer_load_dword v42, v41, s[0:3], 0 offen
	ds_read_b32 v43, v40
	s_waitcnt vmcnt(0) lgkmcnt(0)
	v_mul_f32_e32 v42, v42, v43
	s_cbranch_execz .LBB18_214
	s_branch .LBB18_215
.LBB18_213:
                                        ; implicit-def: $vgpr42
.LBB18_214:
	ds_read_b32 v42, v40
.LBB18_215:
	v_cmp_ne_u32_e32 vcc, 4, v0
	s_and_saveexec_b64 s[8:9], vcc
	s_cbranch_execz .LBB18_219
; %bb.216:
	v_mov_b32_e32 v44, 0
	v_add_u32_e32 v43, 0x54, v1
	v_add3_u32 v44, v1, v44, 4
	s_mov_b64 s[10:11], 0
	v_mov_b32_e32 v45, v0
.LBB18_217:                             ; =>This Inner Loop Header: Depth=1
	buffer_load_dword v46, v44, s[0:3], 0 offen
	ds_read_b32 v47, v43
	v_add_u32_e32 v45, 1, v45
	v_cmp_lt_u32_e32 vcc, 3, v45
	v_add_u32_e32 v43, 4, v43
	v_add_u32_e32 v44, 4, v44
	s_or_b64 s[10:11], vcc, s[10:11]
	s_waitcnt vmcnt(0) lgkmcnt(0)
	v_fmac_f32_e32 v42, v46, v47
	s_andn2_b64 exec, exec, s[10:11]
	s_cbranch_execnz .LBB18_217
; %bb.218:
	s_or_b64 exec, exec, s[10:11]
.LBB18_219:
	s_or_b64 exec, exec, s[8:9]
	v_mov_b32_e32 v43, 0
	ds_read_b32 v43, v43 offset:20
	s_waitcnt lgkmcnt(0)
	v_mul_f32_e32 v42, v42, v43
	buffer_store_dword v42, off, s[0:3], 0 offset:20
.LBB18_220:
	;; [unrolled: 56-line block ×13, first 2 shown]
	s_or_b64 exec, exec, s[6:7]
	buffer_load_dword v42, off, s[0:3], 0 offset:68
	v_cmp_gt_u32_e64 s[6:7], 17, v0
	s_waitcnt vmcnt(0)
	ds_write_b32 v40, v42
	s_waitcnt lgkmcnt(0)
	; wave barrier
	s_waitcnt lgkmcnt(0)
	s_and_saveexec_b64 s[8:9], s[6:7]
	s_cbranch_execz .LBB18_340
; %bb.331:
	s_and_b64 vcc, exec, s[4:5]
	s_cbranch_vccnz .LBB18_333
; %bb.332:
	buffer_load_dword v42, v41, s[0:3], 0 offen
	ds_read_b32 v43, v40
	s_waitcnt vmcnt(0) lgkmcnt(0)
	v_mul_f32_e32 v42, v42, v43
	s_cbranch_execz .LBB18_334
	s_branch .LBB18_335
.LBB18_333:
                                        ; implicit-def: $vgpr42
.LBB18_334:
	ds_read_b32 v42, v40
.LBB18_335:
	v_cmp_ne_u32_e32 vcc, 16, v0
	s_and_saveexec_b64 s[10:11], vcc
	s_cbranch_execz .LBB18_339
; %bb.336:
	v_mov_b32_e32 v44, 0
	v_add_u32_e32 v43, 0x54, v1
	v_add3_u32 v44, v1, v44, 4
	s_mov_b64 s[12:13], 0
	v_mov_b32_e32 v45, v0
.LBB18_337:                             ; =>This Inner Loop Header: Depth=1
	buffer_load_dword v46, v44, s[0:3], 0 offen
	ds_read_b32 v47, v43
	v_add_u32_e32 v45, 1, v45
	v_cmp_lt_u32_e32 vcc, 15, v45
	v_add_u32_e32 v43, 4, v43
	v_add_u32_e32 v44, 4, v44
	s_or_b64 s[12:13], vcc, s[12:13]
	s_waitcnt vmcnt(0) lgkmcnt(0)
	v_fmac_f32_e32 v42, v46, v47
	s_andn2_b64 exec, exec, s[12:13]
	s_cbranch_execnz .LBB18_337
; %bb.338:
	s_or_b64 exec, exec, s[12:13]
.LBB18_339:
	s_or_b64 exec, exec, s[10:11]
	v_mov_b32_e32 v43, 0
	ds_read_b32 v43, v43 offset:68
	s_waitcnt lgkmcnt(0)
	v_mul_f32_e32 v42, v42, v43
	buffer_store_dword v42, off, s[0:3], 0 offset:68
.LBB18_340:
	s_or_b64 exec, exec, s[8:9]
	buffer_load_dword v42, off, s[0:3], 0 offset:72
	v_cmp_ne_u32_e32 vcc, 18, v0
	s_waitcnt vmcnt(0)
	ds_write_b32 v40, v42
	s_waitcnt lgkmcnt(0)
	; wave barrier
	s_waitcnt lgkmcnt(0)
	s_and_saveexec_b64 s[8:9], vcc
	s_cbranch_execz .LBB18_350
; %bb.341:
	s_and_b64 vcc, exec, s[4:5]
	s_cbranch_vccnz .LBB18_343
; %bb.342:
	buffer_load_dword v41, v41, s[0:3], 0 offen
	ds_read_b32 v42, v40
	s_waitcnt vmcnt(0) lgkmcnt(0)
	v_mul_f32_e32 v41, v41, v42
	s_cbranch_execz .LBB18_344
	s_branch .LBB18_345
.LBB18_343:
                                        ; implicit-def: $vgpr41
.LBB18_344:
	ds_read_b32 v41, v40
.LBB18_345:
	s_and_saveexec_b64 s[4:5], s[6:7]
	s_cbranch_execz .LBB18_349
; %bb.346:
	v_mov_b32_e32 v42, 0
	v_add_u32_e32 v40, 0x54, v1
	v_add3_u32 v1, v1, v42, 4
	s_mov_b64 s[6:7], 0
.LBB18_347:                             ; =>This Inner Loop Header: Depth=1
	buffer_load_dword v42, v1, s[0:3], 0 offen
	ds_read_b32 v43, v40
	v_add_u32_e32 v0, 1, v0
	v_cmp_lt_u32_e32 vcc, 16, v0
	v_add_u32_e32 v40, 4, v40
	v_add_u32_e32 v1, 4, v1
	s_or_b64 s[6:7], vcc, s[6:7]
	s_waitcnt vmcnt(0) lgkmcnt(0)
	v_fmac_f32_e32 v41, v42, v43
	s_andn2_b64 exec, exec, s[6:7]
	s_cbranch_execnz .LBB18_347
; %bb.348:
	s_or_b64 exec, exec, s[6:7]
.LBB18_349:
	s_or_b64 exec, exec, s[4:5]
	v_mov_b32_e32 v0, 0
	ds_read_b32 v0, v0 offset:72
	s_waitcnt lgkmcnt(0)
	v_mul_f32_e32 v0, v41, v0
	buffer_store_dword v0, off, s[0:3], 0 offset:72
.LBB18_350:
	s_or_b64 exec, exec, s[8:9]
.LBB18_351:
	buffer_load_dword v0, off, s[0:3], 0
	buffer_load_dword v1, off, s[0:3], 0 offset:4
	buffer_load_dword v40, off, s[0:3], 0 offset:8
	buffer_load_dword v41, off, s[0:3], 0 offset:12
	buffer_load_dword v42, off, s[0:3], 0 offset:16
	buffer_load_dword v43, off, s[0:3], 0 offset:20
	buffer_load_dword v44, off, s[0:3], 0 offset:24
	buffer_load_dword v45, off, s[0:3], 0 offset:28
	buffer_load_dword v46, off, s[0:3], 0 offset:32
	buffer_load_dword v47, off, s[0:3], 0 offset:36
	buffer_load_dword v48, off, s[0:3], 0 offset:40
	buffer_load_dword v49, off, s[0:3], 0 offset:44
	buffer_load_dword v50, off, s[0:3], 0 offset:48
	buffer_load_dword v51, off, s[0:3], 0 offset:52
	buffer_load_dword v52, off, s[0:3], 0 offset:56
	buffer_load_dword v53, off, s[0:3], 0 offset:60
	buffer_load_dword v54, off, s[0:3], 0 offset:64
	buffer_load_dword v55, off, s[0:3], 0 offset:68
	buffer_load_dword v56, off, s[0:3], 0 offset:72
	s_waitcnt vmcnt(18)
	global_store_dword v[2:3], v0, off
	s_waitcnt vmcnt(18)
	global_store_dword v[4:5], v1, off
	;; [unrolled: 2-line block ×19, first 2 shown]
.LBB18_352:
	s_endpgm
	.section	.rodata,"a",@progbits
	.p2align	6, 0x0
	.amdhsa_kernel _ZN9rocsolver6v33100L18trti2_kernel_smallILi19EfPfEEv13rocblas_fill_17rocblas_diagonal_T1_iil
		.amdhsa_group_segment_fixed_size 156
		.amdhsa_private_segment_fixed_size 80
		.amdhsa_kernarg_size 32
		.amdhsa_user_sgpr_count 8
		.amdhsa_user_sgpr_private_segment_buffer 1
		.amdhsa_user_sgpr_dispatch_ptr 0
		.amdhsa_user_sgpr_queue_ptr 0
		.amdhsa_user_sgpr_kernarg_segment_ptr 1
		.amdhsa_user_sgpr_dispatch_id 0
		.amdhsa_user_sgpr_flat_scratch_init 1
		.amdhsa_user_sgpr_kernarg_preload_length 0
		.amdhsa_user_sgpr_kernarg_preload_offset 0
		.amdhsa_user_sgpr_private_segment_size 0
		.amdhsa_uses_dynamic_stack 0
		.amdhsa_system_sgpr_private_segment_wavefront_offset 1
		.amdhsa_system_sgpr_workgroup_id_x 1
		.amdhsa_system_sgpr_workgroup_id_y 0
		.amdhsa_system_sgpr_workgroup_id_z 0
		.amdhsa_system_sgpr_workgroup_info 0
		.amdhsa_system_vgpr_workitem_id 0
		.amdhsa_next_free_vgpr 60
		.amdhsa_next_free_sgpr 20
		.amdhsa_accum_offset 60
		.amdhsa_reserve_vcc 1
		.amdhsa_reserve_flat_scratch 0
		.amdhsa_float_round_mode_32 0
		.amdhsa_float_round_mode_16_64 0
		.amdhsa_float_denorm_mode_32 3
		.amdhsa_float_denorm_mode_16_64 3
		.amdhsa_dx10_clamp 1
		.amdhsa_ieee_mode 1
		.amdhsa_fp16_overflow 0
		.amdhsa_tg_split 0
		.amdhsa_exception_fp_ieee_invalid_op 0
		.amdhsa_exception_fp_denorm_src 0
		.amdhsa_exception_fp_ieee_div_zero 0
		.amdhsa_exception_fp_ieee_overflow 0
		.amdhsa_exception_fp_ieee_underflow 0
		.amdhsa_exception_fp_ieee_inexact 0
		.amdhsa_exception_int_div_zero 0
	.end_amdhsa_kernel
	.section	.text._ZN9rocsolver6v33100L18trti2_kernel_smallILi19EfPfEEv13rocblas_fill_17rocblas_diagonal_T1_iil,"axG",@progbits,_ZN9rocsolver6v33100L18trti2_kernel_smallILi19EfPfEEv13rocblas_fill_17rocblas_diagonal_T1_iil,comdat
.Lfunc_end18:
	.size	_ZN9rocsolver6v33100L18trti2_kernel_smallILi19EfPfEEv13rocblas_fill_17rocblas_diagonal_T1_iil, .Lfunc_end18-_ZN9rocsolver6v33100L18trti2_kernel_smallILi19EfPfEEv13rocblas_fill_17rocblas_diagonal_T1_iil
                                        ; -- End function
	.section	.AMDGPU.csdata,"",@progbits
; Kernel info:
; codeLenInByte = 9028
; NumSgprs: 24
; NumVgprs: 60
; NumAgprs: 0
; TotalNumVgprs: 60
; ScratchSize: 80
; MemoryBound: 0
; FloatMode: 240
; IeeeMode: 1
; LDSByteSize: 156 bytes/workgroup (compile time only)
; SGPRBlocks: 2
; VGPRBlocks: 7
; NumSGPRsForWavesPerEU: 24
; NumVGPRsForWavesPerEU: 60
; AccumOffset: 60
; Occupancy: 8
; WaveLimiterHint : 0
; COMPUTE_PGM_RSRC2:SCRATCH_EN: 1
; COMPUTE_PGM_RSRC2:USER_SGPR: 8
; COMPUTE_PGM_RSRC2:TRAP_HANDLER: 0
; COMPUTE_PGM_RSRC2:TGID_X_EN: 1
; COMPUTE_PGM_RSRC2:TGID_Y_EN: 0
; COMPUTE_PGM_RSRC2:TGID_Z_EN: 0
; COMPUTE_PGM_RSRC2:TIDIG_COMP_CNT: 0
; COMPUTE_PGM_RSRC3_GFX90A:ACCUM_OFFSET: 14
; COMPUTE_PGM_RSRC3_GFX90A:TG_SPLIT: 0
	.section	.text._ZN9rocsolver6v33100L18trti2_kernel_smallILi20EfPfEEv13rocblas_fill_17rocblas_diagonal_T1_iil,"axG",@progbits,_ZN9rocsolver6v33100L18trti2_kernel_smallILi20EfPfEEv13rocblas_fill_17rocblas_diagonal_T1_iil,comdat
	.globl	_ZN9rocsolver6v33100L18trti2_kernel_smallILi20EfPfEEv13rocblas_fill_17rocblas_diagonal_T1_iil ; -- Begin function _ZN9rocsolver6v33100L18trti2_kernel_smallILi20EfPfEEv13rocblas_fill_17rocblas_diagonal_T1_iil
	.p2align	8
	.type	_ZN9rocsolver6v33100L18trti2_kernel_smallILi20EfPfEEv13rocblas_fill_17rocblas_diagonal_T1_iil,@function
_ZN9rocsolver6v33100L18trti2_kernel_smallILi20EfPfEEv13rocblas_fill_17rocblas_diagonal_T1_iil: ; @_ZN9rocsolver6v33100L18trti2_kernel_smallILi20EfPfEEv13rocblas_fill_17rocblas_diagonal_T1_iil
; %bb.0:
	s_add_u32 s0, s0, s9
	s_addc_u32 s1, s1, 0
	v_cmp_gt_u32_e32 vcc, 20, v0
	s_and_saveexec_b64 s[6:7], vcc
	s_cbranch_execz .LBB19_372
; %bb.1:
	s_load_dwordx8 s[12:19], s[4:5], 0x0
	s_ashr_i32 s6, s8, 31
	v_lshlrev_b32_e32 v1, 2, v0
	s_waitcnt lgkmcnt(0)
	s_mul_i32 s7, s8, s19
	s_mul_hi_u32 s9, s8, s18
	s_add_i32 s7, s9, s7
	s_mul_i32 s6, s6, s18
	s_add_i32 s7, s7, s6
	s_mul_i32 s6, s8, s18
	s_ashr_i32 s5, s16, 31
	s_lshl_b64 s[6:7], s[6:7], 2
	s_mov_b32 s4, s16
	s_add_u32 s6, s14, s6
	s_addc_u32 s7, s15, s7
	s_lshl_b64 s[4:5], s[4:5], 2
	s_add_u32 s4, s6, s4
	s_addc_u32 s5, s7, s5
	global_load_dword v19, v1, s[4:5]
	s_mov_b32 s6, s17
	s_ashr_i32 s7, s17, 31
	v_mov_b32_e32 v3, s5
	v_add_co_u32_e32 v2, vcc, s4, v1
	s_lshl_b64 s[6:7], s[6:7], 2
	v_addc_co_u32_e32 v3, vcc, 0, v3, vcc
	v_mov_b32_e32 v5, s7
	v_add_co_u32_e32 v4, vcc, s6, v2
	v_addc_co_u32_e32 v5, vcc, v3, v5, vcc
	global_load_dword v23, v[4:5], off
	s_add_i32 s8, s17, s17
	v_add_u32_e32 v6, s8, v0
	v_add_u32_e32 v8, s17, v6
	;; [unrolled: 1-line block ×8, first 2 shown]
	v_ashrrev_i32_e32 v7, 31, v6
	v_add_u32_e32 v24, s17, v22
	v_lshlrev_b64 v[6:7], 2, v[6:7]
	v_add_u32_e32 v26, s17, v24
	v_mov_b32_e32 v11, s5
	v_ashrrev_i32_e32 v9, 31, v8
	v_add_co_u32_e32 v6, vcc, s4, v6
	v_add_u32_e32 v28, s17, v26
	v_addc_co_u32_e32 v7, vcc, v11, v7, vcc
	v_lshlrev_b64 v[8:9], 2, v[8:9]
	v_add_u32_e32 v30, s17, v28
	v_mov_b32_e32 v13, s5
	v_ashrrev_i32_e32 v11, 31, v10
	v_add_co_u32_e32 v8, vcc, s4, v8
	v_add_u32_e32 v32, s17, v30
	v_addc_co_u32_e32 v9, vcc, v13, v9, vcc
	;; [unrolled: 7-line block ×4, first 2 shown]
	v_lshlrev_b64 v[16:17], 2, v[14:15]
	v_add_u32_e32 v14, s17, v40
	v_ashrrev_i32_e32 v15, 31, v14
	v_lshlrev_b64 v[14:15], 2, v[14:15]
	v_mov_b32_e32 v25, s5
	v_add_co_u32_e32 v14, vcc, s4, v14
	v_addc_co_u32_e32 v15, vcc, v25, v15, vcc
	global_load_dword v42, v[14:15], off
	v_mov_b32_e32 v21, s5
	v_add_co_u32_e32 v16, vcc, s4, v16
	v_addc_co_u32_e32 v17, vcc, v21, v17, vcc
	v_mov_b32_e32 v27, s5
	v_mov_b32_e32 v29, s5
	;; [unrolled: 1-line block ×3, first 2 shown]
	s_waitcnt vmcnt(2)
	buffer_store_dword v19, off, s[0:3], 0
	v_ashrrev_i32_e32 v19, 31, v18
	v_lshlrev_b64 v[18:19], 2, v[18:19]
	v_add_co_u32_e32 v18, vcc, s4, v18
	v_addc_co_u32_e32 v19, vcc, v21, v19, vcc
	v_ashrrev_i32_e32 v21, 31, v20
	v_lshlrev_b64 v[20:21], 2, v[20:21]
	v_add_co_u32_e32 v20, vcc, s4, v20
	v_addc_co_u32_e32 v21, vcc, v25, v21, vcc
	global_load_dword v43, v[6:7], off
	global_load_dword v44, v[8:9], off
	;; [unrolled: 1-line block ×7, first 2 shown]
	v_mov_b32_e32 v33, s5
	s_waitcnt vmcnt(9)
	buffer_store_dword v23, off, s[0:3], 0 offset:4
	v_ashrrev_i32_e32 v23, 31, v22
	v_lshlrev_b64 v[22:23], 2, v[22:23]
	v_add_co_u32_e32 v22, vcc, s4, v22
	v_addc_co_u32_e32 v23, vcc, v25, v23, vcc
	v_ashrrev_i32_e32 v25, 31, v24
	v_lshlrev_b64 v[24:25], 2, v[24:25]
	v_add_co_u32_e32 v24, vcc, s4, v24
	v_addc_co_u32_e32 v25, vcc, v27, v25, vcc
	;; [unrolled: 4-line block ×5, first 2 shown]
	v_ashrrev_i32_e32 v33, 31, v32
	v_lshlrev_b64 v[32:33], 2, v[32:33]
	v_mov_b32_e32 v35, s5
	v_add_co_u32_e32 v32, vcc, s4, v32
	v_addc_co_u32_e32 v33, vcc, v35, v33, vcc
	v_ashrrev_i32_e32 v35, 31, v34
	v_lshlrev_b64 v[34:35], 2, v[34:35]
	v_mov_b32_e32 v37, s5
	v_add_co_u32_e32 v34, vcc, s4, v34
	v_addc_co_u32_e32 v35, vcc, v37, v35, vcc
	;; [unrolled: 5-line block ×4, first 2 shown]
	v_ashrrev_i32_e32 v41, 31, v40
	v_lshlrev_b64 v[40:41], 2, v[40:41]
	v_mov_b32_e32 v51, s5
	v_add_co_u32_e32 v40, vcc, s4, v40
	global_load_dword v50, v[22:23], off
	global_load_dword v52, v[24:25], off
	global_load_dword v53, v[26:27], off
	v_addc_co_u32_e32 v41, vcc, v51, v41, vcc
	global_load_dword v54, v[28:29], off
	global_load_dword v55, v[30:31], off
	;; [unrolled: 1-line block ×7, first 2 shown]
	s_cmpk_lg_i32 s13, 0x84
	v_mov_b32_e32 v51, 0
	s_cselect_b64 s[8:9], -1, 0
	s_cmpk_eq_i32 s13, 0x84
	s_waitcnt vmcnt(16)
	buffer_store_dword v44, off, s[0:3], 0 offset:12
	buffer_store_dword v43, off, s[0:3], 0 offset:8
	s_waitcnt vmcnt(17)
	buffer_store_dword v45, off, s[0:3], 0 offset:16
	s_waitcnt vmcnt(17)
	;; [unrolled: 2-line block ×7, first 2 shown]
	buffer_store_dword v53, off, s[0:3], 0 offset:44
	buffer_store_dword v52, off, s[0:3], 0 offset:40
	s_waitcnt vmcnt(16)
	buffer_store_dword v54, off, s[0:3], 0 offset:48
	s_waitcnt vmcnt(16)
	;; [unrolled: 2-line block ×7, first 2 shown]
	buffer_store_dword v60, off, s[0:3], 0 offset:72
	buffer_store_dword v42, off, s[0:3], 0 offset:76
	v_mov_b32_e32 v42, -1.0
	s_cbranch_scc1 .LBB19_3
; %bb.2:
	v_lshl_add_u32 v42, v0, 2, v51
	buffer_load_dword v43, v42, s[0:3], 0 offen
	s_waitcnt vmcnt(0)
	v_div_scale_f32 v44, s[4:5], v43, v43, 1.0
	v_rcp_f32_e32 v45, v44
	v_div_scale_f32 v46, vcc, 1.0, v43, 1.0
	v_fma_f32 v47, -v44, v45, 1.0
	v_fmac_f32_e32 v45, v47, v45
	v_mul_f32_e32 v47, v46, v45
	v_fma_f32 v48, -v44, v47, v46
	v_fmac_f32_e32 v47, v48, v45
	v_fma_f32 v44, -v44, v47, v46
	v_div_fmas_f32 v44, v44, v45, v47
	v_div_fixup_f32 v43, v44, v43, 1.0
	buffer_store_dword v43, v42, s[0:3], 0 offen
	v_xor_b32_e32 v42, 0x80000000, v43
.LBB19_3:
	ds_write_b32 v1, v42
	s_cmpk_eq_i32 s12, 0x79
	v_add_u32_e32 v42, 0x50, v1
	v_add_u32_e32 v43, 0, v1
	s_mov_b64 s[4:5], -1
	s_cbranch_scc1 .LBB19_187
; %bb.4:
	buffer_load_dword v44, off, s[0:3], 0 offset:72
	v_cmp_eq_u32_e64 s[4:5], 19, v0
	s_waitcnt vmcnt(0)
	ds_write_b32 v42, v44
	s_waitcnt lgkmcnt(0)
	; wave barrier
	s_waitcnt lgkmcnt(0)
	s_and_saveexec_b64 s[6:7], s[4:5]
	s_cbranch_execz .LBB19_10
; %bb.5:
	s_and_b64 vcc, exec, s[8:9]
	s_cbranch_vccz .LBB19_7
; %bb.6:
	buffer_load_dword v44, v43, s[0:3], 0 offen
	ds_read_b32 v45, v42
	s_waitcnt vmcnt(0) lgkmcnt(0)
	v_mul_f32_e32 v44, v44, v45
	s_cbranch_execz .LBB19_8
	s_branch .LBB19_9
.LBB19_7:
                                        ; implicit-def: $vgpr44
.LBB19_8:
	ds_read_b32 v44, v42
.LBB19_9:
	v_mov_b32_e32 v45, 0
	ds_read_b32 v45, v45 offset:72
	s_waitcnt lgkmcnt(0)
	v_mul_f32_e32 v44, v44, v45
	buffer_store_dword v44, off, s[0:3], 0 offset:72
.LBB19_10:
	s_or_b64 exec, exec, s[6:7]
	buffer_load_dword v52, off, s[0:3], 0 offset:68
	v_or_b32_e32 v44, 8, v51
	v_add_u32_e32 v45, 16, v51
	v_add_u32_e32 v46, 24, v51
	;; [unrolled: 1-line block ×7, first 2 shown]
	v_cmp_lt_u32_e64 s[6:7], 17, v0
	s_waitcnt vmcnt(0)
	ds_write_b32 v42, v52
	s_waitcnt lgkmcnt(0)
	; wave barrier
	s_waitcnt lgkmcnt(0)
	s_and_saveexec_b64 s[10:11], s[6:7]
	s_cbranch_execz .LBB19_16
; %bb.11:
	s_andn2_b64 vcc, exec, s[8:9]
	s_cbranch_vccnz .LBB19_13
; %bb.12:
	buffer_load_dword v52, v43, s[0:3], 0 offen
	ds_read_b32 v53, v42
	s_waitcnt vmcnt(0) lgkmcnt(0)
	v_mul_f32_e32 v52, v52, v53
	s_cbranch_execz .LBB19_14
	s_branch .LBB19_15
.LBB19_13:
                                        ; implicit-def: $vgpr52
.LBB19_14:
	ds_read_b32 v52, v42
.LBB19_15:
	buffer_load_dword v53, off, s[0:3], 0 offset:72
	v_mov_b32_e32 v54, 0
	ds_read2_b32 v[54:55], v54 offset0:17 offset1:38
	s_waitcnt vmcnt(0) lgkmcnt(0)
	v_fma_f32 v53, v53, v55, v52
	v_cndmask_b32_e64 v52, v52, v53, s[4:5]
	v_mul_f32_e32 v52, v52, v54
	buffer_store_dword v52, off, s[0:3], 0 offset:68
.LBB19_16:
	s_or_b64 exec, exec, s[10:11]
	buffer_load_dword v52, off, s[0:3], 0 offset:64
	v_cmp_lt_u32_e64 s[4:5], 16, v0
	s_waitcnt vmcnt(0)
	ds_write_b32 v42, v52
	s_waitcnt lgkmcnt(0)
	; wave barrier
	s_waitcnt lgkmcnt(0)
	s_and_saveexec_b64 s[10:11], s[4:5]
	s_cbranch_execz .LBB19_26
; %bb.17:
	s_andn2_b64 vcc, exec, s[8:9]
	s_cbranch_vccnz .LBB19_19
; %bb.18:
	buffer_load_dword v52, v43, s[0:3], 0 offen
	ds_read_b32 v53, v42
	s_waitcnt vmcnt(0) lgkmcnt(0)
	v_mul_f32_e32 v52, v52, v53
	s_cbranch_execz .LBB19_20
	s_branch .LBB19_21
.LBB19_19:
                                        ; implicit-def: $vgpr52
.LBB19_20:
	ds_read_b32 v52, v42
.LBB19_21:
	s_and_saveexec_b64 s[12:13], s[6:7]
	s_cbranch_execz .LBB19_25
; %bb.22:
	v_mov_b32_e32 v53, 0
	v_add_u32_e32 v53, 0x44, v53
	v_subrev_u32_e32 v54, 17, v0
	s_movk_i32 s14, 0x94
	s_mov_b64 s[6:7], 0
.LBB19_23:                              ; =>This Inner Loop Header: Depth=1
	buffer_load_dword v55, v53, s[0:3], 0 offen
	v_mov_b32_e32 v56, s14
	ds_read_b32 v56, v56
	v_add_u32_e32 v54, -1, v54
	s_add_i32 s14, s14, 4
	v_cmp_eq_u32_e32 vcc, 0, v54
	v_add_u32_e32 v53, 4, v53
	s_or_b64 s[6:7], vcc, s[6:7]
	s_waitcnt vmcnt(0) lgkmcnt(0)
	v_fmac_f32_e32 v52, v55, v56
	s_andn2_b64 exec, exec, s[6:7]
	s_cbranch_execnz .LBB19_23
; %bb.24:
	s_or_b64 exec, exec, s[6:7]
.LBB19_25:
	s_or_b64 exec, exec, s[12:13]
	v_mov_b32_e32 v53, 0
	ds_read_b32 v53, v53 offset:64
	s_waitcnt lgkmcnt(0)
	v_mul_f32_e32 v52, v52, v53
	buffer_store_dword v52, off, s[0:3], 0 offset:64
.LBB19_26:
	s_or_b64 exec, exec, s[10:11]
	buffer_load_dword v52, off, s[0:3], 0 offset:60
	v_cmp_lt_u32_e64 s[6:7], 15, v0
	s_waitcnt vmcnt(0)
	ds_write_b32 v42, v52
	s_waitcnt lgkmcnt(0)
	; wave barrier
	s_waitcnt lgkmcnt(0)
	s_and_saveexec_b64 s[10:11], s[6:7]
	s_cbranch_execz .LBB19_36
; %bb.27:
	s_andn2_b64 vcc, exec, s[8:9]
	s_cbranch_vccnz .LBB19_29
; %bb.28:
	buffer_load_dword v52, v43, s[0:3], 0 offen
	ds_read_b32 v53, v42
	s_waitcnt vmcnt(0) lgkmcnt(0)
	v_mul_f32_e32 v52, v52, v53
	s_cbranch_execz .LBB19_30
	s_branch .LBB19_31
.LBB19_29:
                                        ; implicit-def: $vgpr52
.LBB19_30:
	ds_read_b32 v52, v42
.LBB19_31:
	s_and_saveexec_b64 s[12:13], s[4:5]
	s_cbranch_execz .LBB19_35
; %bb.32:
	v_add_u32_e32 v53, -16, v0
	s_movk_i32 s14, 0x90
	s_mov_b64 s[4:5], 0
.LBB19_33:                              ; =>This Inner Loop Header: Depth=1
	buffer_load_dword v54, v51, s[0:3], 0 offen
	v_mov_b32_e32 v55, s14
	ds_read_b32 v55, v55
	v_add_u32_e32 v53, -1, v53
	s_add_i32 s14, s14, 4
	v_cmp_eq_u32_e32 vcc, 0, v53
	v_add_u32_e32 v51, 4, v51
	s_or_b64 s[4:5], vcc, s[4:5]
	s_waitcnt vmcnt(0) lgkmcnt(0)
	v_fmac_f32_e32 v52, v54, v55
	s_andn2_b64 exec, exec, s[4:5]
	s_cbranch_execnz .LBB19_33
; %bb.34:
	s_or_b64 exec, exec, s[4:5]
.LBB19_35:
	s_or_b64 exec, exec, s[12:13]
	v_mov_b32_e32 v51, 0
	ds_read_b32 v51, v51 offset:60
	s_waitcnt lgkmcnt(0)
	v_mul_f32_e32 v51, v52, v51
	buffer_store_dword v51, off, s[0:3], 0 offset:60
.LBB19_36:
	s_or_b64 exec, exec, s[10:11]
	buffer_load_dword v51, off, s[0:3], 0 offset:56
	v_cmp_lt_u32_e64 s[4:5], 14, v0
	s_waitcnt vmcnt(0)
	ds_write_b32 v42, v51
	s_waitcnt lgkmcnt(0)
	; wave barrier
	s_waitcnt lgkmcnt(0)
	s_and_saveexec_b64 s[10:11], s[4:5]
	s_cbranch_execz .LBB19_46
; %bb.37:
	s_andn2_b64 vcc, exec, s[8:9]
	s_cbranch_vccnz .LBB19_39
; %bb.38:
	buffer_load_dword v51, v43, s[0:3], 0 offen
	ds_read_b32 v52, v42
	s_waitcnt vmcnt(0) lgkmcnt(0)
	v_mul_f32_e32 v51, v51, v52
	s_cbranch_execz .LBB19_40
	s_branch .LBB19_41
.LBB19_39:
                                        ; implicit-def: $vgpr51
.LBB19_40:
	ds_read_b32 v51, v42
.LBB19_41:
	s_and_saveexec_b64 s[12:13], s[6:7]
	s_cbranch_execz .LBB19_45
; %bb.42:
	v_mov_b32_e32 v52, 0
	v_add_u32_e32 v52, 60, v52
	v_add_u32_e32 v53, -15, v0
	s_movk_i32 s14, 0x8c
	s_mov_b64 s[6:7], 0
.LBB19_43:                              ; =>This Inner Loop Header: Depth=1
	buffer_load_dword v54, v52, s[0:3], 0 offen
	v_mov_b32_e32 v55, s14
	ds_read_b32 v55, v55
	v_add_u32_e32 v53, -1, v53
	s_add_i32 s14, s14, 4
	v_cmp_eq_u32_e32 vcc, 0, v53
	v_add_u32_e32 v52, 4, v52
	s_or_b64 s[6:7], vcc, s[6:7]
	s_waitcnt vmcnt(0) lgkmcnt(0)
	v_fmac_f32_e32 v51, v54, v55
	s_andn2_b64 exec, exec, s[6:7]
	s_cbranch_execnz .LBB19_43
; %bb.44:
	s_or_b64 exec, exec, s[6:7]
.LBB19_45:
	s_or_b64 exec, exec, s[12:13]
	v_mov_b32_e32 v52, 0
	ds_read_b32 v52, v52 offset:56
	s_waitcnt lgkmcnt(0)
	v_mul_f32_e32 v51, v51, v52
	buffer_store_dword v51, off, s[0:3], 0 offset:56
.LBB19_46:
	s_or_b64 exec, exec, s[10:11]
	buffer_load_dword v51, off, s[0:3], 0 offset:52
	v_cmp_lt_u32_e64 s[6:7], 13, v0
	s_waitcnt vmcnt(0)
	ds_write_b32 v42, v51
	s_waitcnt lgkmcnt(0)
	; wave barrier
	s_waitcnt lgkmcnt(0)
	s_and_saveexec_b64 s[10:11], s[6:7]
	s_cbranch_execz .LBB19_56
; %bb.47:
	s_andn2_b64 vcc, exec, s[8:9]
	s_cbranch_vccnz .LBB19_49
; %bb.48:
	buffer_load_dword v51, v43, s[0:3], 0 offen
	ds_read_b32 v52, v42
	s_waitcnt vmcnt(0) lgkmcnt(0)
	v_mul_f32_e32 v51, v51, v52
	s_cbranch_execz .LBB19_50
	s_branch .LBB19_51
.LBB19_49:
                                        ; implicit-def: $vgpr51
.LBB19_50:
	ds_read_b32 v51, v42
.LBB19_51:
	s_and_saveexec_b64 s[12:13], s[4:5]
	s_cbranch_execz .LBB19_55
; %bb.52:
	v_add_u32_e32 v52, -14, v0
	s_movk_i32 s14, 0x88
	s_mov_b64 s[4:5], 0
.LBB19_53:                              ; =>This Inner Loop Header: Depth=1
	buffer_load_dword v53, v50, s[0:3], 0 offen
	v_mov_b32_e32 v54, s14
	ds_read_b32 v54, v54
	v_add_u32_e32 v52, -1, v52
	s_add_i32 s14, s14, 4
	v_cmp_eq_u32_e32 vcc, 0, v52
	v_add_u32_e32 v50, 4, v50
	s_or_b64 s[4:5], vcc, s[4:5]
	s_waitcnt vmcnt(0) lgkmcnt(0)
	v_fmac_f32_e32 v51, v53, v54
	s_andn2_b64 exec, exec, s[4:5]
	s_cbranch_execnz .LBB19_53
; %bb.54:
	s_or_b64 exec, exec, s[4:5]
.LBB19_55:
	s_or_b64 exec, exec, s[12:13]
	v_mov_b32_e32 v50, 0
	ds_read_b32 v50, v50 offset:52
	s_waitcnt lgkmcnt(0)
	v_mul_f32_e32 v50, v51, v50
	buffer_store_dword v50, off, s[0:3], 0 offset:52
.LBB19_56:
	s_or_b64 exec, exec, s[10:11]
	buffer_load_dword v50, off, s[0:3], 0 offset:48
	v_cmp_lt_u32_e64 s[4:5], 12, v0
	s_waitcnt vmcnt(0)
	ds_write_b32 v42, v50
	s_waitcnt lgkmcnt(0)
	; wave barrier
	s_waitcnt lgkmcnt(0)
	s_and_saveexec_b64 s[10:11], s[4:5]
	s_cbranch_execz .LBB19_66
; %bb.57:
	s_andn2_b64 vcc, exec, s[8:9]
	s_cbranch_vccnz .LBB19_59
; %bb.58:
	buffer_load_dword v50, v43, s[0:3], 0 offen
	ds_read_b32 v51, v42
	s_waitcnt vmcnt(0) lgkmcnt(0)
	v_mul_f32_e32 v50, v50, v51
	s_cbranch_execz .LBB19_60
	s_branch .LBB19_61
.LBB19_59:
                                        ; implicit-def: $vgpr50
.LBB19_60:
	ds_read_b32 v50, v42
.LBB19_61:
	s_and_saveexec_b64 s[12:13], s[6:7]
	s_cbranch_execz .LBB19_65
; %bb.62:
	v_mov_b32_e32 v51, 0
	v_add_u32_e32 v51, 52, v51
	v_add_u32_e32 v52, -13, v0
	s_movk_i32 s14, 0x84
	s_mov_b64 s[6:7], 0
.LBB19_63:                              ; =>This Inner Loop Header: Depth=1
	buffer_load_dword v53, v51, s[0:3], 0 offen
	v_mov_b32_e32 v54, s14
	ds_read_b32 v54, v54
	v_add_u32_e32 v52, -1, v52
	s_add_i32 s14, s14, 4
	v_cmp_eq_u32_e32 vcc, 0, v52
	v_add_u32_e32 v51, 4, v51
	s_or_b64 s[6:7], vcc, s[6:7]
	s_waitcnt vmcnt(0) lgkmcnt(0)
	v_fmac_f32_e32 v50, v53, v54
	s_andn2_b64 exec, exec, s[6:7]
	s_cbranch_execnz .LBB19_63
; %bb.64:
	s_or_b64 exec, exec, s[6:7]
.LBB19_65:
	s_or_b64 exec, exec, s[12:13]
	v_mov_b32_e32 v51, 0
	ds_read_b32 v51, v51 offset:48
	s_waitcnt lgkmcnt(0)
	v_mul_f32_e32 v50, v50, v51
	buffer_store_dword v50, off, s[0:3], 0 offset:48
.LBB19_66:
	s_or_b64 exec, exec, s[10:11]
	buffer_load_dword v50, off, s[0:3], 0 offset:44
	v_cmp_lt_u32_e64 s[6:7], 11, v0
	s_waitcnt vmcnt(0)
	ds_write_b32 v42, v50
	s_waitcnt lgkmcnt(0)
	; wave barrier
	s_waitcnt lgkmcnt(0)
	s_and_saveexec_b64 s[10:11], s[6:7]
	s_cbranch_execz .LBB19_76
; %bb.67:
	s_andn2_b64 vcc, exec, s[8:9]
	s_cbranch_vccnz .LBB19_69
; %bb.68:
	buffer_load_dword v50, v43, s[0:3], 0 offen
	ds_read_b32 v51, v42
	s_waitcnt vmcnt(0) lgkmcnt(0)
	v_mul_f32_e32 v50, v50, v51
	s_cbranch_execz .LBB19_70
	s_branch .LBB19_71
.LBB19_69:
                                        ; implicit-def: $vgpr50
.LBB19_70:
	ds_read_b32 v50, v42
.LBB19_71:
	s_and_saveexec_b64 s[12:13], s[4:5]
	s_cbranch_execz .LBB19_75
; %bb.72:
	v_add_u32_e32 v51, -12, v0
	s_movk_i32 s14, 0x80
	s_mov_b64 s[4:5], 0
.LBB19_73:                              ; =>This Inner Loop Header: Depth=1
	buffer_load_dword v52, v49, s[0:3], 0 offen
	v_mov_b32_e32 v53, s14
	ds_read_b32 v53, v53
	v_add_u32_e32 v51, -1, v51
	s_add_i32 s14, s14, 4
	v_cmp_eq_u32_e32 vcc, 0, v51
	v_add_u32_e32 v49, 4, v49
	s_or_b64 s[4:5], vcc, s[4:5]
	s_waitcnt vmcnt(0) lgkmcnt(0)
	v_fmac_f32_e32 v50, v52, v53
	s_andn2_b64 exec, exec, s[4:5]
	s_cbranch_execnz .LBB19_73
; %bb.74:
	s_or_b64 exec, exec, s[4:5]
.LBB19_75:
	s_or_b64 exec, exec, s[12:13]
	v_mov_b32_e32 v49, 0
	ds_read_b32 v49, v49 offset:44
	s_waitcnt lgkmcnt(0)
	v_mul_f32_e32 v49, v50, v49
	buffer_store_dword v49, off, s[0:3], 0 offset:44
.LBB19_76:
	s_or_b64 exec, exec, s[10:11]
	buffer_load_dword v49, off, s[0:3], 0 offset:40
	v_cmp_lt_u32_e64 s[4:5], 10, v0
	s_waitcnt vmcnt(0)
	ds_write_b32 v42, v49
	s_waitcnt lgkmcnt(0)
	; wave barrier
	s_waitcnt lgkmcnt(0)
	s_and_saveexec_b64 s[10:11], s[4:5]
	s_cbranch_execz .LBB19_86
; %bb.77:
	s_andn2_b64 vcc, exec, s[8:9]
	s_cbranch_vccnz .LBB19_79
; %bb.78:
	buffer_load_dword v49, v43, s[0:3], 0 offen
	ds_read_b32 v50, v42
	s_waitcnt vmcnt(0) lgkmcnt(0)
	v_mul_f32_e32 v49, v49, v50
	s_cbranch_execz .LBB19_80
	s_branch .LBB19_81
.LBB19_79:
                                        ; implicit-def: $vgpr49
.LBB19_80:
	ds_read_b32 v49, v42
.LBB19_81:
	s_and_saveexec_b64 s[12:13], s[6:7]
	s_cbranch_execz .LBB19_85
; %bb.82:
	v_mov_b32_e32 v50, 0
	v_add_u32_e32 v50, 44, v50
	v_add_u32_e32 v51, -11, v0
	s_movk_i32 s14, 0x7c
	s_mov_b64 s[6:7], 0
.LBB19_83:                              ; =>This Inner Loop Header: Depth=1
	buffer_load_dword v52, v50, s[0:3], 0 offen
	v_mov_b32_e32 v53, s14
	ds_read_b32 v53, v53
	v_add_u32_e32 v51, -1, v51
	s_add_i32 s14, s14, 4
	v_cmp_eq_u32_e32 vcc, 0, v51
	v_add_u32_e32 v50, 4, v50
	s_or_b64 s[6:7], vcc, s[6:7]
	s_waitcnt vmcnt(0) lgkmcnt(0)
	v_fmac_f32_e32 v49, v52, v53
	s_andn2_b64 exec, exec, s[6:7]
	s_cbranch_execnz .LBB19_83
; %bb.84:
	s_or_b64 exec, exec, s[6:7]
.LBB19_85:
	s_or_b64 exec, exec, s[12:13]
	v_mov_b32_e32 v50, 0
	ds_read_b32 v50, v50 offset:40
	s_waitcnt lgkmcnt(0)
	v_mul_f32_e32 v49, v49, v50
	buffer_store_dword v49, off, s[0:3], 0 offset:40
.LBB19_86:
	s_or_b64 exec, exec, s[10:11]
	buffer_load_dword v49, off, s[0:3], 0 offset:36
	v_cmp_lt_u32_e64 s[6:7], 9, v0
	s_waitcnt vmcnt(0)
	ds_write_b32 v42, v49
	s_waitcnt lgkmcnt(0)
	; wave barrier
	s_waitcnt lgkmcnt(0)
	s_and_saveexec_b64 s[10:11], s[6:7]
	s_cbranch_execz .LBB19_96
; %bb.87:
	s_andn2_b64 vcc, exec, s[8:9]
	s_cbranch_vccnz .LBB19_89
; %bb.88:
	buffer_load_dword v49, v43, s[0:3], 0 offen
	ds_read_b32 v50, v42
	s_waitcnt vmcnt(0) lgkmcnt(0)
	v_mul_f32_e32 v49, v49, v50
	s_cbranch_execz .LBB19_90
	s_branch .LBB19_91
.LBB19_89:
                                        ; implicit-def: $vgpr49
.LBB19_90:
	ds_read_b32 v49, v42
.LBB19_91:
	s_and_saveexec_b64 s[12:13], s[4:5]
	s_cbranch_execz .LBB19_95
; %bb.92:
	v_add_u32_e32 v50, -10, v0
	s_movk_i32 s14, 0x78
	s_mov_b64 s[4:5], 0
.LBB19_93:                              ; =>This Inner Loop Header: Depth=1
	buffer_load_dword v51, v48, s[0:3], 0 offen
	v_mov_b32_e32 v52, s14
	ds_read_b32 v52, v52
	v_add_u32_e32 v50, -1, v50
	s_add_i32 s14, s14, 4
	v_cmp_eq_u32_e32 vcc, 0, v50
	v_add_u32_e32 v48, 4, v48
	s_or_b64 s[4:5], vcc, s[4:5]
	s_waitcnt vmcnt(0) lgkmcnt(0)
	v_fmac_f32_e32 v49, v51, v52
	s_andn2_b64 exec, exec, s[4:5]
	s_cbranch_execnz .LBB19_93
; %bb.94:
	s_or_b64 exec, exec, s[4:5]
.LBB19_95:
	s_or_b64 exec, exec, s[12:13]
	v_mov_b32_e32 v48, 0
	ds_read_b32 v48, v48 offset:36
	s_waitcnt lgkmcnt(0)
	v_mul_f32_e32 v48, v49, v48
	buffer_store_dword v48, off, s[0:3], 0 offset:36
.LBB19_96:
	s_or_b64 exec, exec, s[10:11]
	buffer_load_dword v48, off, s[0:3], 0 offset:32
	v_cmp_lt_u32_e64 s[4:5], 8, v0
	s_waitcnt vmcnt(0)
	ds_write_b32 v42, v48
	s_waitcnt lgkmcnt(0)
	; wave barrier
	s_waitcnt lgkmcnt(0)
	s_and_saveexec_b64 s[10:11], s[4:5]
	s_cbranch_execz .LBB19_106
; %bb.97:
	s_andn2_b64 vcc, exec, s[8:9]
	s_cbranch_vccnz .LBB19_99
; %bb.98:
	buffer_load_dword v48, v43, s[0:3], 0 offen
	ds_read_b32 v49, v42
	s_waitcnt vmcnt(0) lgkmcnt(0)
	v_mul_f32_e32 v48, v48, v49
	s_cbranch_execz .LBB19_100
	s_branch .LBB19_101
.LBB19_99:
                                        ; implicit-def: $vgpr48
.LBB19_100:
	ds_read_b32 v48, v42
.LBB19_101:
	s_and_saveexec_b64 s[12:13], s[6:7]
	s_cbranch_execz .LBB19_105
; %bb.102:
	v_mov_b32_e32 v49, 0
	v_add_u32_e32 v49, 36, v49
	v_add_u32_e32 v50, -9, v0
	s_movk_i32 s14, 0x74
	s_mov_b64 s[6:7], 0
.LBB19_103:                             ; =>This Inner Loop Header: Depth=1
	buffer_load_dword v51, v49, s[0:3], 0 offen
	v_mov_b32_e32 v52, s14
	ds_read_b32 v52, v52
	v_add_u32_e32 v50, -1, v50
	s_add_i32 s14, s14, 4
	v_cmp_eq_u32_e32 vcc, 0, v50
	v_add_u32_e32 v49, 4, v49
	s_or_b64 s[6:7], vcc, s[6:7]
	s_waitcnt vmcnt(0) lgkmcnt(0)
	v_fmac_f32_e32 v48, v51, v52
	s_andn2_b64 exec, exec, s[6:7]
	s_cbranch_execnz .LBB19_103
; %bb.104:
	s_or_b64 exec, exec, s[6:7]
.LBB19_105:
	s_or_b64 exec, exec, s[12:13]
	v_mov_b32_e32 v49, 0
	ds_read_b32 v49, v49 offset:32
	s_waitcnt lgkmcnt(0)
	v_mul_f32_e32 v48, v48, v49
	buffer_store_dword v48, off, s[0:3], 0 offset:32
.LBB19_106:
	s_or_b64 exec, exec, s[10:11]
	buffer_load_dword v48, off, s[0:3], 0 offset:28
	v_cmp_lt_u32_e64 s[6:7], 7, v0
	s_waitcnt vmcnt(0)
	ds_write_b32 v42, v48
	s_waitcnt lgkmcnt(0)
	; wave barrier
	s_waitcnt lgkmcnt(0)
	s_and_saveexec_b64 s[10:11], s[6:7]
	s_cbranch_execz .LBB19_116
; %bb.107:
	s_andn2_b64 vcc, exec, s[8:9]
	s_cbranch_vccnz .LBB19_109
; %bb.108:
	buffer_load_dword v48, v43, s[0:3], 0 offen
	ds_read_b32 v49, v42
	s_waitcnt vmcnt(0) lgkmcnt(0)
	v_mul_f32_e32 v48, v48, v49
	s_cbranch_execz .LBB19_110
	s_branch .LBB19_111
.LBB19_109:
                                        ; implicit-def: $vgpr48
.LBB19_110:
	ds_read_b32 v48, v42
.LBB19_111:
	s_and_saveexec_b64 s[12:13], s[4:5]
	s_cbranch_execz .LBB19_115
; %bb.112:
	v_add_u32_e32 v49, -8, v0
	s_movk_i32 s14, 0x70
	s_mov_b64 s[4:5], 0
.LBB19_113:                             ; =>This Inner Loop Header: Depth=1
	buffer_load_dword v50, v47, s[0:3], 0 offen
	v_mov_b32_e32 v51, s14
	ds_read_b32 v51, v51
	v_add_u32_e32 v49, -1, v49
	s_add_i32 s14, s14, 4
	v_cmp_eq_u32_e32 vcc, 0, v49
	v_add_u32_e32 v47, 4, v47
	s_or_b64 s[4:5], vcc, s[4:5]
	s_waitcnt vmcnt(0) lgkmcnt(0)
	v_fmac_f32_e32 v48, v50, v51
	s_andn2_b64 exec, exec, s[4:5]
	s_cbranch_execnz .LBB19_113
; %bb.114:
	s_or_b64 exec, exec, s[4:5]
.LBB19_115:
	s_or_b64 exec, exec, s[12:13]
	v_mov_b32_e32 v47, 0
	ds_read_b32 v47, v47 offset:28
	s_waitcnt lgkmcnt(0)
	v_mul_f32_e32 v47, v48, v47
	buffer_store_dword v47, off, s[0:3], 0 offset:28
.LBB19_116:
	s_or_b64 exec, exec, s[10:11]
	buffer_load_dword v47, off, s[0:3], 0 offset:24
	v_cmp_lt_u32_e64 s[4:5], 6, v0
	s_waitcnt vmcnt(0)
	ds_write_b32 v42, v47
	s_waitcnt lgkmcnt(0)
	; wave barrier
	s_waitcnt lgkmcnt(0)
	s_and_saveexec_b64 s[10:11], s[4:5]
	s_cbranch_execz .LBB19_126
; %bb.117:
	s_andn2_b64 vcc, exec, s[8:9]
	s_cbranch_vccnz .LBB19_119
; %bb.118:
	buffer_load_dword v47, v43, s[0:3], 0 offen
	ds_read_b32 v48, v42
	s_waitcnt vmcnt(0) lgkmcnt(0)
	v_mul_f32_e32 v47, v47, v48
	s_cbranch_execz .LBB19_120
	s_branch .LBB19_121
.LBB19_119:
                                        ; implicit-def: $vgpr47
.LBB19_120:
	ds_read_b32 v47, v42
.LBB19_121:
	s_and_saveexec_b64 s[12:13], s[6:7]
	s_cbranch_execz .LBB19_125
; %bb.122:
	v_mov_b32_e32 v48, 0
	v_add_u32_e32 v48, 28, v48
	v_add_u32_e32 v49, -7, v0
	s_movk_i32 s14, 0x6c
	s_mov_b64 s[6:7], 0
.LBB19_123:                             ; =>This Inner Loop Header: Depth=1
	buffer_load_dword v50, v48, s[0:3], 0 offen
	v_mov_b32_e32 v51, s14
	ds_read_b32 v51, v51
	v_add_u32_e32 v49, -1, v49
	s_add_i32 s14, s14, 4
	v_cmp_eq_u32_e32 vcc, 0, v49
	v_add_u32_e32 v48, 4, v48
	s_or_b64 s[6:7], vcc, s[6:7]
	s_waitcnt vmcnt(0) lgkmcnt(0)
	v_fmac_f32_e32 v47, v50, v51
	s_andn2_b64 exec, exec, s[6:7]
	s_cbranch_execnz .LBB19_123
; %bb.124:
	s_or_b64 exec, exec, s[6:7]
.LBB19_125:
	s_or_b64 exec, exec, s[12:13]
	v_mov_b32_e32 v48, 0
	ds_read_b32 v48, v48 offset:24
	s_waitcnt lgkmcnt(0)
	v_mul_f32_e32 v47, v47, v48
	buffer_store_dword v47, off, s[0:3], 0 offset:24
.LBB19_126:
	s_or_b64 exec, exec, s[10:11]
	buffer_load_dword v47, off, s[0:3], 0 offset:20
	v_cmp_lt_u32_e64 s[6:7], 5, v0
	s_waitcnt vmcnt(0)
	ds_write_b32 v42, v47
	s_waitcnt lgkmcnt(0)
	; wave barrier
	s_waitcnt lgkmcnt(0)
	s_and_saveexec_b64 s[10:11], s[6:7]
	s_cbranch_execz .LBB19_136
; %bb.127:
	s_andn2_b64 vcc, exec, s[8:9]
	s_cbranch_vccnz .LBB19_129
; %bb.128:
	buffer_load_dword v47, v43, s[0:3], 0 offen
	ds_read_b32 v48, v42
	s_waitcnt vmcnt(0) lgkmcnt(0)
	v_mul_f32_e32 v47, v47, v48
	s_cbranch_execz .LBB19_130
	s_branch .LBB19_131
.LBB19_129:
                                        ; implicit-def: $vgpr47
.LBB19_130:
	ds_read_b32 v47, v42
.LBB19_131:
	s_and_saveexec_b64 s[12:13], s[4:5]
	s_cbranch_execz .LBB19_135
; %bb.132:
	v_add_u32_e32 v48, -6, v0
	s_movk_i32 s14, 0x68
	s_mov_b64 s[4:5], 0
.LBB19_133:                             ; =>This Inner Loop Header: Depth=1
	buffer_load_dword v49, v46, s[0:3], 0 offen
	v_mov_b32_e32 v50, s14
	ds_read_b32 v50, v50
	v_add_u32_e32 v48, -1, v48
	s_add_i32 s14, s14, 4
	v_cmp_eq_u32_e32 vcc, 0, v48
	v_add_u32_e32 v46, 4, v46
	s_or_b64 s[4:5], vcc, s[4:5]
	s_waitcnt vmcnt(0) lgkmcnt(0)
	v_fmac_f32_e32 v47, v49, v50
	s_andn2_b64 exec, exec, s[4:5]
	s_cbranch_execnz .LBB19_133
; %bb.134:
	s_or_b64 exec, exec, s[4:5]
.LBB19_135:
	s_or_b64 exec, exec, s[12:13]
	v_mov_b32_e32 v46, 0
	ds_read_b32 v46, v46 offset:20
	s_waitcnt lgkmcnt(0)
	v_mul_f32_e32 v46, v47, v46
	buffer_store_dword v46, off, s[0:3], 0 offset:20
.LBB19_136:
	s_or_b64 exec, exec, s[10:11]
	buffer_load_dword v46, off, s[0:3], 0 offset:16
	v_cmp_lt_u32_e64 s[4:5], 4, v0
	s_waitcnt vmcnt(0)
	ds_write_b32 v42, v46
	s_waitcnt lgkmcnt(0)
	; wave barrier
	s_waitcnt lgkmcnt(0)
	s_and_saveexec_b64 s[10:11], s[4:5]
	s_cbranch_execz .LBB19_146
; %bb.137:
	s_andn2_b64 vcc, exec, s[8:9]
	s_cbranch_vccnz .LBB19_139
; %bb.138:
	buffer_load_dword v46, v43, s[0:3], 0 offen
	ds_read_b32 v47, v42
	s_waitcnt vmcnt(0) lgkmcnt(0)
	v_mul_f32_e32 v46, v46, v47
	s_cbranch_execz .LBB19_140
	s_branch .LBB19_141
.LBB19_139:
                                        ; implicit-def: $vgpr46
.LBB19_140:
	ds_read_b32 v46, v42
.LBB19_141:
	s_and_saveexec_b64 s[12:13], s[6:7]
	s_cbranch_execz .LBB19_145
; %bb.142:
	v_mov_b32_e32 v47, 0
	v_add_u32_e32 v47, 20, v47
	v_add_u32_e32 v48, -5, v0
	s_movk_i32 s14, 0x64
	s_mov_b64 s[6:7], 0
.LBB19_143:                             ; =>This Inner Loop Header: Depth=1
	buffer_load_dword v49, v47, s[0:3], 0 offen
	v_mov_b32_e32 v50, s14
	ds_read_b32 v50, v50
	v_add_u32_e32 v48, -1, v48
	s_add_i32 s14, s14, 4
	v_cmp_eq_u32_e32 vcc, 0, v48
	v_add_u32_e32 v47, 4, v47
	s_or_b64 s[6:7], vcc, s[6:7]
	s_waitcnt vmcnt(0) lgkmcnt(0)
	v_fmac_f32_e32 v46, v49, v50
	s_andn2_b64 exec, exec, s[6:7]
	s_cbranch_execnz .LBB19_143
; %bb.144:
	s_or_b64 exec, exec, s[6:7]
.LBB19_145:
	s_or_b64 exec, exec, s[12:13]
	v_mov_b32_e32 v47, 0
	ds_read_b32 v47, v47 offset:16
	s_waitcnt lgkmcnt(0)
	v_mul_f32_e32 v46, v46, v47
	buffer_store_dword v46, off, s[0:3], 0 offset:16
.LBB19_146:
	s_or_b64 exec, exec, s[10:11]
	buffer_load_dword v46, off, s[0:3], 0 offset:12
	v_cmp_lt_u32_e64 s[6:7], 3, v0
	s_waitcnt vmcnt(0)
	ds_write_b32 v42, v46
	s_waitcnt lgkmcnt(0)
	; wave barrier
	s_waitcnt lgkmcnt(0)
	s_and_saveexec_b64 s[10:11], s[6:7]
	s_cbranch_execz .LBB19_156
; %bb.147:
	s_andn2_b64 vcc, exec, s[8:9]
	s_cbranch_vccnz .LBB19_149
; %bb.148:
	buffer_load_dword v46, v43, s[0:3], 0 offen
	ds_read_b32 v47, v42
	s_waitcnt vmcnt(0) lgkmcnt(0)
	v_mul_f32_e32 v46, v46, v47
	s_cbranch_execz .LBB19_150
	s_branch .LBB19_151
.LBB19_149:
                                        ; implicit-def: $vgpr46
.LBB19_150:
	ds_read_b32 v46, v42
.LBB19_151:
	s_and_saveexec_b64 s[12:13], s[4:5]
	s_cbranch_execz .LBB19_155
; %bb.152:
	v_add_u32_e32 v47, -4, v0
	s_movk_i32 s14, 0x60
	s_mov_b64 s[4:5], 0
.LBB19_153:                             ; =>This Inner Loop Header: Depth=1
	buffer_load_dword v48, v45, s[0:3], 0 offen
	v_mov_b32_e32 v49, s14
	ds_read_b32 v49, v49
	v_add_u32_e32 v47, -1, v47
	s_add_i32 s14, s14, 4
	v_cmp_eq_u32_e32 vcc, 0, v47
	v_add_u32_e32 v45, 4, v45
	s_or_b64 s[4:5], vcc, s[4:5]
	s_waitcnt vmcnt(0) lgkmcnt(0)
	v_fmac_f32_e32 v46, v48, v49
	s_andn2_b64 exec, exec, s[4:5]
	s_cbranch_execnz .LBB19_153
; %bb.154:
	s_or_b64 exec, exec, s[4:5]
.LBB19_155:
	s_or_b64 exec, exec, s[12:13]
	v_mov_b32_e32 v45, 0
	ds_read_b32 v45, v45 offset:12
	s_waitcnt lgkmcnt(0)
	v_mul_f32_e32 v45, v46, v45
	buffer_store_dword v45, off, s[0:3], 0 offset:12
.LBB19_156:
	s_or_b64 exec, exec, s[10:11]
	buffer_load_dword v45, off, s[0:3], 0 offset:8
	v_cmp_lt_u32_e64 s[4:5], 2, v0
	s_waitcnt vmcnt(0)
	ds_write_b32 v42, v45
	s_waitcnt lgkmcnt(0)
	; wave barrier
	s_waitcnt lgkmcnt(0)
	s_and_saveexec_b64 s[10:11], s[4:5]
	s_cbranch_execz .LBB19_166
; %bb.157:
	s_andn2_b64 vcc, exec, s[8:9]
	s_cbranch_vccnz .LBB19_159
; %bb.158:
	buffer_load_dword v45, v43, s[0:3], 0 offen
	ds_read_b32 v46, v42
	s_waitcnt vmcnt(0) lgkmcnt(0)
	v_mul_f32_e32 v45, v45, v46
	s_cbranch_execz .LBB19_160
	s_branch .LBB19_161
.LBB19_159:
                                        ; implicit-def: $vgpr45
.LBB19_160:
	ds_read_b32 v45, v42
.LBB19_161:
	s_and_saveexec_b64 s[12:13], s[6:7]
	s_cbranch_execz .LBB19_165
; %bb.162:
	v_mov_b32_e32 v46, 0
	v_or_b32_e32 v46, 12, v46
	v_add_u32_e32 v47, -3, v0
	s_movk_i32 s14, 0x5c
	s_mov_b64 s[6:7], 0
.LBB19_163:                             ; =>This Inner Loop Header: Depth=1
	buffer_load_dword v48, v46, s[0:3], 0 offen
	v_mov_b32_e32 v49, s14
	ds_read_b32 v49, v49
	v_add_u32_e32 v47, -1, v47
	s_add_i32 s14, s14, 4
	v_cmp_eq_u32_e32 vcc, 0, v47
	v_add_u32_e32 v46, 4, v46
	s_or_b64 s[6:7], vcc, s[6:7]
	s_waitcnt vmcnt(0) lgkmcnt(0)
	v_fmac_f32_e32 v45, v48, v49
	s_andn2_b64 exec, exec, s[6:7]
	s_cbranch_execnz .LBB19_163
; %bb.164:
	s_or_b64 exec, exec, s[6:7]
.LBB19_165:
	s_or_b64 exec, exec, s[12:13]
	v_mov_b32_e32 v46, 0
	ds_read_b32 v46, v46 offset:8
	s_waitcnt lgkmcnt(0)
	v_mul_f32_e32 v45, v45, v46
	buffer_store_dword v45, off, s[0:3], 0 offset:8
.LBB19_166:
	s_or_b64 exec, exec, s[10:11]
	buffer_load_dword v45, off, s[0:3], 0 offset:4
	v_cmp_lt_u32_e64 s[6:7], 1, v0
	s_waitcnt vmcnt(0)
	ds_write_b32 v42, v45
	s_waitcnt lgkmcnt(0)
	; wave barrier
	s_waitcnt lgkmcnt(0)
	s_and_saveexec_b64 s[10:11], s[6:7]
	s_cbranch_execz .LBB19_176
; %bb.167:
	s_andn2_b64 vcc, exec, s[8:9]
	s_cbranch_vccnz .LBB19_169
; %bb.168:
	buffer_load_dword v45, v43, s[0:3], 0 offen
	ds_read_b32 v46, v42
	s_waitcnt vmcnt(0) lgkmcnt(0)
	v_mul_f32_e32 v45, v45, v46
	s_cbranch_execz .LBB19_170
	s_branch .LBB19_171
.LBB19_169:
                                        ; implicit-def: $vgpr45
.LBB19_170:
	ds_read_b32 v45, v42
.LBB19_171:
	s_and_saveexec_b64 s[12:13], s[4:5]
	s_cbranch_execz .LBB19_175
; %bb.172:
	v_add_u32_e32 v46, -2, v0
	s_movk_i32 s14, 0x58
	s_mov_b64 s[4:5], 0
.LBB19_173:                             ; =>This Inner Loop Header: Depth=1
	buffer_load_dword v47, v44, s[0:3], 0 offen
	v_mov_b32_e32 v48, s14
	ds_read_b32 v48, v48
	v_add_u32_e32 v46, -1, v46
	s_add_i32 s14, s14, 4
	v_cmp_eq_u32_e32 vcc, 0, v46
	v_add_u32_e32 v44, 4, v44
	s_or_b64 s[4:5], vcc, s[4:5]
	s_waitcnt vmcnt(0) lgkmcnt(0)
	v_fmac_f32_e32 v45, v47, v48
	s_andn2_b64 exec, exec, s[4:5]
	s_cbranch_execnz .LBB19_173
; %bb.174:
	s_or_b64 exec, exec, s[4:5]
.LBB19_175:
	s_or_b64 exec, exec, s[12:13]
	v_mov_b32_e32 v44, 0
	ds_read_b32 v44, v44 offset:4
	s_waitcnt lgkmcnt(0)
	v_mul_f32_e32 v44, v45, v44
	buffer_store_dword v44, off, s[0:3], 0 offset:4
.LBB19_176:
	s_or_b64 exec, exec, s[10:11]
	buffer_load_dword v44, off, s[0:3], 0
	v_cmp_ne_u32_e32 vcc, 0, v0
	s_waitcnt vmcnt(0)
	ds_write_b32 v42, v44
	s_waitcnt lgkmcnt(0)
	; wave barrier
	s_waitcnt lgkmcnt(0)
	s_and_saveexec_b64 s[4:5], vcc
	s_cbranch_execz .LBB19_186
; %bb.177:
	s_andn2_b64 vcc, exec, s[8:9]
	s_cbranch_vccnz .LBB19_179
; %bb.178:
	buffer_load_dword v44, v43, s[0:3], 0 offen
	ds_read_b32 v45, v42
	s_waitcnt vmcnt(0) lgkmcnt(0)
	v_mul_f32_e32 v44, v44, v45
	s_cbranch_execz .LBB19_180
	s_branch .LBB19_181
.LBB19_179:
                                        ; implicit-def: $vgpr44
.LBB19_180:
	ds_read_b32 v44, v42
.LBB19_181:
	s_and_saveexec_b64 s[10:11], s[6:7]
	s_cbranch_execz .LBB19_185
; %bb.182:
	v_mov_b32_e32 v45, 0
	v_or_b32_e32 v45, 4, v45
	v_add_u32_e32 v46, -1, v0
	s_movk_i32 s12, 0x54
	s_mov_b64 s[6:7], 0
.LBB19_183:                             ; =>This Inner Loop Header: Depth=1
	buffer_load_dword v47, v45, s[0:3], 0 offen
	v_mov_b32_e32 v48, s12
	ds_read_b32 v48, v48
	v_add_u32_e32 v46, -1, v46
	s_add_i32 s12, s12, 4
	v_cmp_eq_u32_e32 vcc, 0, v46
	v_add_u32_e32 v45, 4, v45
	s_or_b64 s[6:7], vcc, s[6:7]
	s_waitcnt vmcnt(0) lgkmcnt(0)
	v_fmac_f32_e32 v44, v47, v48
	s_andn2_b64 exec, exec, s[6:7]
	s_cbranch_execnz .LBB19_183
; %bb.184:
	s_or_b64 exec, exec, s[6:7]
.LBB19_185:
	s_or_b64 exec, exec, s[10:11]
	v_mov_b32_e32 v45, 0
	ds_read_b32 v45, v45
	s_waitcnt lgkmcnt(0)
	v_mul_f32_e32 v44, v44, v45
	buffer_store_dword v44, off, s[0:3], 0
.LBB19_186:
	s_or_b64 exec, exec, s[4:5]
	s_mov_b64 s[4:5], 0
.LBB19_187:
	s_and_b64 vcc, exec, s[4:5]
	s_cbranch_vccz .LBB19_371
; %bb.188:
	buffer_load_dword v44, off, s[0:3], 0 offset:4
	v_cmp_eq_u32_e64 s[6:7], 0, v0
	s_waitcnt vmcnt(0)
	ds_write_b32 v42, v44
	s_waitcnt lgkmcnt(0)
	; wave barrier
	s_waitcnt lgkmcnt(0)
	s_and_saveexec_b64 s[4:5], s[6:7]
	s_cbranch_execz .LBB19_194
; %bb.189:
	s_and_b64 vcc, exec, s[8:9]
	s_cbranch_vccz .LBB19_191
; %bb.190:
	buffer_load_dword v44, v43, s[0:3], 0 offen
	ds_read_b32 v45, v42
	s_waitcnt vmcnt(0) lgkmcnt(0)
	v_mul_f32_e32 v44, v44, v45
	s_cbranch_execz .LBB19_192
	s_branch .LBB19_193
.LBB19_191:
                                        ; implicit-def: $vgpr44
.LBB19_192:
	ds_read_b32 v44, v42
.LBB19_193:
	v_mov_b32_e32 v45, 0
	ds_read_b32 v45, v45 offset:4
	s_waitcnt lgkmcnt(0)
	v_mul_f32_e32 v44, v44, v45
	buffer_store_dword v44, off, s[0:3], 0 offset:4
.LBB19_194:
	s_or_b64 exec, exec, s[4:5]
	buffer_load_dword v44, off, s[0:3], 0 offset:8
	v_cndmask_b32_e64 v45, 0, 1, s[8:9]
	v_cmp_gt_u32_e32 vcc, 2, v0
	v_cmp_ne_u32_e64 s[4:5], 1, v45
	s_waitcnt vmcnt(0)
	ds_write_b32 v42, v44
	s_waitcnt lgkmcnt(0)
	; wave barrier
	s_waitcnt lgkmcnt(0)
	s_and_saveexec_b64 s[8:9], vcc
	s_cbranch_execz .LBB19_202
; %bb.195:
	s_and_b64 vcc, exec, s[4:5]
	s_cbranch_vccnz .LBB19_197
; %bb.196:
	buffer_load_dword v44, v43, s[0:3], 0 offen
	ds_read_b32 v45, v42
	s_waitcnt vmcnt(0) lgkmcnt(0)
	v_mul_f32_e32 v44, v44, v45
	s_cbranch_execz .LBB19_198
	s_branch .LBB19_199
.LBB19_197:
                                        ; implicit-def: $vgpr44
.LBB19_198:
	ds_read_b32 v44, v42
.LBB19_199:
	s_and_saveexec_b64 s[10:11], s[6:7]
	s_cbranch_execz .LBB19_201
; %bb.200:
	buffer_load_dword v45, v43, s[0:3], 0 offen offset:4
	ds_read_b32 v46, v42 offset:4
	s_waitcnt vmcnt(0) lgkmcnt(0)
	v_fmac_f32_e32 v44, v45, v46
.LBB19_201:
	s_or_b64 exec, exec, s[10:11]
	v_mov_b32_e32 v45, 0
	ds_read_b32 v45, v45 offset:8
	s_waitcnt lgkmcnt(0)
	v_mul_f32_e32 v44, v44, v45
	buffer_store_dword v44, off, s[0:3], 0 offset:8
.LBB19_202:
	s_or_b64 exec, exec, s[8:9]
	buffer_load_dword v44, off, s[0:3], 0 offset:12
	v_cmp_gt_u32_e32 vcc, 3, v0
	s_waitcnt vmcnt(0)
	ds_write_b32 v42, v44
	s_waitcnt lgkmcnt(0)
	; wave barrier
	s_waitcnt lgkmcnt(0)
	s_and_saveexec_b64 s[8:9], vcc
	s_cbranch_execz .LBB19_210
; %bb.203:
	s_and_b64 vcc, exec, s[4:5]
	s_cbranch_vccnz .LBB19_205
; %bb.204:
	buffer_load_dword v44, v43, s[0:3], 0 offen
	ds_read_b32 v45, v42
	s_waitcnt vmcnt(0) lgkmcnt(0)
	v_mul_f32_e32 v44, v44, v45
	s_cbranch_execz .LBB19_206
	s_branch .LBB19_207
.LBB19_205:
                                        ; implicit-def: $vgpr44
.LBB19_206:
	ds_read_b32 v44, v42
.LBB19_207:
	v_cmp_ne_u32_e32 vcc, 2, v0
	s_and_saveexec_b64 s[10:11], vcc
	s_cbranch_execz .LBB19_209
; %bb.208:
	buffer_load_dword v45, v43, s[0:3], 0 offen offset:4
	buffer_load_dword v46, off, s[0:3], 0 offset:8
	v_mov_b32_e32 v47, 0
	ds_read_b32 v48, v42 offset:4
	ds_read_b32 v47, v47 offset:88
	s_waitcnt vmcnt(1) lgkmcnt(1)
	v_fmac_f32_e32 v44, v45, v48
	s_waitcnt vmcnt(0) lgkmcnt(0)
	v_fma_f32 v45, v46, v47, v44
	v_cndmask_b32_e64 v44, v44, v45, s[6:7]
.LBB19_209:
	s_or_b64 exec, exec, s[10:11]
	v_mov_b32_e32 v45, 0
	ds_read_b32 v45, v45 offset:12
	s_waitcnt lgkmcnt(0)
	v_mul_f32_e32 v44, v44, v45
	buffer_store_dword v44, off, s[0:3], 0 offset:12
.LBB19_210:
	s_or_b64 exec, exec, s[8:9]
	buffer_load_dword v44, off, s[0:3], 0 offset:16
	v_cmp_gt_u32_e32 vcc, 4, v0
	s_waitcnt vmcnt(0)
	ds_write_b32 v42, v44
	s_waitcnt lgkmcnt(0)
	; wave barrier
	s_waitcnt lgkmcnt(0)
	s_and_saveexec_b64 s[6:7], vcc
	s_cbranch_execz .LBB19_220
; %bb.211:
	s_and_b64 vcc, exec, s[4:5]
	s_cbranch_vccnz .LBB19_213
; %bb.212:
	buffer_load_dword v44, v43, s[0:3], 0 offen
	ds_read_b32 v45, v42
	s_waitcnt vmcnt(0) lgkmcnt(0)
	v_mul_f32_e32 v44, v44, v45
	s_cbranch_execz .LBB19_214
	s_branch .LBB19_215
.LBB19_213:
                                        ; implicit-def: $vgpr44
.LBB19_214:
	ds_read_b32 v44, v42
.LBB19_215:
	v_cmp_ne_u32_e32 vcc, 3, v0
	s_and_saveexec_b64 s[8:9], vcc
	s_cbranch_execz .LBB19_219
; %bb.216:
	v_mov_b32_e32 v46, 0
	v_add_u32_e32 v45, 0x54, v1
	v_add3_u32 v46, v1, v46, 4
	s_mov_b64 s[10:11], 0
	v_mov_b32_e32 v47, v0
.LBB19_217:                             ; =>This Inner Loop Header: Depth=1
	buffer_load_dword v48, v46, s[0:3], 0 offen
	ds_read_b32 v49, v45
	v_add_u32_e32 v47, 1, v47
	v_cmp_lt_u32_e32 vcc, 2, v47
	v_add_u32_e32 v45, 4, v45
	v_add_u32_e32 v46, 4, v46
	s_or_b64 s[10:11], vcc, s[10:11]
	s_waitcnt vmcnt(0) lgkmcnt(0)
	v_fmac_f32_e32 v44, v48, v49
	s_andn2_b64 exec, exec, s[10:11]
	s_cbranch_execnz .LBB19_217
; %bb.218:
	s_or_b64 exec, exec, s[10:11]
.LBB19_219:
	s_or_b64 exec, exec, s[8:9]
	v_mov_b32_e32 v45, 0
	ds_read_b32 v45, v45 offset:16
	s_waitcnt lgkmcnt(0)
	v_mul_f32_e32 v44, v44, v45
	buffer_store_dword v44, off, s[0:3], 0 offset:16
.LBB19_220:
	s_or_b64 exec, exec, s[6:7]
	buffer_load_dword v44, off, s[0:3], 0 offset:20
	v_cmp_gt_u32_e32 vcc, 5, v0
	s_waitcnt vmcnt(0)
	ds_write_b32 v42, v44
	s_waitcnt lgkmcnt(0)
	; wave barrier
	s_waitcnt lgkmcnt(0)
	s_and_saveexec_b64 s[6:7], vcc
	s_cbranch_execz .LBB19_230
; %bb.221:
	s_and_b64 vcc, exec, s[4:5]
	s_cbranch_vccnz .LBB19_223
; %bb.222:
	buffer_load_dword v44, v43, s[0:3], 0 offen
	ds_read_b32 v45, v42
	s_waitcnt vmcnt(0) lgkmcnt(0)
	v_mul_f32_e32 v44, v44, v45
	s_cbranch_execz .LBB19_224
	s_branch .LBB19_225
.LBB19_223:
                                        ; implicit-def: $vgpr44
.LBB19_224:
	ds_read_b32 v44, v42
.LBB19_225:
	v_cmp_ne_u32_e32 vcc, 4, v0
	s_and_saveexec_b64 s[8:9], vcc
	s_cbranch_execz .LBB19_229
; %bb.226:
	v_mov_b32_e32 v46, 0
	v_add_u32_e32 v45, 0x54, v1
	v_add3_u32 v46, v1, v46, 4
	s_mov_b64 s[10:11], 0
	v_mov_b32_e32 v47, v0
.LBB19_227:                             ; =>This Inner Loop Header: Depth=1
	buffer_load_dword v48, v46, s[0:3], 0 offen
	ds_read_b32 v49, v45
	v_add_u32_e32 v47, 1, v47
	v_cmp_lt_u32_e32 vcc, 3, v47
	v_add_u32_e32 v45, 4, v45
	v_add_u32_e32 v46, 4, v46
	s_or_b64 s[10:11], vcc, s[10:11]
	s_waitcnt vmcnt(0) lgkmcnt(0)
	v_fmac_f32_e32 v44, v48, v49
	s_andn2_b64 exec, exec, s[10:11]
	s_cbranch_execnz .LBB19_227
; %bb.228:
	s_or_b64 exec, exec, s[10:11]
.LBB19_229:
	s_or_b64 exec, exec, s[8:9]
	v_mov_b32_e32 v45, 0
	ds_read_b32 v45, v45 offset:20
	s_waitcnt lgkmcnt(0)
	v_mul_f32_e32 v44, v44, v45
	buffer_store_dword v44, off, s[0:3], 0 offset:20
.LBB19_230:
	;; [unrolled: 56-line block ×14, first 2 shown]
	s_or_b64 exec, exec, s[6:7]
	buffer_load_dword v44, off, s[0:3], 0 offset:72
	v_cmp_gt_u32_e64 s[6:7], 18, v0
	s_waitcnt vmcnt(0)
	ds_write_b32 v42, v44
	s_waitcnt lgkmcnt(0)
	; wave barrier
	s_waitcnt lgkmcnt(0)
	s_and_saveexec_b64 s[8:9], s[6:7]
	s_cbranch_execz .LBB19_360
; %bb.351:
	s_and_b64 vcc, exec, s[4:5]
	s_cbranch_vccnz .LBB19_353
; %bb.352:
	buffer_load_dword v44, v43, s[0:3], 0 offen
	ds_read_b32 v45, v42
	s_waitcnt vmcnt(0) lgkmcnt(0)
	v_mul_f32_e32 v44, v44, v45
	s_cbranch_execz .LBB19_354
	s_branch .LBB19_355
.LBB19_353:
                                        ; implicit-def: $vgpr44
.LBB19_354:
	ds_read_b32 v44, v42
.LBB19_355:
	v_cmp_ne_u32_e32 vcc, 17, v0
	s_and_saveexec_b64 s[10:11], vcc
	s_cbranch_execz .LBB19_359
; %bb.356:
	v_mov_b32_e32 v46, 0
	v_add_u32_e32 v45, 0x54, v1
	v_add3_u32 v46, v1, v46, 4
	s_mov_b64 s[12:13], 0
	v_mov_b32_e32 v47, v0
.LBB19_357:                             ; =>This Inner Loop Header: Depth=1
	buffer_load_dword v48, v46, s[0:3], 0 offen
	ds_read_b32 v49, v45
	v_add_u32_e32 v47, 1, v47
	v_cmp_lt_u32_e32 vcc, 16, v47
	v_add_u32_e32 v45, 4, v45
	v_add_u32_e32 v46, 4, v46
	s_or_b64 s[12:13], vcc, s[12:13]
	s_waitcnt vmcnt(0) lgkmcnt(0)
	v_fmac_f32_e32 v44, v48, v49
	s_andn2_b64 exec, exec, s[12:13]
	s_cbranch_execnz .LBB19_357
; %bb.358:
	s_or_b64 exec, exec, s[12:13]
.LBB19_359:
	s_or_b64 exec, exec, s[10:11]
	v_mov_b32_e32 v45, 0
	ds_read_b32 v45, v45 offset:72
	s_waitcnt lgkmcnt(0)
	v_mul_f32_e32 v44, v44, v45
	buffer_store_dword v44, off, s[0:3], 0 offset:72
.LBB19_360:
	s_or_b64 exec, exec, s[8:9]
	buffer_load_dword v44, off, s[0:3], 0 offset:76
	v_cmp_ne_u32_e32 vcc, 19, v0
	s_waitcnt vmcnt(0)
	ds_write_b32 v42, v44
	s_waitcnt lgkmcnt(0)
	; wave barrier
	s_waitcnt lgkmcnt(0)
	s_and_saveexec_b64 s[8:9], vcc
	s_cbranch_execz .LBB19_370
; %bb.361:
	s_and_b64 vcc, exec, s[4:5]
	s_cbranch_vccnz .LBB19_363
; %bb.362:
	buffer_load_dword v43, v43, s[0:3], 0 offen
	ds_read_b32 v44, v42
	s_waitcnt vmcnt(0) lgkmcnt(0)
	v_mul_f32_e32 v43, v43, v44
	s_cbranch_execz .LBB19_364
	s_branch .LBB19_365
.LBB19_363:
                                        ; implicit-def: $vgpr43
.LBB19_364:
	ds_read_b32 v43, v42
.LBB19_365:
	s_and_saveexec_b64 s[4:5], s[6:7]
	s_cbranch_execz .LBB19_369
; %bb.366:
	v_mov_b32_e32 v44, 0
	v_add_u32_e32 v42, 0x54, v1
	v_add3_u32 v1, v1, v44, 4
	s_mov_b64 s[6:7], 0
.LBB19_367:                             ; =>This Inner Loop Header: Depth=1
	buffer_load_dword v44, v1, s[0:3], 0 offen
	ds_read_b32 v45, v42
	v_add_u32_e32 v0, 1, v0
	v_cmp_lt_u32_e32 vcc, 17, v0
	v_add_u32_e32 v42, 4, v42
	v_add_u32_e32 v1, 4, v1
	s_or_b64 s[6:7], vcc, s[6:7]
	s_waitcnt vmcnt(0) lgkmcnt(0)
	v_fmac_f32_e32 v43, v44, v45
	s_andn2_b64 exec, exec, s[6:7]
	s_cbranch_execnz .LBB19_367
; %bb.368:
	s_or_b64 exec, exec, s[6:7]
.LBB19_369:
	s_or_b64 exec, exec, s[4:5]
	v_mov_b32_e32 v0, 0
	ds_read_b32 v0, v0 offset:76
	s_waitcnt lgkmcnt(0)
	v_mul_f32_e32 v0, v43, v0
	buffer_store_dword v0, off, s[0:3], 0 offset:76
.LBB19_370:
	s_or_b64 exec, exec, s[8:9]
.LBB19_371:
	buffer_load_dword v0, off, s[0:3], 0
	buffer_load_dword v1, off, s[0:3], 0 offset:4
	buffer_load_dword v42, off, s[0:3], 0 offset:8
	;; [unrolled: 1-line block ×19, first 2 shown]
	s_waitcnt vmcnt(19)
	global_store_dword v[2:3], v0, off
	s_waitcnt vmcnt(19)
	global_store_dword v[4:5], v1, off
	;; [unrolled: 2-line block ×20, first 2 shown]
.LBB19_372:
	s_endpgm
	.section	.rodata,"a",@progbits
	.p2align	6, 0x0
	.amdhsa_kernel _ZN9rocsolver6v33100L18trti2_kernel_smallILi20EfPfEEv13rocblas_fill_17rocblas_diagonal_T1_iil
		.amdhsa_group_segment_fixed_size 160
		.amdhsa_private_segment_fixed_size 96
		.amdhsa_kernarg_size 32
		.amdhsa_user_sgpr_count 8
		.amdhsa_user_sgpr_private_segment_buffer 1
		.amdhsa_user_sgpr_dispatch_ptr 0
		.amdhsa_user_sgpr_queue_ptr 0
		.amdhsa_user_sgpr_kernarg_segment_ptr 1
		.amdhsa_user_sgpr_dispatch_id 0
		.amdhsa_user_sgpr_flat_scratch_init 1
		.amdhsa_user_sgpr_kernarg_preload_length 0
		.amdhsa_user_sgpr_kernarg_preload_offset 0
		.amdhsa_user_sgpr_private_segment_size 0
		.amdhsa_uses_dynamic_stack 0
		.amdhsa_system_sgpr_private_segment_wavefront_offset 1
		.amdhsa_system_sgpr_workgroup_id_x 1
		.amdhsa_system_sgpr_workgroup_id_y 0
		.amdhsa_system_sgpr_workgroup_id_z 0
		.amdhsa_system_sgpr_workgroup_info 0
		.amdhsa_system_vgpr_workitem_id 0
		.amdhsa_next_free_vgpr 61
		.amdhsa_next_free_sgpr 20
		.amdhsa_accum_offset 64
		.amdhsa_reserve_vcc 1
		.amdhsa_reserve_flat_scratch 0
		.amdhsa_float_round_mode_32 0
		.amdhsa_float_round_mode_16_64 0
		.amdhsa_float_denorm_mode_32 3
		.amdhsa_float_denorm_mode_16_64 3
		.amdhsa_dx10_clamp 1
		.amdhsa_ieee_mode 1
		.amdhsa_fp16_overflow 0
		.amdhsa_tg_split 0
		.amdhsa_exception_fp_ieee_invalid_op 0
		.amdhsa_exception_fp_denorm_src 0
		.amdhsa_exception_fp_ieee_div_zero 0
		.amdhsa_exception_fp_ieee_overflow 0
		.amdhsa_exception_fp_ieee_underflow 0
		.amdhsa_exception_fp_ieee_inexact 0
		.amdhsa_exception_int_div_zero 0
	.end_amdhsa_kernel
	.section	.text._ZN9rocsolver6v33100L18trti2_kernel_smallILi20EfPfEEv13rocblas_fill_17rocblas_diagonal_T1_iil,"axG",@progbits,_ZN9rocsolver6v33100L18trti2_kernel_smallILi20EfPfEEv13rocblas_fill_17rocblas_diagonal_T1_iil,comdat
.Lfunc_end19:
	.size	_ZN9rocsolver6v33100L18trti2_kernel_smallILi20EfPfEEv13rocblas_fill_17rocblas_diagonal_T1_iil, .Lfunc_end19-_ZN9rocsolver6v33100L18trti2_kernel_smallILi20EfPfEEv13rocblas_fill_17rocblas_diagonal_T1_iil
                                        ; -- End function
	.section	.AMDGPU.csdata,"",@progbits
; Kernel info:
; codeLenInByte = 9520
; NumSgprs: 24
; NumVgprs: 61
; NumAgprs: 0
; TotalNumVgprs: 61
; ScratchSize: 96
; MemoryBound: 0
; FloatMode: 240
; IeeeMode: 1
; LDSByteSize: 160 bytes/workgroup (compile time only)
; SGPRBlocks: 2
; VGPRBlocks: 7
; NumSGPRsForWavesPerEU: 24
; NumVGPRsForWavesPerEU: 61
; AccumOffset: 64
; Occupancy: 8
; WaveLimiterHint : 0
; COMPUTE_PGM_RSRC2:SCRATCH_EN: 1
; COMPUTE_PGM_RSRC2:USER_SGPR: 8
; COMPUTE_PGM_RSRC2:TRAP_HANDLER: 0
; COMPUTE_PGM_RSRC2:TGID_X_EN: 1
; COMPUTE_PGM_RSRC2:TGID_Y_EN: 0
; COMPUTE_PGM_RSRC2:TGID_Z_EN: 0
; COMPUTE_PGM_RSRC2:TIDIG_COMP_CNT: 0
; COMPUTE_PGM_RSRC3_GFX90A:ACCUM_OFFSET: 15
; COMPUTE_PGM_RSRC3_GFX90A:TG_SPLIT: 0
	.section	.text._ZN9rocsolver6v33100L18trti2_kernel_smallILi21EfPfEEv13rocblas_fill_17rocblas_diagonal_T1_iil,"axG",@progbits,_ZN9rocsolver6v33100L18trti2_kernel_smallILi21EfPfEEv13rocblas_fill_17rocblas_diagonal_T1_iil,comdat
	.globl	_ZN9rocsolver6v33100L18trti2_kernel_smallILi21EfPfEEv13rocblas_fill_17rocblas_diagonal_T1_iil ; -- Begin function _ZN9rocsolver6v33100L18trti2_kernel_smallILi21EfPfEEv13rocblas_fill_17rocblas_diagonal_T1_iil
	.p2align	8
	.type	_ZN9rocsolver6v33100L18trti2_kernel_smallILi21EfPfEEv13rocblas_fill_17rocblas_diagonal_T1_iil,@function
_ZN9rocsolver6v33100L18trti2_kernel_smallILi21EfPfEEv13rocblas_fill_17rocblas_diagonal_T1_iil: ; @_ZN9rocsolver6v33100L18trti2_kernel_smallILi21EfPfEEv13rocblas_fill_17rocblas_diagonal_T1_iil
; %bb.0:
	s_add_u32 s0, s0, s9
	s_addc_u32 s1, s1, 0
	v_cmp_gt_u32_e32 vcc, 21, v0
	s_and_saveexec_b64 s[6:7], vcc
	s_cbranch_execz .LBB20_392
; %bb.1:
	s_load_dwordx8 s[12:19], s[4:5], 0x0
	s_ashr_i32 s6, s8, 31
	v_lshlrev_b32_e32 v1, 2, v0
	s_waitcnt lgkmcnt(0)
	s_mul_i32 s7, s8, s19
	s_mul_hi_u32 s9, s8, s18
	s_add_i32 s7, s9, s7
	s_mul_i32 s6, s6, s18
	s_add_i32 s7, s7, s6
	s_mul_i32 s6, s8, s18
	s_ashr_i32 s5, s16, 31
	s_lshl_b64 s[6:7], s[6:7], 2
	s_mov_b32 s4, s16
	s_add_u32 s6, s14, s6
	s_addc_u32 s7, s15, s7
	s_lshl_b64 s[4:5], s[4:5], 2
	s_add_u32 s4, s6, s4
	s_addc_u32 s5, s7, s5
	v_mov_b32_e32 v3, s5
	v_add_co_u32_e32 v2, vcc, s4, v1
	s_ashr_i32 s7, s17, 31
	s_mov_b32 s6, s17
	v_addc_co_u32_e32 v3, vcc, 0, v3, vcc
	s_lshl_b64 s[6:7], s[6:7], 2
	global_load_dword v19, v1, s[4:5]
	v_add_co_u32_e32 v4, vcc, s6, v2
	s_add_i32 s6, s17, s17
	v_add_u32_e32 v8, s6, v0
	v_mov_b32_e32 v5, s7
	v_ashrrev_i32_e32 v9, 31, v8
	v_addc_co_u32_e32 v5, vcc, v3, v5, vcc
	v_lshlrev_b64 v[6:7], 2, v[8:9]
	v_add_u32_e32 v10, s17, v8
	v_mov_b32_e32 v9, s5
	v_add_co_u32_e32 v6, vcc, s4, v6
	v_ashrrev_i32_e32 v11, 31, v10
	v_addc_co_u32_e32 v7, vcc, v9, v7, vcc
	v_lshlrev_b64 v[8:9], 2, v[10:11]
	v_add_u32_e32 v12, s17, v10
	v_mov_b32_e32 v11, s5
	v_add_co_u32_e32 v8, vcc, s4, v8
	v_ashrrev_i32_e32 v13, 31, v12
	v_addc_co_u32_e32 v9, vcc, v11, v9, vcc
	global_load_dword v23, v[4:5], off
	global_load_dword v25, v[6:7], off
	;; [unrolled: 1-line block ×3, first 2 shown]
	v_lshlrev_b64 v[10:11], 2, v[12:13]
	v_mov_b32_e32 v13, s5
	v_add_co_u32_e32 v10, vcc, s4, v10
	v_addc_co_u32_e32 v11, vcc, v13, v11, vcc
	global_load_dword v29, v[10:11], off
	v_add_u32_e32 v12, s17, v12
	v_add_u32_e32 v14, s17, v12
	;; [unrolled: 1-line block ×12, first 2 shown]
	v_ashrrev_i32_e32 v13, 31, v12
	v_add_u32_e32 v38, s17, v36
	v_lshlrev_b64 v[12:13], 2, v[12:13]
	v_add_u32_e32 v40, s17, v38
	v_mov_b32_e32 v16, s5
	v_ashrrev_i32_e32 v15, 31, v14
	v_add_co_u32_e32 v12, vcc, s4, v12
	v_add_u32_e32 v42, s17, v40
	v_addc_co_u32_e32 v13, vcc, v16, v13, vcc
	v_lshlrev_b64 v[16:17], 2, v[14:15]
	v_add_u32_e32 v14, s17, v42
	v_ashrrev_i32_e32 v15, 31, v14
	v_lshlrev_b64 v[14:15], 2, v[14:15]
	v_mov_b32_e32 v21, s5
	v_add_co_u32_e32 v14, vcc, s4, v14
	v_addc_co_u32_e32 v15, vcc, v21, v15, vcc
	global_load_dword v44, v[14:15], off
	v_add_co_u32_e32 v16, vcc, s4, v16
	v_mov_b32_e32 v31, s5
	v_mov_b32_e32 v33, s5
	v_mov_b32_e32 v35, s5
	v_mov_b32_e32 v37, s5
	v_mov_b32_e32 v39, s5
	v_mov_b32_e32 v41, s5
	v_mov_b32_e32 v43, s5
	v_mov_b32_e32 v54, s5
	s_cmpk_lg_i32 s13, 0x84
	s_cselect_b64 s[10:11], -1, 0
	s_cmpk_eq_i32 s13, 0x84
	s_waitcnt vmcnt(5)
	buffer_store_dword v19, off, s[0:3], 0
	v_mov_b32_e32 v19, s5
	v_addc_co_u32_e32 v17, vcc, v19, v17, vcc
	v_ashrrev_i32_e32 v19, 31, v18
	v_lshlrev_b64 v[18:19], 2, v[18:19]
	v_add_co_u32_e32 v18, vcc, s4, v18
	v_addc_co_u32_e32 v19, vcc, v21, v19, vcc
	v_ashrrev_i32_e32 v21, 31, v20
	v_lshlrev_b64 v[20:21], 2, v[20:21]
	v_add_co_u32_e32 v20, vcc, s4, v20
	v_addc_co_u32_e32 v21, vcc, v31, v21, vcc
	global_load_dword v45, v[12:13], off
	global_load_dword v46, v[16:17], off
	;; [unrolled: 1-line block ×4, first 2 shown]
	s_waitcnt vmcnt(9)
	buffer_store_dword v23, off, s[0:3], 0 offset:4
	s_waitcnt vmcnt(8)
	buffer_store_dword v27, off, s[0:3], 0 offset:12
	buffer_store_dword v25, off, s[0:3], 0 offset:8
	s_waitcnt vmcnt(9)
	buffer_store_dword v29, off, s[0:3], 0 offset:16
	v_ashrrev_i32_e32 v23, 31, v22
	v_lshlrev_b64 v[22:23], 2, v[22:23]
	v_mov_b32_e32 v25, s5
	v_add_co_u32_e32 v22, vcc, s4, v22
	v_addc_co_u32_e32 v23, vcc, v25, v23, vcc
	v_ashrrev_i32_e32 v25, 31, v24
	v_lshlrev_b64 v[24:25], 2, v[24:25]
	v_mov_b32_e32 v27, s5
	v_add_co_u32_e32 v24, vcc, s4, v24
	v_addc_co_u32_e32 v25, vcc, v27, v25, vcc
	;; [unrolled: 5-line block ×3, first 2 shown]
	v_ashrrev_i32_e32 v29, 31, v28
	v_lshlrev_b64 v[28:29], 2, v[28:29]
	v_add_co_u32_e32 v28, vcc, s4, v28
	v_addc_co_u32_e32 v29, vcc, v31, v29, vcc
	v_ashrrev_i32_e32 v31, 31, v30
	v_lshlrev_b64 v[30:31], 2, v[30:31]
	v_add_co_u32_e32 v30, vcc, s4, v30
	v_addc_co_u32_e32 v31, vcc, v33, v31, vcc
	;; [unrolled: 4-line block ×7, first 2 shown]
	v_ashrrev_i32_e32 v43, 31, v42
	v_lshlrev_b64 v[42:43], 2, v[42:43]
	v_add_co_u32_e32 v42, vcc, s4, v42
	global_load_dword v49, v[22:23], off
	global_load_dword v50, v[24:25], off
	;; [unrolled: 1-line block ×8, first 2 shown]
	v_addc_co_u32_e32 v43, vcc, v54, v43, vcc
	global_load_dword v58, v[38:39], off
	global_load_dword v59, v[40:41], off
	;; [unrolled: 1-line block ×3, first 2 shown]
	v_mov_b32_e32 v54, 0
	s_waitcnt vmcnt(18)
	buffer_store_dword v45, off, s[0:3], 0 offset:20
	s_waitcnt vmcnt(18)
	buffer_store_dword v46, off, s[0:3], 0 offset:24
	;; [unrolled: 2-line block ×6, first 2 shown]
	buffer_store_dword v50, off, s[0:3], 0 offset:40
	s_waitcnt vmcnt(14)
	buffer_store_dword v52, off, s[0:3], 0 offset:48
	s_waitcnt vmcnt(14)
	;; [unrolled: 2-line block ×8, first 2 shown]
	buffer_store_dword v60, off, s[0:3], 0 offset:76
	buffer_store_dword v44, off, s[0:3], 0 offset:80
	v_mov_b32_e32 v44, -1.0
	s_cbranch_scc1 .LBB20_3
; %bb.2:
	v_lshl_add_u32 v44, v0, 2, v54
	buffer_load_dword v45, v44, s[0:3], 0 offen
	s_waitcnt vmcnt(0)
	v_div_scale_f32 v46, s[4:5], v45, v45, 1.0
	v_rcp_f32_e32 v47, v46
	v_div_scale_f32 v48, vcc, 1.0, v45, 1.0
	v_fma_f32 v49, -v46, v47, 1.0
	v_fmac_f32_e32 v47, v49, v47
	v_mul_f32_e32 v49, v48, v47
	v_fma_f32 v50, -v46, v49, v48
	v_fmac_f32_e32 v49, v50, v47
	v_fma_f32 v46, -v46, v49, v48
	v_div_fmas_f32 v46, v46, v47, v49
	v_div_fixup_f32 v45, v46, v45, 1.0
	buffer_store_dword v45, v44, s[0:3], 0 offen
	v_xor_b32_e32 v44, 0x80000000, v45
.LBB20_3:
	ds_write_b32 v1, v44
	s_cmpk_eq_i32 s12, 0x79
	v_add_u32_e32 v44, 0x60, v1
	v_add_u32_e32 v45, 0, v1
	s_mov_b64 s[4:5], -1
	s_cbranch_scc1 .LBB20_197
; %bb.4:
	buffer_load_dword v46, off, s[0:3], 0 offset:76
	v_cmp_eq_u32_e64 s[4:5], 20, v0
	s_waitcnt vmcnt(0)
	ds_write_b32 v44, v46
	s_waitcnt lgkmcnt(0)
	; wave barrier
	s_waitcnt lgkmcnt(0)
	s_and_saveexec_b64 s[6:7], s[4:5]
	s_cbranch_execz .LBB20_10
; %bb.5:
	s_and_b64 vcc, exec, s[10:11]
	s_cbranch_vccz .LBB20_7
; %bb.6:
	buffer_load_dword v46, v45, s[0:3], 0 offen
	ds_read_b32 v47, v44
	s_waitcnt vmcnt(0) lgkmcnt(0)
	v_mul_f32_e32 v46, v46, v47
	s_cbranch_execz .LBB20_8
	s_branch .LBB20_9
.LBB20_7:
                                        ; implicit-def: $vgpr46
.LBB20_8:
	ds_read_b32 v46, v44
.LBB20_9:
	v_mov_b32_e32 v47, 0
	ds_read_b32 v47, v47 offset:76
	s_waitcnt lgkmcnt(0)
	v_mul_f32_e32 v46, v46, v47
	buffer_store_dword v46, off, s[0:3], 0 offset:76
.LBB20_10:
	s_or_b64 exec, exec, s[6:7]
	buffer_load_dword v55, off, s[0:3], 0 offset:72
	v_or_b32_e32 v46, 8, v54
	v_add_u32_e32 v47, 16, v54
	v_add_u32_e32 v48, 24, v54
	;; [unrolled: 1-line block ×8, first 2 shown]
	v_cmp_lt_u32_e64 s[8:9], 18, v0
	s_waitcnt vmcnt(0)
	ds_write_b32 v44, v55
	s_waitcnt lgkmcnt(0)
	; wave barrier
	s_waitcnt lgkmcnt(0)
	s_and_saveexec_b64 s[6:7], s[8:9]
	s_cbranch_execz .LBB20_16
; %bb.11:
	s_andn2_b64 vcc, exec, s[10:11]
	s_cbranch_vccnz .LBB20_13
; %bb.12:
	buffer_load_dword v55, v45, s[0:3], 0 offen
	ds_read_b32 v56, v44
	s_waitcnt vmcnt(0) lgkmcnt(0)
	v_mul_f32_e32 v55, v55, v56
	s_cbranch_execz .LBB20_14
	s_branch .LBB20_15
.LBB20_13:
                                        ; implicit-def: $vgpr55
.LBB20_14:
	ds_read_b32 v55, v44
.LBB20_15:
	buffer_load_dword v58, off, s[0:3], 0 offset:76
	v_mov_b32_e32 v56, 0
	ds_read2_b32 v[56:57], v56 offset0:18 offset1:43
	s_waitcnt vmcnt(0) lgkmcnt(0)
	v_fma_f32 v57, v58, v57, v55
	v_cndmask_b32_e64 v55, v55, v57, s[4:5]
	v_mul_f32_e32 v55, v55, v56
	buffer_store_dword v55, off, s[0:3], 0 offset:72
.LBB20_16:
	s_or_b64 exec, exec, s[6:7]
	buffer_load_dword v55, off, s[0:3], 0 offset:68
	v_cmp_lt_u32_e64 s[6:7], 17, v0
	s_waitcnt vmcnt(0)
	ds_write_b32 v44, v55
	s_waitcnt lgkmcnt(0)
	; wave barrier
	s_waitcnt lgkmcnt(0)
	s_and_saveexec_b64 s[4:5], s[6:7]
	s_cbranch_execz .LBB20_26
; %bb.17:
	s_andn2_b64 vcc, exec, s[10:11]
	s_cbranch_vccnz .LBB20_19
; %bb.18:
	buffer_load_dword v55, v45, s[0:3], 0 offen
	ds_read_b32 v56, v44
	s_waitcnt vmcnt(0) lgkmcnt(0)
	v_mul_f32_e32 v55, v55, v56
	s_cbranch_execz .LBB20_20
	s_branch .LBB20_21
.LBB20_19:
                                        ; implicit-def: $vgpr55
.LBB20_20:
	ds_read_b32 v55, v44
.LBB20_21:
	s_and_saveexec_b64 s[12:13], s[8:9]
	s_cbranch_execz .LBB20_25
; %bb.22:
	v_subrev_u32_e32 v56, 18, v0
	s_movk_i32 s14, 0xa8
	s_mov_b64 s[8:9], 0
.LBB20_23:                              ; =>This Inner Loop Header: Depth=1
	buffer_load_dword v57, v54, s[0:3], 0 offen
	v_mov_b32_e32 v58, s14
	ds_read_b32 v58, v58
	v_add_u32_e32 v56, -1, v56
	s_add_i32 s14, s14, 4
	v_cmp_eq_u32_e32 vcc, 0, v56
	v_add_u32_e32 v54, 4, v54
	s_or_b64 s[8:9], vcc, s[8:9]
	s_waitcnt vmcnt(0) lgkmcnt(0)
	v_fmac_f32_e32 v55, v57, v58
	s_andn2_b64 exec, exec, s[8:9]
	s_cbranch_execnz .LBB20_23
; %bb.24:
	s_or_b64 exec, exec, s[8:9]
.LBB20_25:
	s_or_b64 exec, exec, s[12:13]
	v_mov_b32_e32 v54, 0
	ds_read_b32 v54, v54 offset:68
	s_waitcnt lgkmcnt(0)
	v_mul_f32_e32 v54, v55, v54
	buffer_store_dword v54, off, s[0:3], 0 offset:68
.LBB20_26:
	s_or_b64 exec, exec, s[4:5]
	buffer_load_dword v54, off, s[0:3], 0 offset:64
	v_cmp_lt_u32_e64 s[4:5], 16, v0
	s_waitcnt vmcnt(0)
	ds_write_b32 v44, v54
	s_waitcnt lgkmcnt(0)
	; wave barrier
	s_waitcnt lgkmcnt(0)
	s_and_saveexec_b64 s[8:9], s[4:5]
	s_cbranch_execz .LBB20_36
; %bb.27:
	s_andn2_b64 vcc, exec, s[10:11]
	s_cbranch_vccnz .LBB20_29
; %bb.28:
	buffer_load_dword v54, v45, s[0:3], 0 offen
	ds_read_b32 v55, v44
	s_waitcnt vmcnt(0) lgkmcnt(0)
	v_mul_f32_e32 v54, v54, v55
	s_cbranch_execz .LBB20_30
	s_branch .LBB20_31
.LBB20_29:
                                        ; implicit-def: $vgpr54
.LBB20_30:
	ds_read_b32 v54, v44
.LBB20_31:
	s_and_saveexec_b64 s[12:13], s[6:7]
	s_cbranch_execz .LBB20_35
; %bb.32:
	v_mov_b32_e32 v55, 0
	v_add_u32_e32 v55, 0x44, v55
	v_subrev_u32_e32 v56, 17, v0
	s_movk_i32 s14, 0xa4
	s_mov_b64 s[6:7], 0
.LBB20_33:                              ; =>This Inner Loop Header: Depth=1
	buffer_load_dword v57, v55, s[0:3], 0 offen
	v_mov_b32_e32 v58, s14
	ds_read_b32 v58, v58
	v_add_u32_e32 v56, -1, v56
	s_add_i32 s14, s14, 4
	v_cmp_eq_u32_e32 vcc, 0, v56
	v_add_u32_e32 v55, 4, v55
	s_or_b64 s[6:7], vcc, s[6:7]
	s_waitcnt vmcnt(0) lgkmcnt(0)
	v_fmac_f32_e32 v54, v57, v58
	s_andn2_b64 exec, exec, s[6:7]
	s_cbranch_execnz .LBB20_33
; %bb.34:
	s_or_b64 exec, exec, s[6:7]
.LBB20_35:
	s_or_b64 exec, exec, s[12:13]
	v_mov_b32_e32 v55, 0
	ds_read_b32 v55, v55 offset:64
	s_waitcnt lgkmcnt(0)
	v_mul_f32_e32 v54, v54, v55
	buffer_store_dword v54, off, s[0:3], 0 offset:64
.LBB20_36:
	s_or_b64 exec, exec, s[8:9]
	buffer_load_dword v54, off, s[0:3], 0 offset:60
	v_cmp_lt_u32_e64 s[6:7], 15, v0
	s_waitcnt vmcnt(0)
	ds_write_b32 v44, v54
	s_waitcnt lgkmcnt(0)
	; wave barrier
	s_waitcnt lgkmcnt(0)
	s_and_saveexec_b64 s[8:9], s[6:7]
	s_cbranch_execz .LBB20_46
; %bb.37:
	s_andn2_b64 vcc, exec, s[10:11]
	s_cbranch_vccnz .LBB20_39
; %bb.38:
	buffer_load_dword v54, v45, s[0:3], 0 offen
	ds_read_b32 v55, v44
	s_waitcnt vmcnt(0) lgkmcnt(0)
	v_mul_f32_e32 v54, v54, v55
	s_cbranch_execz .LBB20_40
	s_branch .LBB20_41
.LBB20_39:
                                        ; implicit-def: $vgpr54
.LBB20_40:
	ds_read_b32 v54, v44
.LBB20_41:
	s_and_saveexec_b64 s[12:13], s[4:5]
	s_cbranch_execz .LBB20_45
; %bb.42:
	v_add_u32_e32 v55, -16, v0
	s_movk_i32 s14, 0xa0
	s_mov_b64 s[4:5], 0
.LBB20_43:                              ; =>This Inner Loop Header: Depth=1
	buffer_load_dword v56, v53, s[0:3], 0 offen
	v_mov_b32_e32 v57, s14
	ds_read_b32 v57, v57
	v_add_u32_e32 v55, -1, v55
	s_add_i32 s14, s14, 4
	v_cmp_eq_u32_e32 vcc, 0, v55
	v_add_u32_e32 v53, 4, v53
	s_or_b64 s[4:5], vcc, s[4:5]
	s_waitcnt vmcnt(0) lgkmcnt(0)
	v_fmac_f32_e32 v54, v56, v57
	s_andn2_b64 exec, exec, s[4:5]
	s_cbranch_execnz .LBB20_43
; %bb.44:
	s_or_b64 exec, exec, s[4:5]
.LBB20_45:
	s_or_b64 exec, exec, s[12:13]
	v_mov_b32_e32 v53, 0
	ds_read_b32 v53, v53 offset:60
	s_waitcnt lgkmcnt(0)
	v_mul_f32_e32 v53, v54, v53
	buffer_store_dword v53, off, s[0:3], 0 offset:60
.LBB20_46:
	s_or_b64 exec, exec, s[8:9]
	buffer_load_dword v53, off, s[0:3], 0 offset:56
	v_cmp_lt_u32_e64 s[4:5], 14, v0
	s_waitcnt vmcnt(0)
	ds_write_b32 v44, v53
	s_waitcnt lgkmcnt(0)
	; wave barrier
	s_waitcnt lgkmcnt(0)
	s_and_saveexec_b64 s[8:9], s[4:5]
	s_cbranch_execz .LBB20_56
; %bb.47:
	s_andn2_b64 vcc, exec, s[10:11]
	s_cbranch_vccnz .LBB20_49
; %bb.48:
	buffer_load_dword v53, v45, s[0:3], 0 offen
	ds_read_b32 v54, v44
	s_waitcnt vmcnt(0) lgkmcnt(0)
	v_mul_f32_e32 v53, v53, v54
	s_cbranch_execz .LBB20_50
	s_branch .LBB20_51
.LBB20_49:
                                        ; implicit-def: $vgpr53
.LBB20_50:
	ds_read_b32 v53, v44
.LBB20_51:
	s_and_saveexec_b64 s[12:13], s[6:7]
	s_cbranch_execz .LBB20_55
; %bb.52:
	v_mov_b32_e32 v54, 0
	v_add_u32_e32 v54, 60, v54
	v_add_u32_e32 v55, -15, v0
	s_movk_i32 s14, 0x9c
	s_mov_b64 s[6:7], 0
.LBB20_53:                              ; =>This Inner Loop Header: Depth=1
	buffer_load_dword v56, v54, s[0:3], 0 offen
	v_mov_b32_e32 v57, s14
	ds_read_b32 v57, v57
	v_add_u32_e32 v55, -1, v55
	s_add_i32 s14, s14, 4
	v_cmp_eq_u32_e32 vcc, 0, v55
	v_add_u32_e32 v54, 4, v54
	s_or_b64 s[6:7], vcc, s[6:7]
	s_waitcnt vmcnt(0) lgkmcnt(0)
	v_fmac_f32_e32 v53, v56, v57
	s_andn2_b64 exec, exec, s[6:7]
	s_cbranch_execnz .LBB20_53
; %bb.54:
	s_or_b64 exec, exec, s[6:7]
.LBB20_55:
	s_or_b64 exec, exec, s[12:13]
	v_mov_b32_e32 v54, 0
	ds_read_b32 v54, v54 offset:56
	s_waitcnt lgkmcnt(0)
	v_mul_f32_e32 v53, v53, v54
	buffer_store_dword v53, off, s[0:3], 0 offset:56
.LBB20_56:
	s_or_b64 exec, exec, s[8:9]
	buffer_load_dword v53, off, s[0:3], 0 offset:52
	v_cmp_lt_u32_e64 s[6:7], 13, v0
	s_waitcnt vmcnt(0)
	ds_write_b32 v44, v53
	s_waitcnt lgkmcnt(0)
	; wave barrier
	s_waitcnt lgkmcnt(0)
	s_and_saveexec_b64 s[8:9], s[6:7]
	s_cbranch_execz .LBB20_66
; %bb.57:
	s_andn2_b64 vcc, exec, s[10:11]
	s_cbranch_vccnz .LBB20_59
; %bb.58:
	buffer_load_dword v53, v45, s[0:3], 0 offen
	ds_read_b32 v54, v44
	s_waitcnt vmcnt(0) lgkmcnt(0)
	v_mul_f32_e32 v53, v53, v54
	s_cbranch_execz .LBB20_60
	s_branch .LBB20_61
.LBB20_59:
                                        ; implicit-def: $vgpr53
.LBB20_60:
	ds_read_b32 v53, v44
.LBB20_61:
	s_and_saveexec_b64 s[12:13], s[4:5]
	s_cbranch_execz .LBB20_65
; %bb.62:
	v_add_u32_e32 v54, -14, v0
	s_movk_i32 s14, 0x98
	s_mov_b64 s[4:5], 0
.LBB20_63:                              ; =>This Inner Loop Header: Depth=1
	buffer_load_dword v55, v52, s[0:3], 0 offen
	v_mov_b32_e32 v56, s14
	ds_read_b32 v56, v56
	v_add_u32_e32 v54, -1, v54
	s_add_i32 s14, s14, 4
	v_cmp_eq_u32_e32 vcc, 0, v54
	v_add_u32_e32 v52, 4, v52
	s_or_b64 s[4:5], vcc, s[4:5]
	s_waitcnt vmcnt(0) lgkmcnt(0)
	v_fmac_f32_e32 v53, v55, v56
	s_andn2_b64 exec, exec, s[4:5]
	s_cbranch_execnz .LBB20_63
; %bb.64:
	s_or_b64 exec, exec, s[4:5]
.LBB20_65:
	s_or_b64 exec, exec, s[12:13]
	v_mov_b32_e32 v52, 0
	ds_read_b32 v52, v52 offset:52
	s_waitcnt lgkmcnt(0)
	v_mul_f32_e32 v52, v53, v52
	buffer_store_dword v52, off, s[0:3], 0 offset:52
.LBB20_66:
	s_or_b64 exec, exec, s[8:9]
	buffer_load_dword v52, off, s[0:3], 0 offset:48
	v_cmp_lt_u32_e64 s[4:5], 12, v0
	s_waitcnt vmcnt(0)
	ds_write_b32 v44, v52
	s_waitcnt lgkmcnt(0)
	; wave barrier
	s_waitcnt lgkmcnt(0)
	s_and_saveexec_b64 s[8:9], s[4:5]
	s_cbranch_execz .LBB20_76
; %bb.67:
	s_andn2_b64 vcc, exec, s[10:11]
	s_cbranch_vccnz .LBB20_69
; %bb.68:
	buffer_load_dword v52, v45, s[0:3], 0 offen
	ds_read_b32 v53, v44
	s_waitcnt vmcnt(0) lgkmcnt(0)
	v_mul_f32_e32 v52, v52, v53
	s_cbranch_execz .LBB20_70
	s_branch .LBB20_71
.LBB20_69:
                                        ; implicit-def: $vgpr52
.LBB20_70:
	ds_read_b32 v52, v44
.LBB20_71:
	s_and_saveexec_b64 s[12:13], s[6:7]
	s_cbranch_execz .LBB20_75
; %bb.72:
	v_mov_b32_e32 v53, 0
	v_add_u32_e32 v53, 52, v53
	v_add_u32_e32 v54, -13, v0
	s_movk_i32 s14, 0x94
	s_mov_b64 s[6:7], 0
.LBB20_73:                              ; =>This Inner Loop Header: Depth=1
	buffer_load_dword v55, v53, s[0:3], 0 offen
	v_mov_b32_e32 v56, s14
	ds_read_b32 v56, v56
	v_add_u32_e32 v54, -1, v54
	s_add_i32 s14, s14, 4
	v_cmp_eq_u32_e32 vcc, 0, v54
	v_add_u32_e32 v53, 4, v53
	s_or_b64 s[6:7], vcc, s[6:7]
	s_waitcnt vmcnt(0) lgkmcnt(0)
	v_fmac_f32_e32 v52, v55, v56
	s_andn2_b64 exec, exec, s[6:7]
	s_cbranch_execnz .LBB20_73
; %bb.74:
	s_or_b64 exec, exec, s[6:7]
.LBB20_75:
	s_or_b64 exec, exec, s[12:13]
	v_mov_b32_e32 v53, 0
	ds_read_b32 v53, v53 offset:48
	s_waitcnt lgkmcnt(0)
	v_mul_f32_e32 v52, v52, v53
	buffer_store_dword v52, off, s[0:3], 0 offset:48
.LBB20_76:
	s_or_b64 exec, exec, s[8:9]
	buffer_load_dword v52, off, s[0:3], 0 offset:44
	v_cmp_lt_u32_e64 s[6:7], 11, v0
	s_waitcnt vmcnt(0)
	ds_write_b32 v44, v52
	s_waitcnt lgkmcnt(0)
	; wave barrier
	s_waitcnt lgkmcnt(0)
	s_and_saveexec_b64 s[8:9], s[6:7]
	s_cbranch_execz .LBB20_86
; %bb.77:
	s_andn2_b64 vcc, exec, s[10:11]
	s_cbranch_vccnz .LBB20_79
; %bb.78:
	buffer_load_dword v52, v45, s[0:3], 0 offen
	ds_read_b32 v53, v44
	s_waitcnt vmcnt(0) lgkmcnt(0)
	v_mul_f32_e32 v52, v52, v53
	s_cbranch_execz .LBB20_80
	s_branch .LBB20_81
.LBB20_79:
                                        ; implicit-def: $vgpr52
.LBB20_80:
	ds_read_b32 v52, v44
.LBB20_81:
	s_and_saveexec_b64 s[12:13], s[4:5]
	s_cbranch_execz .LBB20_85
; %bb.82:
	v_add_u32_e32 v53, -12, v0
	s_movk_i32 s14, 0x90
	s_mov_b64 s[4:5], 0
.LBB20_83:                              ; =>This Inner Loop Header: Depth=1
	buffer_load_dword v54, v51, s[0:3], 0 offen
	v_mov_b32_e32 v55, s14
	ds_read_b32 v55, v55
	v_add_u32_e32 v53, -1, v53
	s_add_i32 s14, s14, 4
	v_cmp_eq_u32_e32 vcc, 0, v53
	v_add_u32_e32 v51, 4, v51
	s_or_b64 s[4:5], vcc, s[4:5]
	s_waitcnt vmcnt(0) lgkmcnt(0)
	v_fmac_f32_e32 v52, v54, v55
	s_andn2_b64 exec, exec, s[4:5]
	s_cbranch_execnz .LBB20_83
; %bb.84:
	s_or_b64 exec, exec, s[4:5]
.LBB20_85:
	s_or_b64 exec, exec, s[12:13]
	v_mov_b32_e32 v51, 0
	ds_read_b32 v51, v51 offset:44
	s_waitcnt lgkmcnt(0)
	v_mul_f32_e32 v51, v52, v51
	buffer_store_dword v51, off, s[0:3], 0 offset:44
.LBB20_86:
	s_or_b64 exec, exec, s[8:9]
	buffer_load_dword v51, off, s[0:3], 0 offset:40
	v_cmp_lt_u32_e64 s[4:5], 10, v0
	s_waitcnt vmcnt(0)
	ds_write_b32 v44, v51
	s_waitcnt lgkmcnt(0)
	; wave barrier
	s_waitcnt lgkmcnt(0)
	s_and_saveexec_b64 s[8:9], s[4:5]
	s_cbranch_execz .LBB20_96
; %bb.87:
	s_andn2_b64 vcc, exec, s[10:11]
	s_cbranch_vccnz .LBB20_89
; %bb.88:
	buffer_load_dword v51, v45, s[0:3], 0 offen
	ds_read_b32 v52, v44
	s_waitcnt vmcnt(0) lgkmcnt(0)
	v_mul_f32_e32 v51, v51, v52
	s_cbranch_execz .LBB20_90
	s_branch .LBB20_91
.LBB20_89:
                                        ; implicit-def: $vgpr51
.LBB20_90:
	ds_read_b32 v51, v44
.LBB20_91:
	s_and_saveexec_b64 s[12:13], s[6:7]
	s_cbranch_execz .LBB20_95
; %bb.92:
	v_mov_b32_e32 v52, 0
	v_add_u32_e32 v52, 44, v52
	v_add_u32_e32 v53, -11, v0
	s_movk_i32 s14, 0x8c
	s_mov_b64 s[6:7], 0
.LBB20_93:                              ; =>This Inner Loop Header: Depth=1
	buffer_load_dword v54, v52, s[0:3], 0 offen
	v_mov_b32_e32 v55, s14
	ds_read_b32 v55, v55
	v_add_u32_e32 v53, -1, v53
	s_add_i32 s14, s14, 4
	v_cmp_eq_u32_e32 vcc, 0, v53
	v_add_u32_e32 v52, 4, v52
	s_or_b64 s[6:7], vcc, s[6:7]
	s_waitcnt vmcnt(0) lgkmcnt(0)
	v_fmac_f32_e32 v51, v54, v55
	s_andn2_b64 exec, exec, s[6:7]
	s_cbranch_execnz .LBB20_93
; %bb.94:
	s_or_b64 exec, exec, s[6:7]
.LBB20_95:
	s_or_b64 exec, exec, s[12:13]
	v_mov_b32_e32 v52, 0
	ds_read_b32 v52, v52 offset:40
	s_waitcnt lgkmcnt(0)
	v_mul_f32_e32 v51, v51, v52
	buffer_store_dword v51, off, s[0:3], 0 offset:40
.LBB20_96:
	s_or_b64 exec, exec, s[8:9]
	buffer_load_dword v51, off, s[0:3], 0 offset:36
	v_cmp_lt_u32_e64 s[6:7], 9, v0
	s_waitcnt vmcnt(0)
	ds_write_b32 v44, v51
	s_waitcnt lgkmcnt(0)
	; wave barrier
	s_waitcnt lgkmcnt(0)
	s_and_saveexec_b64 s[8:9], s[6:7]
	s_cbranch_execz .LBB20_106
; %bb.97:
	s_andn2_b64 vcc, exec, s[10:11]
	s_cbranch_vccnz .LBB20_99
; %bb.98:
	buffer_load_dword v51, v45, s[0:3], 0 offen
	ds_read_b32 v52, v44
	s_waitcnt vmcnt(0) lgkmcnt(0)
	v_mul_f32_e32 v51, v51, v52
	s_cbranch_execz .LBB20_100
	s_branch .LBB20_101
.LBB20_99:
                                        ; implicit-def: $vgpr51
.LBB20_100:
	ds_read_b32 v51, v44
.LBB20_101:
	s_and_saveexec_b64 s[12:13], s[4:5]
	s_cbranch_execz .LBB20_105
; %bb.102:
	v_add_u32_e32 v52, -10, v0
	s_movk_i32 s14, 0x88
	s_mov_b64 s[4:5], 0
.LBB20_103:                             ; =>This Inner Loop Header: Depth=1
	buffer_load_dword v53, v50, s[0:3], 0 offen
	v_mov_b32_e32 v54, s14
	ds_read_b32 v54, v54
	v_add_u32_e32 v52, -1, v52
	s_add_i32 s14, s14, 4
	v_cmp_eq_u32_e32 vcc, 0, v52
	v_add_u32_e32 v50, 4, v50
	s_or_b64 s[4:5], vcc, s[4:5]
	s_waitcnt vmcnt(0) lgkmcnt(0)
	v_fmac_f32_e32 v51, v53, v54
	s_andn2_b64 exec, exec, s[4:5]
	s_cbranch_execnz .LBB20_103
; %bb.104:
	s_or_b64 exec, exec, s[4:5]
.LBB20_105:
	s_or_b64 exec, exec, s[12:13]
	v_mov_b32_e32 v50, 0
	ds_read_b32 v50, v50 offset:36
	s_waitcnt lgkmcnt(0)
	v_mul_f32_e32 v50, v51, v50
	buffer_store_dword v50, off, s[0:3], 0 offset:36
.LBB20_106:
	s_or_b64 exec, exec, s[8:9]
	buffer_load_dword v50, off, s[0:3], 0 offset:32
	v_cmp_lt_u32_e64 s[4:5], 8, v0
	s_waitcnt vmcnt(0)
	ds_write_b32 v44, v50
	s_waitcnt lgkmcnt(0)
	; wave barrier
	s_waitcnt lgkmcnt(0)
	s_and_saveexec_b64 s[8:9], s[4:5]
	s_cbranch_execz .LBB20_116
; %bb.107:
	s_andn2_b64 vcc, exec, s[10:11]
	s_cbranch_vccnz .LBB20_109
; %bb.108:
	buffer_load_dword v50, v45, s[0:3], 0 offen
	ds_read_b32 v51, v44
	s_waitcnt vmcnt(0) lgkmcnt(0)
	v_mul_f32_e32 v50, v50, v51
	s_cbranch_execz .LBB20_110
	s_branch .LBB20_111
.LBB20_109:
                                        ; implicit-def: $vgpr50
.LBB20_110:
	ds_read_b32 v50, v44
.LBB20_111:
	s_and_saveexec_b64 s[12:13], s[6:7]
	s_cbranch_execz .LBB20_115
; %bb.112:
	v_mov_b32_e32 v51, 0
	v_add_u32_e32 v51, 36, v51
	v_add_u32_e32 v52, -9, v0
	s_movk_i32 s14, 0x84
	s_mov_b64 s[6:7], 0
.LBB20_113:                             ; =>This Inner Loop Header: Depth=1
	buffer_load_dword v53, v51, s[0:3], 0 offen
	v_mov_b32_e32 v54, s14
	ds_read_b32 v54, v54
	v_add_u32_e32 v52, -1, v52
	s_add_i32 s14, s14, 4
	v_cmp_eq_u32_e32 vcc, 0, v52
	v_add_u32_e32 v51, 4, v51
	s_or_b64 s[6:7], vcc, s[6:7]
	s_waitcnt vmcnt(0) lgkmcnt(0)
	v_fmac_f32_e32 v50, v53, v54
	s_andn2_b64 exec, exec, s[6:7]
	s_cbranch_execnz .LBB20_113
; %bb.114:
	s_or_b64 exec, exec, s[6:7]
.LBB20_115:
	s_or_b64 exec, exec, s[12:13]
	v_mov_b32_e32 v51, 0
	ds_read_b32 v51, v51 offset:32
	s_waitcnt lgkmcnt(0)
	v_mul_f32_e32 v50, v50, v51
	buffer_store_dword v50, off, s[0:3], 0 offset:32
.LBB20_116:
	s_or_b64 exec, exec, s[8:9]
	buffer_load_dword v50, off, s[0:3], 0 offset:28
	v_cmp_lt_u32_e64 s[6:7], 7, v0
	s_waitcnt vmcnt(0)
	ds_write_b32 v44, v50
	s_waitcnt lgkmcnt(0)
	; wave barrier
	s_waitcnt lgkmcnt(0)
	s_and_saveexec_b64 s[8:9], s[6:7]
	s_cbranch_execz .LBB20_126
; %bb.117:
	s_andn2_b64 vcc, exec, s[10:11]
	s_cbranch_vccnz .LBB20_119
; %bb.118:
	buffer_load_dword v50, v45, s[0:3], 0 offen
	ds_read_b32 v51, v44
	s_waitcnt vmcnt(0) lgkmcnt(0)
	v_mul_f32_e32 v50, v50, v51
	s_cbranch_execz .LBB20_120
	s_branch .LBB20_121
.LBB20_119:
                                        ; implicit-def: $vgpr50
.LBB20_120:
	ds_read_b32 v50, v44
.LBB20_121:
	s_and_saveexec_b64 s[12:13], s[4:5]
	s_cbranch_execz .LBB20_125
; %bb.122:
	v_add_u32_e32 v51, -8, v0
	s_movk_i32 s14, 0x80
	s_mov_b64 s[4:5], 0
.LBB20_123:                             ; =>This Inner Loop Header: Depth=1
	buffer_load_dword v52, v49, s[0:3], 0 offen
	v_mov_b32_e32 v53, s14
	ds_read_b32 v53, v53
	v_add_u32_e32 v51, -1, v51
	s_add_i32 s14, s14, 4
	v_cmp_eq_u32_e32 vcc, 0, v51
	v_add_u32_e32 v49, 4, v49
	s_or_b64 s[4:5], vcc, s[4:5]
	s_waitcnt vmcnt(0) lgkmcnt(0)
	v_fmac_f32_e32 v50, v52, v53
	s_andn2_b64 exec, exec, s[4:5]
	s_cbranch_execnz .LBB20_123
; %bb.124:
	s_or_b64 exec, exec, s[4:5]
.LBB20_125:
	s_or_b64 exec, exec, s[12:13]
	v_mov_b32_e32 v49, 0
	ds_read_b32 v49, v49 offset:28
	s_waitcnt lgkmcnt(0)
	v_mul_f32_e32 v49, v50, v49
	buffer_store_dword v49, off, s[0:3], 0 offset:28
.LBB20_126:
	s_or_b64 exec, exec, s[8:9]
	buffer_load_dword v49, off, s[0:3], 0 offset:24
	v_cmp_lt_u32_e64 s[4:5], 6, v0
	s_waitcnt vmcnt(0)
	ds_write_b32 v44, v49
	s_waitcnt lgkmcnt(0)
	; wave barrier
	s_waitcnt lgkmcnt(0)
	s_and_saveexec_b64 s[8:9], s[4:5]
	s_cbranch_execz .LBB20_136
; %bb.127:
	s_andn2_b64 vcc, exec, s[10:11]
	s_cbranch_vccnz .LBB20_129
; %bb.128:
	buffer_load_dword v49, v45, s[0:3], 0 offen
	ds_read_b32 v50, v44
	s_waitcnt vmcnt(0) lgkmcnt(0)
	v_mul_f32_e32 v49, v49, v50
	s_cbranch_execz .LBB20_130
	s_branch .LBB20_131
.LBB20_129:
                                        ; implicit-def: $vgpr49
.LBB20_130:
	ds_read_b32 v49, v44
.LBB20_131:
	s_and_saveexec_b64 s[12:13], s[6:7]
	s_cbranch_execz .LBB20_135
; %bb.132:
	v_mov_b32_e32 v50, 0
	v_add_u32_e32 v50, 28, v50
	v_add_u32_e32 v51, -7, v0
	s_movk_i32 s14, 0x7c
	s_mov_b64 s[6:7], 0
.LBB20_133:                             ; =>This Inner Loop Header: Depth=1
	buffer_load_dword v52, v50, s[0:3], 0 offen
	v_mov_b32_e32 v53, s14
	ds_read_b32 v53, v53
	v_add_u32_e32 v51, -1, v51
	s_add_i32 s14, s14, 4
	v_cmp_eq_u32_e32 vcc, 0, v51
	v_add_u32_e32 v50, 4, v50
	s_or_b64 s[6:7], vcc, s[6:7]
	s_waitcnt vmcnt(0) lgkmcnt(0)
	v_fmac_f32_e32 v49, v52, v53
	s_andn2_b64 exec, exec, s[6:7]
	s_cbranch_execnz .LBB20_133
; %bb.134:
	s_or_b64 exec, exec, s[6:7]
.LBB20_135:
	s_or_b64 exec, exec, s[12:13]
	v_mov_b32_e32 v50, 0
	ds_read_b32 v50, v50 offset:24
	s_waitcnt lgkmcnt(0)
	v_mul_f32_e32 v49, v49, v50
	buffer_store_dword v49, off, s[0:3], 0 offset:24
.LBB20_136:
	s_or_b64 exec, exec, s[8:9]
	buffer_load_dword v49, off, s[0:3], 0 offset:20
	v_cmp_lt_u32_e64 s[6:7], 5, v0
	s_waitcnt vmcnt(0)
	ds_write_b32 v44, v49
	s_waitcnt lgkmcnt(0)
	; wave barrier
	s_waitcnt lgkmcnt(0)
	s_and_saveexec_b64 s[8:9], s[6:7]
	s_cbranch_execz .LBB20_146
; %bb.137:
	s_andn2_b64 vcc, exec, s[10:11]
	s_cbranch_vccnz .LBB20_139
; %bb.138:
	buffer_load_dword v49, v45, s[0:3], 0 offen
	ds_read_b32 v50, v44
	s_waitcnt vmcnt(0) lgkmcnt(0)
	v_mul_f32_e32 v49, v49, v50
	s_cbranch_execz .LBB20_140
	s_branch .LBB20_141
.LBB20_139:
                                        ; implicit-def: $vgpr49
.LBB20_140:
	ds_read_b32 v49, v44
.LBB20_141:
	s_and_saveexec_b64 s[12:13], s[4:5]
	s_cbranch_execz .LBB20_145
; %bb.142:
	v_add_u32_e32 v50, -6, v0
	s_movk_i32 s14, 0x78
	s_mov_b64 s[4:5], 0
.LBB20_143:                             ; =>This Inner Loop Header: Depth=1
	buffer_load_dword v51, v48, s[0:3], 0 offen
	v_mov_b32_e32 v52, s14
	ds_read_b32 v52, v52
	v_add_u32_e32 v50, -1, v50
	s_add_i32 s14, s14, 4
	v_cmp_eq_u32_e32 vcc, 0, v50
	v_add_u32_e32 v48, 4, v48
	s_or_b64 s[4:5], vcc, s[4:5]
	s_waitcnt vmcnt(0) lgkmcnt(0)
	v_fmac_f32_e32 v49, v51, v52
	s_andn2_b64 exec, exec, s[4:5]
	s_cbranch_execnz .LBB20_143
; %bb.144:
	s_or_b64 exec, exec, s[4:5]
.LBB20_145:
	s_or_b64 exec, exec, s[12:13]
	v_mov_b32_e32 v48, 0
	ds_read_b32 v48, v48 offset:20
	s_waitcnt lgkmcnt(0)
	v_mul_f32_e32 v48, v49, v48
	buffer_store_dword v48, off, s[0:3], 0 offset:20
.LBB20_146:
	s_or_b64 exec, exec, s[8:9]
	buffer_load_dword v48, off, s[0:3], 0 offset:16
	v_cmp_lt_u32_e64 s[4:5], 4, v0
	s_waitcnt vmcnt(0)
	ds_write_b32 v44, v48
	s_waitcnt lgkmcnt(0)
	; wave barrier
	s_waitcnt lgkmcnt(0)
	s_and_saveexec_b64 s[8:9], s[4:5]
	s_cbranch_execz .LBB20_156
; %bb.147:
	s_andn2_b64 vcc, exec, s[10:11]
	s_cbranch_vccnz .LBB20_149
; %bb.148:
	buffer_load_dword v48, v45, s[0:3], 0 offen
	ds_read_b32 v49, v44
	s_waitcnt vmcnt(0) lgkmcnt(0)
	v_mul_f32_e32 v48, v48, v49
	s_cbranch_execz .LBB20_150
	s_branch .LBB20_151
.LBB20_149:
                                        ; implicit-def: $vgpr48
.LBB20_150:
	ds_read_b32 v48, v44
.LBB20_151:
	s_and_saveexec_b64 s[12:13], s[6:7]
	s_cbranch_execz .LBB20_155
; %bb.152:
	v_mov_b32_e32 v49, 0
	v_add_u32_e32 v49, 20, v49
	v_add_u32_e32 v50, -5, v0
	s_movk_i32 s14, 0x74
	s_mov_b64 s[6:7], 0
.LBB20_153:                             ; =>This Inner Loop Header: Depth=1
	buffer_load_dword v51, v49, s[0:3], 0 offen
	v_mov_b32_e32 v52, s14
	ds_read_b32 v52, v52
	v_add_u32_e32 v50, -1, v50
	s_add_i32 s14, s14, 4
	v_cmp_eq_u32_e32 vcc, 0, v50
	v_add_u32_e32 v49, 4, v49
	s_or_b64 s[6:7], vcc, s[6:7]
	s_waitcnt vmcnt(0) lgkmcnt(0)
	v_fmac_f32_e32 v48, v51, v52
	s_andn2_b64 exec, exec, s[6:7]
	s_cbranch_execnz .LBB20_153
; %bb.154:
	s_or_b64 exec, exec, s[6:7]
.LBB20_155:
	s_or_b64 exec, exec, s[12:13]
	v_mov_b32_e32 v49, 0
	ds_read_b32 v49, v49 offset:16
	s_waitcnt lgkmcnt(0)
	v_mul_f32_e32 v48, v48, v49
	buffer_store_dword v48, off, s[0:3], 0 offset:16
.LBB20_156:
	s_or_b64 exec, exec, s[8:9]
	buffer_load_dword v48, off, s[0:3], 0 offset:12
	v_cmp_lt_u32_e64 s[6:7], 3, v0
	s_waitcnt vmcnt(0)
	ds_write_b32 v44, v48
	s_waitcnt lgkmcnt(0)
	; wave barrier
	s_waitcnt lgkmcnt(0)
	s_and_saveexec_b64 s[8:9], s[6:7]
	s_cbranch_execz .LBB20_166
; %bb.157:
	s_andn2_b64 vcc, exec, s[10:11]
	s_cbranch_vccnz .LBB20_159
; %bb.158:
	buffer_load_dword v48, v45, s[0:3], 0 offen
	ds_read_b32 v49, v44
	s_waitcnt vmcnt(0) lgkmcnt(0)
	v_mul_f32_e32 v48, v48, v49
	s_cbranch_execz .LBB20_160
	s_branch .LBB20_161
.LBB20_159:
                                        ; implicit-def: $vgpr48
.LBB20_160:
	ds_read_b32 v48, v44
.LBB20_161:
	s_and_saveexec_b64 s[12:13], s[4:5]
	s_cbranch_execz .LBB20_165
; %bb.162:
	v_add_u32_e32 v49, -4, v0
	s_movk_i32 s14, 0x70
	s_mov_b64 s[4:5], 0
.LBB20_163:                             ; =>This Inner Loop Header: Depth=1
	buffer_load_dword v50, v47, s[0:3], 0 offen
	v_mov_b32_e32 v51, s14
	ds_read_b32 v51, v51
	v_add_u32_e32 v49, -1, v49
	s_add_i32 s14, s14, 4
	v_cmp_eq_u32_e32 vcc, 0, v49
	v_add_u32_e32 v47, 4, v47
	s_or_b64 s[4:5], vcc, s[4:5]
	s_waitcnt vmcnt(0) lgkmcnt(0)
	v_fmac_f32_e32 v48, v50, v51
	s_andn2_b64 exec, exec, s[4:5]
	s_cbranch_execnz .LBB20_163
; %bb.164:
	s_or_b64 exec, exec, s[4:5]
.LBB20_165:
	s_or_b64 exec, exec, s[12:13]
	v_mov_b32_e32 v47, 0
	ds_read_b32 v47, v47 offset:12
	s_waitcnt lgkmcnt(0)
	v_mul_f32_e32 v47, v48, v47
	buffer_store_dword v47, off, s[0:3], 0 offset:12
.LBB20_166:
	s_or_b64 exec, exec, s[8:9]
	buffer_load_dword v47, off, s[0:3], 0 offset:8
	v_cmp_lt_u32_e64 s[4:5], 2, v0
	s_waitcnt vmcnt(0)
	ds_write_b32 v44, v47
	s_waitcnt lgkmcnt(0)
	; wave barrier
	s_waitcnt lgkmcnt(0)
	s_and_saveexec_b64 s[8:9], s[4:5]
	s_cbranch_execz .LBB20_176
; %bb.167:
	s_andn2_b64 vcc, exec, s[10:11]
	s_cbranch_vccnz .LBB20_169
; %bb.168:
	buffer_load_dword v47, v45, s[0:3], 0 offen
	ds_read_b32 v48, v44
	s_waitcnt vmcnt(0) lgkmcnt(0)
	v_mul_f32_e32 v47, v47, v48
	s_cbranch_execz .LBB20_170
	s_branch .LBB20_171
.LBB20_169:
                                        ; implicit-def: $vgpr47
.LBB20_170:
	ds_read_b32 v47, v44
.LBB20_171:
	s_and_saveexec_b64 s[12:13], s[6:7]
	s_cbranch_execz .LBB20_175
; %bb.172:
	v_mov_b32_e32 v48, 0
	v_or_b32_e32 v48, 12, v48
	v_add_u32_e32 v49, -3, v0
	s_movk_i32 s14, 0x6c
	s_mov_b64 s[6:7], 0
.LBB20_173:                             ; =>This Inner Loop Header: Depth=1
	buffer_load_dword v50, v48, s[0:3], 0 offen
	v_mov_b32_e32 v51, s14
	ds_read_b32 v51, v51
	v_add_u32_e32 v49, -1, v49
	s_add_i32 s14, s14, 4
	v_cmp_eq_u32_e32 vcc, 0, v49
	v_add_u32_e32 v48, 4, v48
	s_or_b64 s[6:7], vcc, s[6:7]
	s_waitcnt vmcnt(0) lgkmcnt(0)
	v_fmac_f32_e32 v47, v50, v51
	s_andn2_b64 exec, exec, s[6:7]
	s_cbranch_execnz .LBB20_173
; %bb.174:
	s_or_b64 exec, exec, s[6:7]
.LBB20_175:
	s_or_b64 exec, exec, s[12:13]
	v_mov_b32_e32 v48, 0
	ds_read_b32 v48, v48 offset:8
	s_waitcnt lgkmcnt(0)
	v_mul_f32_e32 v47, v47, v48
	buffer_store_dword v47, off, s[0:3], 0 offset:8
.LBB20_176:
	s_or_b64 exec, exec, s[8:9]
	buffer_load_dword v47, off, s[0:3], 0 offset:4
	v_cmp_lt_u32_e64 s[6:7], 1, v0
	s_waitcnt vmcnt(0)
	ds_write_b32 v44, v47
	s_waitcnt lgkmcnt(0)
	; wave barrier
	s_waitcnt lgkmcnt(0)
	s_and_saveexec_b64 s[8:9], s[6:7]
	s_cbranch_execz .LBB20_186
; %bb.177:
	s_andn2_b64 vcc, exec, s[10:11]
	s_cbranch_vccnz .LBB20_179
; %bb.178:
	buffer_load_dword v47, v45, s[0:3], 0 offen
	ds_read_b32 v48, v44
	s_waitcnt vmcnt(0) lgkmcnt(0)
	v_mul_f32_e32 v47, v47, v48
	s_cbranch_execz .LBB20_180
	s_branch .LBB20_181
.LBB20_179:
                                        ; implicit-def: $vgpr47
.LBB20_180:
	ds_read_b32 v47, v44
.LBB20_181:
	s_and_saveexec_b64 s[12:13], s[4:5]
	s_cbranch_execz .LBB20_185
; %bb.182:
	v_add_u32_e32 v48, -2, v0
	s_movk_i32 s14, 0x68
	s_mov_b64 s[4:5], 0
.LBB20_183:                             ; =>This Inner Loop Header: Depth=1
	buffer_load_dword v49, v46, s[0:3], 0 offen
	v_mov_b32_e32 v50, s14
	ds_read_b32 v50, v50
	v_add_u32_e32 v48, -1, v48
	s_add_i32 s14, s14, 4
	v_cmp_eq_u32_e32 vcc, 0, v48
	v_add_u32_e32 v46, 4, v46
	s_or_b64 s[4:5], vcc, s[4:5]
	s_waitcnt vmcnt(0) lgkmcnt(0)
	v_fmac_f32_e32 v47, v49, v50
	s_andn2_b64 exec, exec, s[4:5]
	s_cbranch_execnz .LBB20_183
; %bb.184:
	s_or_b64 exec, exec, s[4:5]
.LBB20_185:
	s_or_b64 exec, exec, s[12:13]
	v_mov_b32_e32 v46, 0
	ds_read_b32 v46, v46 offset:4
	s_waitcnt lgkmcnt(0)
	v_mul_f32_e32 v46, v47, v46
	buffer_store_dword v46, off, s[0:3], 0 offset:4
.LBB20_186:
	s_or_b64 exec, exec, s[8:9]
	buffer_load_dword v46, off, s[0:3], 0
	v_cmp_ne_u32_e32 vcc, 0, v0
	s_waitcnt vmcnt(0)
	ds_write_b32 v44, v46
	s_waitcnt lgkmcnt(0)
	; wave barrier
	s_waitcnt lgkmcnt(0)
	s_and_saveexec_b64 s[4:5], vcc
	s_cbranch_execz .LBB20_196
; %bb.187:
	s_andn2_b64 vcc, exec, s[10:11]
	s_cbranch_vccnz .LBB20_189
; %bb.188:
	buffer_load_dword v46, v45, s[0:3], 0 offen
	ds_read_b32 v47, v44
	s_waitcnt vmcnt(0) lgkmcnt(0)
	v_mul_f32_e32 v46, v46, v47
	s_cbranch_execz .LBB20_190
	s_branch .LBB20_191
.LBB20_189:
                                        ; implicit-def: $vgpr46
.LBB20_190:
	ds_read_b32 v46, v44
.LBB20_191:
	s_and_saveexec_b64 s[8:9], s[6:7]
	s_cbranch_execz .LBB20_195
; %bb.192:
	v_mov_b32_e32 v47, 0
	v_or_b32_e32 v47, 4, v47
	v_add_u32_e32 v48, -1, v0
	s_movk_i32 s12, 0x64
	s_mov_b64 s[6:7], 0
.LBB20_193:                             ; =>This Inner Loop Header: Depth=1
	buffer_load_dword v49, v47, s[0:3], 0 offen
	v_mov_b32_e32 v50, s12
	ds_read_b32 v50, v50
	v_add_u32_e32 v48, -1, v48
	s_add_i32 s12, s12, 4
	v_cmp_eq_u32_e32 vcc, 0, v48
	v_add_u32_e32 v47, 4, v47
	s_or_b64 s[6:7], vcc, s[6:7]
	s_waitcnt vmcnt(0) lgkmcnt(0)
	v_fmac_f32_e32 v46, v49, v50
	s_andn2_b64 exec, exec, s[6:7]
	s_cbranch_execnz .LBB20_193
; %bb.194:
	s_or_b64 exec, exec, s[6:7]
.LBB20_195:
	s_or_b64 exec, exec, s[8:9]
	v_mov_b32_e32 v47, 0
	ds_read_b32 v47, v47
	s_waitcnt lgkmcnt(0)
	v_mul_f32_e32 v46, v46, v47
	buffer_store_dword v46, off, s[0:3], 0
.LBB20_196:
	s_or_b64 exec, exec, s[4:5]
	s_mov_b64 s[4:5], 0
.LBB20_197:
	s_and_b64 vcc, exec, s[4:5]
	s_cbranch_vccz .LBB20_391
; %bb.198:
	buffer_load_dword v46, off, s[0:3], 0 offset:4
	v_cmp_eq_u32_e64 s[6:7], 0, v0
	s_waitcnt vmcnt(0)
	ds_write_b32 v44, v46
	s_waitcnt lgkmcnt(0)
	; wave barrier
	s_waitcnt lgkmcnt(0)
	s_and_saveexec_b64 s[4:5], s[6:7]
	s_cbranch_execz .LBB20_204
; %bb.199:
	s_and_b64 vcc, exec, s[10:11]
	s_cbranch_vccz .LBB20_201
; %bb.200:
	buffer_load_dword v46, v45, s[0:3], 0 offen
	ds_read_b32 v47, v44
	s_waitcnt vmcnt(0) lgkmcnt(0)
	v_mul_f32_e32 v46, v46, v47
	s_cbranch_execz .LBB20_202
	s_branch .LBB20_203
.LBB20_201:
                                        ; implicit-def: $vgpr46
.LBB20_202:
	ds_read_b32 v46, v44
.LBB20_203:
	v_mov_b32_e32 v47, 0
	ds_read_b32 v47, v47 offset:4
	s_waitcnt lgkmcnt(0)
	v_mul_f32_e32 v46, v46, v47
	buffer_store_dword v46, off, s[0:3], 0 offset:4
.LBB20_204:
	s_or_b64 exec, exec, s[4:5]
	buffer_load_dword v46, off, s[0:3], 0 offset:8
	v_cndmask_b32_e64 v47, 0, 1, s[10:11]
	v_cmp_gt_u32_e32 vcc, 2, v0
	v_cmp_ne_u32_e64 s[4:5], 1, v47
	s_waitcnt vmcnt(0)
	ds_write_b32 v44, v46
	s_waitcnt lgkmcnt(0)
	; wave barrier
	s_waitcnt lgkmcnt(0)
	s_and_saveexec_b64 s[8:9], vcc
	s_cbranch_execz .LBB20_212
; %bb.205:
	s_and_b64 vcc, exec, s[4:5]
	s_cbranch_vccnz .LBB20_207
; %bb.206:
	buffer_load_dword v46, v45, s[0:3], 0 offen
	ds_read_b32 v47, v44
	s_waitcnt vmcnt(0) lgkmcnt(0)
	v_mul_f32_e32 v46, v46, v47
	s_cbranch_execz .LBB20_208
	s_branch .LBB20_209
.LBB20_207:
                                        ; implicit-def: $vgpr46
.LBB20_208:
	ds_read_b32 v46, v44
.LBB20_209:
	s_and_saveexec_b64 s[10:11], s[6:7]
	s_cbranch_execz .LBB20_211
; %bb.210:
	buffer_load_dword v47, v45, s[0:3], 0 offen offset:4
	ds_read_b32 v48, v44 offset:4
	s_waitcnt vmcnt(0) lgkmcnt(0)
	v_fmac_f32_e32 v46, v47, v48
.LBB20_211:
	s_or_b64 exec, exec, s[10:11]
	v_mov_b32_e32 v47, 0
	ds_read_b32 v47, v47 offset:8
	s_waitcnt lgkmcnt(0)
	v_mul_f32_e32 v46, v46, v47
	buffer_store_dword v46, off, s[0:3], 0 offset:8
.LBB20_212:
	s_or_b64 exec, exec, s[8:9]
	buffer_load_dword v46, off, s[0:3], 0 offset:12
	v_cmp_gt_u32_e32 vcc, 3, v0
	s_waitcnt vmcnt(0)
	ds_write_b32 v44, v46
	s_waitcnt lgkmcnt(0)
	; wave barrier
	s_waitcnt lgkmcnt(0)
	s_and_saveexec_b64 s[8:9], vcc
	s_cbranch_execz .LBB20_220
; %bb.213:
	s_and_b64 vcc, exec, s[4:5]
	s_cbranch_vccnz .LBB20_215
; %bb.214:
	buffer_load_dword v46, v45, s[0:3], 0 offen
	ds_read_b32 v47, v44
	s_waitcnt vmcnt(0) lgkmcnt(0)
	v_mul_f32_e32 v46, v46, v47
	s_cbranch_execz .LBB20_216
	s_branch .LBB20_217
.LBB20_215:
                                        ; implicit-def: $vgpr46
.LBB20_216:
	ds_read_b32 v46, v44
.LBB20_217:
	v_cmp_ne_u32_e32 vcc, 2, v0
	s_and_saveexec_b64 s[10:11], vcc
	s_cbranch_execz .LBB20_219
; %bb.218:
	buffer_load_dword v47, v45, s[0:3], 0 offen offset:4
	buffer_load_dword v48, off, s[0:3], 0 offset:8
	v_mov_b32_e32 v49, 0
	ds_read_b32 v50, v44 offset:4
	ds_read_b32 v49, v49 offset:104
	s_waitcnt vmcnt(1) lgkmcnt(1)
	v_fmac_f32_e32 v46, v47, v50
	s_waitcnt vmcnt(0) lgkmcnt(0)
	v_fma_f32 v47, v48, v49, v46
	v_cndmask_b32_e64 v46, v46, v47, s[6:7]
.LBB20_219:
	s_or_b64 exec, exec, s[10:11]
	v_mov_b32_e32 v47, 0
	ds_read_b32 v47, v47 offset:12
	s_waitcnt lgkmcnt(0)
	v_mul_f32_e32 v46, v46, v47
	buffer_store_dword v46, off, s[0:3], 0 offset:12
.LBB20_220:
	s_or_b64 exec, exec, s[8:9]
	buffer_load_dword v46, off, s[0:3], 0 offset:16
	v_cmp_gt_u32_e32 vcc, 4, v0
	s_waitcnt vmcnt(0)
	ds_write_b32 v44, v46
	s_waitcnt lgkmcnt(0)
	; wave barrier
	s_waitcnt lgkmcnt(0)
	s_and_saveexec_b64 s[6:7], vcc
	s_cbranch_execz .LBB20_230
; %bb.221:
	s_and_b64 vcc, exec, s[4:5]
	s_cbranch_vccnz .LBB20_223
; %bb.222:
	buffer_load_dword v46, v45, s[0:3], 0 offen
	ds_read_b32 v47, v44
	s_waitcnt vmcnt(0) lgkmcnt(0)
	v_mul_f32_e32 v46, v46, v47
	s_cbranch_execz .LBB20_224
	s_branch .LBB20_225
.LBB20_223:
                                        ; implicit-def: $vgpr46
.LBB20_224:
	ds_read_b32 v46, v44
.LBB20_225:
	v_cmp_ne_u32_e32 vcc, 3, v0
	s_and_saveexec_b64 s[8:9], vcc
	s_cbranch_execz .LBB20_229
; %bb.226:
	v_mov_b32_e32 v48, 0
	v_add_u32_e32 v47, 0x64, v1
	v_add3_u32 v48, v1, v48, 4
	s_mov_b64 s[10:11], 0
	v_mov_b32_e32 v49, v0
.LBB20_227:                             ; =>This Inner Loop Header: Depth=1
	buffer_load_dword v50, v48, s[0:3], 0 offen
	ds_read_b32 v51, v47
	v_add_u32_e32 v49, 1, v49
	v_cmp_lt_u32_e32 vcc, 2, v49
	v_add_u32_e32 v47, 4, v47
	v_add_u32_e32 v48, 4, v48
	s_or_b64 s[10:11], vcc, s[10:11]
	s_waitcnt vmcnt(0) lgkmcnt(0)
	v_fmac_f32_e32 v46, v50, v51
	s_andn2_b64 exec, exec, s[10:11]
	s_cbranch_execnz .LBB20_227
; %bb.228:
	s_or_b64 exec, exec, s[10:11]
.LBB20_229:
	s_or_b64 exec, exec, s[8:9]
	v_mov_b32_e32 v47, 0
	ds_read_b32 v47, v47 offset:16
	s_waitcnt lgkmcnt(0)
	v_mul_f32_e32 v46, v46, v47
	buffer_store_dword v46, off, s[0:3], 0 offset:16
.LBB20_230:
	s_or_b64 exec, exec, s[6:7]
	buffer_load_dword v46, off, s[0:3], 0 offset:20
	v_cmp_gt_u32_e32 vcc, 5, v0
	s_waitcnt vmcnt(0)
	ds_write_b32 v44, v46
	s_waitcnt lgkmcnt(0)
	; wave barrier
	s_waitcnt lgkmcnt(0)
	s_and_saveexec_b64 s[6:7], vcc
	s_cbranch_execz .LBB20_240
; %bb.231:
	s_and_b64 vcc, exec, s[4:5]
	s_cbranch_vccnz .LBB20_233
; %bb.232:
	buffer_load_dword v46, v45, s[0:3], 0 offen
	ds_read_b32 v47, v44
	s_waitcnt vmcnt(0) lgkmcnt(0)
	v_mul_f32_e32 v46, v46, v47
	s_cbranch_execz .LBB20_234
	s_branch .LBB20_235
.LBB20_233:
                                        ; implicit-def: $vgpr46
.LBB20_234:
	ds_read_b32 v46, v44
.LBB20_235:
	v_cmp_ne_u32_e32 vcc, 4, v0
	s_and_saveexec_b64 s[8:9], vcc
	s_cbranch_execz .LBB20_239
; %bb.236:
	v_mov_b32_e32 v48, 0
	v_add_u32_e32 v47, 0x64, v1
	v_add3_u32 v48, v1, v48, 4
	s_mov_b64 s[10:11], 0
	v_mov_b32_e32 v49, v0
.LBB20_237:                             ; =>This Inner Loop Header: Depth=1
	buffer_load_dword v50, v48, s[0:3], 0 offen
	ds_read_b32 v51, v47
	v_add_u32_e32 v49, 1, v49
	v_cmp_lt_u32_e32 vcc, 3, v49
	v_add_u32_e32 v47, 4, v47
	v_add_u32_e32 v48, 4, v48
	s_or_b64 s[10:11], vcc, s[10:11]
	s_waitcnt vmcnt(0) lgkmcnt(0)
	v_fmac_f32_e32 v46, v50, v51
	s_andn2_b64 exec, exec, s[10:11]
	s_cbranch_execnz .LBB20_237
; %bb.238:
	s_or_b64 exec, exec, s[10:11]
.LBB20_239:
	s_or_b64 exec, exec, s[8:9]
	v_mov_b32_e32 v47, 0
	ds_read_b32 v47, v47 offset:20
	s_waitcnt lgkmcnt(0)
	v_mul_f32_e32 v46, v46, v47
	buffer_store_dword v46, off, s[0:3], 0 offset:20
.LBB20_240:
	;; [unrolled: 56-line block ×15, first 2 shown]
	s_or_b64 exec, exec, s[6:7]
	buffer_load_dword v46, off, s[0:3], 0 offset:76
	v_cmp_gt_u32_e64 s[6:7], 19, v0
	s_waitcnt vmcnt(0)
	ds_write_b32 v44, v46
	s_waitcnt lgkmcnt(0)
	; wave barrier
	s_waitcnt lgkmcnt(0)
	s_and_saveexec_b64 s[8:9], s[6:7]
	s_cbranch_execz .LBB20_380
; %bb.371:
	s_and_b64 vcc, exec, s[4:5]
	s_cbranch_vccnz .LBB20_373
; %bb.372:
	buffer_load_dword v46, v45, s[0:3], 0 offen
	ds_read_b32 v47, v44
	s_waitcnt vmcnt(0) lgkmcnt(0)
	v_mul_f32_e32 v46, v46, v47
	s_cbranch_execz .LBB20_374
	s_branch .LBB20_375
.LBB20_373:
                                        ; implicit-def: $vgpr46
.LBB20_374:
	ds_read_b32 v46, v44
.LBB20_375:
	v_cmp_ne_u32_e32 vcc, 18, v0
	s_and_saveexec_b64 s[10:11], vcc
	s_cbranch_execz .LBB20_379
; %bb.376:
	v_mov_b32_e32 v48, 0
	v_add_u32_e32 v47, 0x64, v1
	v_add3_u32 v48, v1, v48, 4
	s_mov_b64 s[12:13], 0
	v_mov_b32_e32 v49, v0
.LBB20_377:                             ; =>This Inner Loop Header: Depth=1
	buffer_load_dword v50, v48, s[0:3], 0 offen
	ds_read_b32 v51, v47
	v_add_u32_e32 v49, 1, v49
	v_cmp_lt_u32_e32 vcc, 17, v49
	v_add_u32_e32 v47, 4, v47
	v_add_u32_e32 v48, 4, v48
	s_or_b64 s[12:13], vcc, s[12:13]
	s_waitcnt vmcnt(0) lgkmcnt(0)
	v_fmac_f32_e32 v46, v50, v51
	s_andn2_b64 exec, exec, s[12:13]
	s_cbranch_execnz .LBB20_377
; %bb.378:
	s_or_b64 exec, exec, s[12:13]
.LBB20_379:
	s_or_b64 exec, exec, s[10:11]
	v_mov_b32_e32 v47, 0
	ds_read_b32 v47, v47 offset:76
	s_waitcnt lgkmcnt(0)
	v_mul_f32_e32 v46, v46, v47
	buffer_store_dword v46, off, s[0:3], 0 offset:76
.LBB20_380:
	s_or_b64 exec, exec, s[8:9]
	buffer_load_dword v46, off, s[0:3], 0 offset:80
	v_cmp_ne_u32_e32 vcc, 20, v0
	s_waitcnt vmcnt(0)
	ds_write_b32 v44, v46
	s_waitcnt lgkmcnt(0)
	; wave barrier
	s_waitcnt lgkmcnt(0)
	s_and_saveexec_b64 s[8:9], vcc
	s_cbranch_execz .LBB20_390
; %bb.381:
	s_and_b64 vcc, exec, s[4:5]
	s_cbranch_vccnz .LBB20_383
; %bb.382:
	buffer_load_dword v45, v45, s[0:3], 0 offen
	ds_read_b32 v46, v44
	s_waitcnt vmcnt(0) lgkmcnt(0)
	v_mul_f32_e32 v45, v45, v46
	s_cbranch_execz .LBB20_384
	s_branch .LBB20_385
.LBB20_383:
                                        ; implicit-def: $vgpr45
.LBB20_384:
	ds_read_b32 v45, v44
.LBB20_385:
	s_and_saveexec_b64 s[4:5], s[6:7]
	s_cbranch_execz .LBB20_389
; %bb.386:
	v_mov_b32_e32 v46, 0
	v_add_u32_e32 v44, 0x64, v1
	v_add3_u32 v1, v1, v46, 4
	s_mov_b64 s[6:7], 0
.LBB20_387:                             ; =>This Inner Loop Header: Depth=1
	buffer_load_dword v46, v1, s[0:3], 0 offen
	ds_read_b32 v47, v44
	v_add_u32_e32 v0, 1, v0
	v_cmp_lt_u32_e32 vcc, 18, v0
	v_add_u32_e32 v44, 4, v44
	v_add_u32_e32 v1, 4, v1
	s_or_b64 s[6:7], vcc, s[6:7]
	s_waitcnt vmcnt(0) lgkmcnt(0)
	v_fmac_f32_e32 v45, v46, v47
	s_andn2_b64 exec, exec, s[6:7]
	s_cbranch_execnz .LBB20_387
; %bb.388:
	s_or_b64 exec, exec, s[6:7]
.LBB20_389:
	s_or_b64 exec, exec, s[4:5]
	v_mov_b32_e32 v0, 0
	ds_read_b32 v0, v0 offset:80
	s_waitcnt lgkmcnt(0)
	v_mul_f32_e32 v0, v45, v0
	buffer_store_dword v0, off, s[0:3], 0 offset:80
.LBB20_390:
	s_or_b64 exec, exec, s[8:9]
.LBB20_391:
	buffer_load_dword v0, off, s[0:3], 0
	buffer_load_dword v1, off, s[0:3], 0 offset:4
	buffer_load_dword v44, off, s[0:3], 0 offset:8
	;; [unrolled: 1-line block ×15, first 2 shown]
	s_waitcnt vmcnt(15)
	global_store_dword v[2:3], v0, off
	buffer_load_dword v0, off, s[0:3], 0 offset:64
	s_nop 0
	buffer_load_dword v2, off, s[0:3], 0 offset:68
	buffer_load_dword v3, off, s[0:3], 0 offset:72
	;; [unrolled: 1-line block ×4, first 2 shown]
	s_waitcnt vmcnt(20)
	global_store_dword v[4:5], v1, off
	s_waitcnt vmcnt(20)
	global_store_dword v[6:7], v44, off
	;; [unrolled: 2-line block ×20, first 2 shown]
.LBB20_392:
	s_endpgm
	.section	.rodata,"a",@progbits
	.p2align	6, 0x0
	.amdhsa_kernel _ZN9rocsolver6v33100L18trti2_kernel_smallILi21EfPfEEv13rocblas_fill_17rocblas_diagonal_T1_iil
		.amdhsa_group_segment_fixed_size 180
		.amdhsa_private_segment_fixed_size 96
		.amdhsa_kernarg_size 32
		.amdhsa_user_sgpr_count 8
		.amdhsa_user_sgpr_private_segment_buffer 1
		.amdhsa_user_sgpr_dispatch_ptr 0
		.amdhsa_user_sgpr_queue_ptr 0
		.amdhsa_user_sgpr_kernarg_segment_ptr 1
		.amdhsa_user_sgpr_dispatch_id 0
		.amdhsa_user_sgpr_flat_scratch_init 1
		.amdhsa_user_sgpr_kernarg_preload_length 0
		.amdhsa_user_sgpr_kernarg_preload_offset 0
		.amdhsa_user_sgpr_private_segment_size 0
		.amdhsa_uses_dynamic_stack 0
		.amdhsa_system_sgpr_private_segment_wavefront_offset 1
		.amdhsa_system_sgpr_workgroup_id_x 1
		.amdhsa_system_sgpr_workgroup_id_y 0
		.amdhsa_system_sgpr_workgroup_id_z 0
		.amdhsa_system_sgpr_workgroup_info 0
		.amdhsa_system_vgpr_workitem_id 0
		.amdhsa_next_free_vgpr 61
		.amdhsa_next_free_sgpr 20
		.amdhsa_accum_offset 64
		.amdhsa_reserve_vcc 1
		.amdhsa_reserve_flat_scratch 0
		.amdhsa_float_round_mode_32 0
		.amdhsa_float_round_mode_16_64 0
		.amdhsa_float_denorm_mode_32 3
		.amdhsa_float_denorm_mode_16_64 3
		.amdhsa_dx10_clamp 1
		.amdhsa_ieee_mode 1
		.amdhsa_fp16_overflow 0
		.amdhsa_tg_split 0
		.amdhsa_exception_fp_ieee_invalid_op 0
		.amdhsa_exception_fp_denorm_src 0
		.amdhsa_exception_fp_ieee_div_zero 0
		.amdhsa_exception_fp_ieee_overflow 0
		.amdhsa_exception_fp_ieee_underflow 0
		.amdhsa_exception_fp_ieee_inexact 0
		.amdhsa_exception_int_div_zero 0
	.end_amdhsa_kernel
	.section	.text._ZN9rocsolver6v33100L18trti2_kernel_smallILi21EfPfEEv13rocblas_fill_17rocblas_diagonal_T1_iil,"axG",@progbits,_ZN9rocsolver6v33100L18trti2_kernel_smallILi21EfPfEEv13rocblas_fill_17rocblas_diagonal_T1_iil,comdat
.Lfunc_end20:
	.size	_ZN9rocsolver6v33100L18trti2_kernel_smallILi21EfPfEEv13rocblas_fill_17rocblas_diagonal_T1_iil, .Lfunc_end20-_ZN9rocsolver6v33100L18trti2_kernel_smallILi21EfPfEEv13rocblas_fill_17rocblas_diagonal_T1_iil
                                        ; -- End function
	.section	.AMDGPU.csdata,"",@progbits
; Kernel info:
; codeLenInByte = 10032
; NumSgprs: 24
; NumVgprs: 61
; NumAgprs: 0
; TotalNumVgprs: 61
; ScratchSize: 96
; MemoryBound: 0
; FloatMode: 240
; IeeeMode: 1
; LDSByteSize: 180 bytes/workgroup (compile time only)
; SGPRBlocks: 2
; VGPRBlocks: 7
; NumSGPRsForWavesPerEU: 24
; NumVGPRsForWavesPerEU: 61
; AccumOffset: 64
; Occupancy: 8
; WaveLimiterHint : 0
; COMPUTE_PGM_RSRC2:SCRATCH_EN: 1
; COMPUTE_PGM_RSRC2:USER_SGPR: 8
; COMPUTE_PGM_RSRC2:TRAP_HANDLER: 0
; COMPUTE_PGM_RSRC2:TGID_X_EN: 1
; COMPUTE_PGM_RSRC2:TGID_Y_EN: 0
; COMPUTE_PGM_RSRC2:TGID_Z_EN: 0
; COMPUTE_PGM_RSRC2:TIDIG_COMP_CNT: 0
; COMPUTE_PGM_RSRC3_GFX90A:ACCUM_OFFSET: 15
; COMPUTE_PGM_RSRC3_GFX90A:TG_SPLIT: 0
	.section	.text._ZN9rocsolver6v33100L18trti2_kernel_smallILi22EfPfEEv13rocblas_fill_17rocblas_diagonal_T1_iil,"axG",@progbits,_ZN9rocsolver6v33100L18trti2_kernel_smallILi22EfPfEEv13rocblas_fill_17rocblas_diagonal_T1_iil,comdat
	.globl	_ZN9rocsolver6v33100L18trti2_kernel_smallILi22EfPfEEv13rocblas_fill_17rocblas_diagonal_T1_iil ; -- Begin function _ZN9rocsolver6v33100L18trti2_kernel_smallILi22EfPfEEv13rocblas_fill_17rocblas_diagonal_T1_iil
	.p2align	8
	.type	_ZN9rocsolver6v33100L18trti2_kernel_smallILi22EfPfEEv13rocblas_fill_17rocblas_diagonal_T1_iil,@function
_ZN9rocsolver6v33100L18trti2_kernel_smallILi22EfPfEEv13rocblas_fill_17rocblas_diagonal_T1_iil: ; @_ZN9rocsolver6v33100L18trti2_kernel_smallILi22EfPfEEv13rocblas_fill_17rocblas_diagonal_T1_iil
; %bb.0:
	s_add_u32 s0, s0, s9
	s_addc_u32 s1, s1, 0
	v_cmp_gt_u32_e32 vcc, 22, v0
	s_and_saveexec_b64 s[6:7], vcc
	s_cbranch_execz .LBB21_412
; %bb.1:
	s_load_dwordx8 s[12:19], s[4:5], 0x0
	s_ashr_i32 s6, s8, 31
	v_lshlrev_b32_e32 v1, 2, v0
	s_waitcnt lgkmcnt(0)
	s_mul_i32 s7, s8, s19
	s_mul_hi_u32 s9, s8, s18
	s_add_i32 s7, s9, s7
	s_mul_i32 s6, s6, s18
	s_add_i32 s7, s7, s6
	s_mul_i32 s6, s8, s18
	s_ashr_i32 s5, s16, 31
	s_lshl_b64 s[6:7], s[6:7], 2
	s_mov_b32 s4, s16
	s_add_u32 s6, s14, s6
	s_addc_u32 s7, s15, s7
	s_lshl_b64 s[4:5], s[4:5], 2
	s_add_u32 s4, s6, s4
	s_addc_u32 s5, s7, s5
	global_load_dword v19, v1, s[4:5]
	v_mov_b32_e32 v3, s5
	v_add_co_u32_e32 v2, vcc, s4, v1
	s_ashr_i32 s7, s17, 31
	s_mov_b32 s6, s17
	v_addc_co_u32_e32 v3, vcc, 0, v3, vcc
	s_lshl_b64 s[6:7], s[6:7], 2
	v_add_co_u32_e32 v4, vcc, s6, v2
	s_add_i32 s6, s17, s17
	v_add_u32_e32 v8, s6, v0
	v_mov_b32_e32 v5, s7
	v_ashrrev_i32_e32 v9, 31, v8
	v_addc_co_u32_e32 v5, vcc, v3, v5, vcc
	v_lshlrev_b64 v[6:7], 2, v[8:9]
	v_add_u32_e32 v10, s17, v8
	v_mov_b32_e32 v9, s5
	v_add_co_u32_e32 v6, vcc, s4, v6
	v_ashrrev_i32_e32 v11, 31, v10
	v_addc_co_u32_e32 v7, vcc, v9, v7, vcc
	v_lshlrev_b64 v[8:9], 2, v[10:11]
	v_add_u32_e32 v12, s17, v10
	v_mov_b32_e32 v11, s5
	v_add_co_u32_e32 v8, vcc, s4, v8
	;; [unrolled: 6-line block ×4, first 2 shown]
	v_ashrrev_i32_e32 v17, 31, v16
	v_addc_co_u32_e32 v13, vcc, v15, v13, vcc
	v_lshlrev_b64 v[14:15], 2, v[16:17]
	v_mov_b32_e32 v17, s5
	v_add_co_u32_e32 v14, vcc, s4, v14
	global_load_dword v23, v[4:5], off
	global_load_dword v25, v[6:7], off
	;; [unrolled: 1-line block ×3, first 2 shown]
	v_addc_co_u32_e32 v15, vcc, v17, v15, vcc
	global_load_dword v29, v[10:11], off
	global_load_dword v31, v[12:13], off
	;; [unrolled: 1-line block ×3, first 2 shown]
	v_add_u32_e32 v18, s17, v16
	v_add_u32_e32 v20, s17, v18
	;; [unrolled: 1-line block ×15, first 2 shown]
	v_ashrrev_i32_e32 v17, 31, v16
	v_lshlrev_b64 v[16:17], 2, v[16:17]
	v_mov_b32_e32 v21, s5
	v_add_co_u32_e32 v16, vcc, s4, v16
	v_addc_co_u32_e32 v17, vcc, v21, v17, vcc
	v_mov_b32_e32 v35, s5
	s_waitcnt vmcnt(6)
	buffer_store_dword v19, off, s[0:3], 0
	v_ashrrev_i32_e32 v19, 31, v18
	v_lshlrev_b64 v[18:19], 2, v[18:19]
	v_add_co_u32_e32 v18, vcc, s4, v18
	v_addc_co_u32_e32 v19, vcc, v21, v19, vcc
	v_ashrrev_i32_e32 v21, 31, v20
	v_lshlrev_b64 v[20:21], 2, v[20:21]
	v_add_co_u32_e32 v20, vcc, s4, v20
	global_load_dword v46, v[16:17], off
	v_addc_co_u32_e32 v21, vcc, v35, v21, vcc
	global_load_dword v47, v[18:19], off
	global_load_dword v48, v[20:21], off
	s_waitcnt vmcnt(9)
	buffer_store_dword v23, off, s[0:3], 0 offset:4
	s_waitcnt vmcnt(8)
	buffer_store_dword v27, off, s[0:3], 0 offset:12
	buffer_store_dword v25, off, s[0:3], 0 offset:8
	s_waitcnt vmcnt(9)
	buffer_store_dword v29, off, s[0:3], 0 offset:16
	s_waitcnt vmcnt(9)
	;; [unrolled: 2-line block ×3, first 2 shown]
	buffer_store_dword v33, off, s[0:3], 0 offset:24
	v_ashrrev_i32_e32 v23, 31, v22
	v_lshlrev_b64 v[22:23], 2, v[22:23]
	v_mov_b32_e32 v25, s5
	v_add_co_u32_e32 v22, vcc, s4, v22
	v_addc_co_u32_e32 v23, vcc, v25, v23, vcc
	v_ashrrev_i32_e32 v25, 31, v24
	v_lshlrev_b64 v[24:25], 2, v[24:25]
	v_mov_b32_e32 v27, s5
	v_add_co_u32_e32 v24, vcc, s4, v24
	v_addc_co_u32_e32 v25, vcc, v27, v25, vcc
	;; [unrolled: 5-line block ×5, first 2 shown]
	v_ashrrev_i32_e32 v33, 31, v32
	v_lshlrev_b64 v[32:33], 2, v[32:33]
	v_add_co_u32_e32 v32, vcc, s4, v32
	v_addc_co_u32_e32 v33, vcc, v35, v33, vcc
	v_ashrrev_i32_e32 v35, 31, v34
	v_lshlrev_b64 v[34:35], 2, v[34:35]
	v_mov_b32_e32 v37, s5
	v_add_co_u32_e32 v34, vcc, s4, v34
	v_addc_co_u32_e32 v35, vcc, v37, v35, vcc
	v_ashrrev_i32_e32 v37, 31, v36
	v_lshlrev_b64 v[36:37], 2, v[36:37]
	v_mov_b32_e32 v39, s5
	;; [unrolled: 5-line block ×5, first 2 shown]
	v_add_co_u32_e32 v42, vcc, s4, v42
	global_load_dword v49, v[22:23], off
	global_load_dword v50, v[24:25], off
	global_load_dword v51, v[26:27], off
	global_load_dword v52, v[28:29], off
	global_load_dword v53, v[30:31], off
	global_load_dword v54, v[32:33], off
	global_load_dword v55, v[34:35], off
	global_load_dword v57, v[36:37], off
	v_addc_co_u32_e32 v43, vcc, v45, v43, vcc
	global_load_dword v58, v[38:39], off
	global_load_dword v59, v[40:41], off
	global_load_dword v60, v[42:43], off
	v_ashrrev_i32_e32 v45, 31, v44
	v_lshlrev_b64 v[44:45], 2, v[44:45]
	v_mov_b32_e32 v56, s5
	v_add_co_u32_e32 v44, vcc, s4, v44
	v_addc_co_u32_e32 v45, vcc, v56, v45, vcc
	s_waitcnt vmcnt(18)
	buffer_store_dword v47, off, s[0:3], 0 offset:28
	global_load_dword v47, v[44:45], off
	s_cmpk_lg_i32 s13, 0x84
	s_waitcnt vmcnt(19)
	buffer_store_dword v48, off, s[0:3], 0 offset:32
	v_mov_b32_e32 v56, 0
	s_waitcnt vmcnt(13)
	buffer_store_dword v49, off, s[0:3], 0 offset:36
	s_waitcnt vmcnt(12)
	buffer_store_dword v51, off, s[0:3], 0 offset:44
	buffer_store_dword v50, off, s[0:3], 0 offset:40
	s_waitcnt vmcnt(13)
	buffer_store_dword v52, off, s[0:3], 0 offset:48
	s_waitcnt vmcnt(13)
	;; [unrolled: 2-line block ×8, first 2 shown]
	buffer_store_dword v60, off, s[0:3], 0 offset:76
	buffer_store_dword v46, off, s[0:3], 0 offset:84
	s_waitcnt vmcnt(13)
	buffer_store_dword v47, off, s[0:3], 0 offset:80
	s_cselect_b64 s[8:9], -1, 0
	s_cmpk_eq_i32 s13, 0x84
	v_mov_b32_e32 v46, -1.0
	s_cbranch_scc1 .LBB21_3
; %bb.2:
	v_lshl_add_u32 v46, v0, 2, v56
	buffer_load_dword v47, v46, s[0:3], 0 offen
	s_waitcnt vmcnt(0)
	v_div_scale_f32 v48, s[4:5], v47, v47, 1.0
	v_rcp_f32_e32 v49, v48
	v_div_scale_f32 v50, vcc, 1.0, v47, 1.0
	v_fma_f32 v51, -v48, v49, 1.0
	v_fmac_f32_e32 v49, v51, v49
	v_mul_f32_e32 v51, v50, v49
	v_fma_f32 v52, -v48, v51, v50
	v_fmac_f32_e32 v51, v52, v49
	v_fma_f32 v48, -v48, v51, v50
	v_div_fmas_f32 v48, v48, v49, v51
	v_div_fixup_f32 v47, v48, v47, 1.0
	buffer_store_dword v47, v46, s[0:3], 0 offen
	v_xor_b32_e32 v46, 0x80000000, v47
.LBB21_3:
	ds_write_b32 v1, v46
	s_cmpk_eq_i32 s12, 0x79
	v_add_u32_e32 v46, 0x60, v1
	v_add_u32_e32 v47, 0, v1
	s_mov_b64 s[4:5], -1
	s_cbranch_scc1 .LBB21_207
; %bb.4:
	buffer_load_dword v48, off, s[0:3], 0 offset:80
	v_cmp_eq_u32_e64 s[4:5], 21, v0
	s_waitcnt vmcnt(0)
	ds_write_b32 v46, v48
	s_waitcnt lgkmcnt(0)
	; wave barrier
	s_waitcnt lgkmcnt(0)
	s_and_saveexec_b64 s[6:7], s[4:5]
	s_cbranch_execz .LBB21_10
; %bb.5:
	s_and_b64 vcc, exec, s[8:9]
	s_cbranch_vccz .LBB21_7
; %bb.6:
	buffer_load_dword v48, v47, s[0:3], 0 offen
	ds_read_b32 v49, v46
	s_waitcnt vmcnt(0) lgkmcnt(0)
	v_mul_f32_e32 v48, v48, v49
	s_cbranch_execz .LBB21_8
	s_branch .LBB21_9
.LBB21_7:
                                        ; implicit-def: $vgpr48
.LBB21_8:
	ds_read_b32 v48, v46
.LBB21_9:
	v_mov_b32_e32 v49, 0
	ds_read_b32 v49, v49 offset:80
	s_waitcnt lgkmcnt(0)
	v_mul_f32_e32 v48, v48, v49
	buffer_store_dword v48, off, s[0:3], 0 offset:80
.LBB21_10:
	s_or_b64 exec, exec, s[6:7]
	buffer_load_dword v57, off, s[0:3], 0 offset:76
	v_or_b32_e32 v48, 8, v56
	v_add_u32_e32 v49, 16, v56
	v_add_u32_e32 v50, 24, v56
	;; [unrolled: 1-line block ×8, first 2 shown]
	v_cmp_lt_u32_e64 s[6:7], 19, v0
	s_waitcnt vmcnt(0)
	ds_write_b32 v46, v57
	s_waitcnt lgkmcnt(0)
	; wave barrier
	s_waitcnt lgkmcnt(0)
	s_and_saveexec_b64 s[10:11], s[6:7]
	s_cbranch_execz .LBB21_16
; %bb.11:
	s_andn2_b64 vcc, exec, s[8:9]
	s_cbranch_vccnz .LBB21_13
; %bb.12:
	buffer_load_dword v57, v47, s[0:3], 0 offen
	ds_read_b32 v58, v46
	s_waitcnt vmcnt(0) lgkmcnt(0)
	v_mul_f32_e32 v57, v57, v58
	s_cbranch_execz .LBB21_14
	s_branch .LBB21_15
.LBB21_13:
                                        ; implicit-def: $vgpr57
.LBB21_14:
	ds_read_b32 v57, v46
.LBB21_15:
	buffer_load_dword v60, off, s[0:3], 0 offset:80
	v_mov_b32_e32 v58, 0
	ds_read2_b32 v[58:59], v58 offset0:19 offset1:44
	s_waitcnt vmcnt(0) lgkmcnt(0)
	v_fma_f32 v59, v60, v59, v57
	v_cndmask_b32_e64 v57, v57, v59, s[4:5]
	v_mul_f32_e32 v57, v57, v58
	buffer_store_dword v57, off, s[0:3], 0 offset:76
.LBB21_16:
	s_or_b64 exec, exec, s[10:11]
	buffer_load_dword v57, off, s[0:3], 0 offset:72
	v_cmp_lt_u32_e64 s[4:5], 18, v0
	s_waitcnt vmcnt(0)
	ds_write_b32 v46, v57
	s_waitcnt lgkmcnt(0)
	; wave barrier
	s_waitcnt lgkmcnt(0)
	s_and_saveexec_b64 s[10:11], s[4:5]
	s_cbranch_execz .LBB21_26
; %bb.17:
	s_andn2_b64 vcc, exec, s[8:9]
	s_cbranch_vccnz .LBB21_19
; %bb.18:
	buffer_load_dword v57, v47, s[0:3], 0 offen
	ds_read_b32 v58, v46
	s_waitcnt vmcnt(0) lgkmcnt(0)
	v_mul_f32_e32 v57, v57, v58
	s_cbranch_execz .LBB21_20
	s_branch .LBB21_21
.LBB21_19:
                                        ; implicit-def: $vgpr57
.LBB21_20:
	ds_read_b32 v57, v46
.LBB21_21:
	s_and_saveexec_b64 s[12:13], s[6:7]
	s_cbranch_execz .LBB21_25
; %bb.22:
	v_mov_b32_e32 v58, 0
	v_add_u32_e32 v58, 0x4c, v58
	v_subrev_u32_e32 v59, 19, v0
	s_movk_i32 s14, 0xac
	s_mov_b64 s[6:7], 0
.LBB21_23:                              ; =>This Inner Loop Header: Depth=1
	buffer_load_dword v60, v58, s[0:3], 0 offen
	v_mov_b32_e32 v61, s14
	ds_read_b32 v61, v61
	v_add_u32_e32 v59, -1, v59
	s_add_i32 s14, s14, 4
	v_cmp_eq_u32_e32 vcc, 0, v59
	v_add_u32_e32 v58, 4, v58
	s_or_b64 s[6:7], vcc, s[6:7]
	s_waitcnt vmcnt(0) lgkmcnt(0)
	v_fmac_f32_e32 v57, v60, v61
	s_andn2_b64 exec, exec, s[6:7]
	s_cbranch_execnz .LBB21_23
; %bb.24:
	s_or_b64 exec, exec, s[6:7]
.LBB21_25:
	s_or_b64 exec, exec, s[12:13]
	v_mov_b32_e32 v58, 0
	ds_read_b32 v58, v58 offset:72
	s_waitcnt lgkmcnt(0)
	v_mul_f32_e32 v57, v57, v58
	buffer_store_dword v57, off, s[0:3], 0 offset:72
.LBB21_26:
	s_or_b64 exec, exec, s[10:11]
	buffer_load_dword v57, off, s[0:3], 0 offset:68
	v_cmp_lt_u32_e64 s[6:7], 17, v0
	s_waitcnt vmcnt(0)
	ds_write_b32 v46, v57
	s_waitcnt lgkmcnt(0)
	; wave barrier
	s_waitcnt lgkmcnt(0)
	s_and_saveexec_b64 s[10:11], s[6:7]
	s_cbranch_execz .LBB21_36
; %bb.27:
	s_andn2_b64 vcc, exec, s[8:9]
	s_cbranch_vccnz .LBB21_29
; %bb.28:
	buffer_load_dword v57, v47, s[0:3], 0 offen
	ds_read_b32 v58, v46
	s_waitcnt vmcnt(0) lgkmcnt(0)
	v_mul_f32_e32 v57, v57, v58
	s_cbranch_execz .LBB21_30
	s_branch .LBB21_31
.LBB21_29:
                                        ; implicit-def: $vgpr57
.LBB21_30:
	ds_read_b32 v57, v46
.LBB21_31:
	s_and_saveexec_b64 s[12:13], s[4:5]
	s_cbranch_execz .LBB21_35
; %bb.32:
	v_subrev_u32_e32 v58, 18, v0
	s_movk_i32 s14, 0xa8
	s_mov_b64 s[4:5], 0
.LBB21_33:                              ; =>This Inner Loop Header: Depth=1
	buffer_load_dword v59, v56, s[0:3], 0 offen
	v_mov_b32_e32 v60, s14
	ds_read_b32 v60, v60
	v_add_u32_e32 v58, -1, v58
	s_add_i32 s14, s14, 4
	v_cmp_eq_u32_e32 vcc, 0, v58
	v_add_u32_e32 v56, 4, v56
	s_or_b64 s[4:5], vcc, s[4:5]
	s_waitcnt vmcnt(0) lgkmcnt(0)
	v_fmac_f32_e32 v57, v59, v60
	s_andn2_b64 exec, exec, s[4:5]
	s_cbranch_execnz .LBB21_33
; %bb.34:
	s_or_b64 exec, exec, s[4:5]
.LBB21_35:
	s_or_b64 exec, exec, s[12:13]
	v_mov_b32_e32 v56, 0
	ds_read_b32 v56, v56 offset:68
	s_waitcnt lgkmcnt(0)
	v_mul_f32_e32 v56, v57, v56
	buffer_store_dword v56, off, s[0:3], 0 offset:68
.LBB21_36:
	s_or_b64 exec, exec, s[10:11]
	buffer_load_dword v56, off, s[0:3], 0 offset:64
	v_cmp_lt_u32_e64 s[4:5], 16, v0
	s_waitcnt vmcnt(0)
	ds_write_b32 v46, v56
	s_waitcnt lgkmcnt(0)
	; wave barrier
	s_waitcnt lgkmcnt(0)
	s_and_saveexec_b64 s[10:11], s[4:5]
	s_cbranch_execz .LBB21_46
; %bb.37:
	s_andn2_b64 vcc, exec, s[8:9]
	s_cbranch_vccnz .LBB21_39
; %bb.38:
	buffer_load_dword v56, v47, s[0:3], 0 offen
	ds_read_b32 v57, v46
	s_waitcnt vmcnt(0) lgkmcnt(0)
	v_mul_f32_e32 v56, v56, v57
	s_cbranch_execz .LBB21_40
	s_branch .LBB21_41
.LBB21_39:
                                        ; implicit-def: $vgpr56
.LBB21_40:
	ds_read_b32 v56, v46
.LBB21_41:
	s_and_saveexec_b64 s[12:13], s[6:7]
	s_cbranch_execz .LBB21_45
; %bb.42:
	v_mov_b32_e32 v57, 0
	v_add_u32_e32 v57, 0x44, v57
	v_subrev_u32_e32 v58, 17, v0
	s_movk_i32 s14, 0xa4
	s_mov_b64 s[6:7], 0
.LBB21_43:                              ; =>This Inner Loop Header: Depth=1
	buffer_load_dword v59, v57, s[0:3], 0 offen
	v_mov_b32_e32 v60, s14
	ds_read_b32 v60, v60
	v_add_u32_e32 v58, -1, v58
	s_add_i32 s14, s14, 4
	v_cmp_eq_u32_e32 vcc, 0, v58
	v_add_u32_e32 v57, 4, v57
	s_or_b64 s[6:7], vcc, s[6:7]
	s_waitcnt vmcnt(0) lgkmcnt(0)
	v_fmac_f32_e32 v56, v59, v60
	s_andn2_b64 exec, exec, s[6:7]
	s_cbranch_execnz .LBB21_43
; %bb.44:
	s_or_b64 exec, exec, s[6:7]
.LBB21_45:
	s_or_b64 exec, exec, s[12:13]
	v_mov_b32_e32 v57, 0
	ds_read_b32 v57, v57 offset:64
	s_waitcnt lgkmcnt(0)
	v_mul_f32_e32 v56, v56, v57
	buffer_store_dword v56, off, s[0:3], 0 offset:64
.LBB21_46:
	s_or_b64 exec, exec, s[10:11]
	buffer_load_dword v56, off, s[0:3], 0 offset:60
	v_cmp_lt_u32_e64 s[6:7], 15, v0
	s_waitcnt vmcnt(0)
	ds_write_b32 v46, v56
	s_waitcnt lgkmcnt(0)
	; wave barrier
	s_waitcnt lgkmcnt(0)
	s_and_saveexec_b64 s[10:11], s[6:7]
	s_cbranch_execz .LBB21_56
; %bb.47:
	s_andn2_b64 vcc, exec, s[8:9]
	s_cbranch_vccnz .LBB21_49
; %bb.48:
	buffer_load_dword v56, v47, s[0:3], 0 offen
	ds_read_b32 v57, v46
	s_waitcnt vmcnt(0) lgkmcnt(0)
	v_mul_f32_e32 v56, v56, v57
	s_cbranch_execz .LBB21_50
	s_branch .LBB21_51
.LBB21_49:
                                        ; implicit-def: $vgpr56
.LBB21_50:
	ds_read_b32 v56, v46
.LBB21_51:
	s_and_saveexec_b64 s[12:13], s[4:5]
	s_cbranch_execz .LBB21_55
; %bb.52:
	v_add_u32_e32 v57, -16, v0
	s_movk_i32 s14, 0xa0
	s_mov_b64 s[4:5], 0
.LBB21_53:                              ; =>This Inner Loop Header: Depth=1
	buffer_load_dword v58, v55, s[0:3], 0 offen
	v_mov_b32_e32 v59, s14
	ds_read_b32 v59, v59
	v_add_u32_e32 v57, -1, v57
	s_add_i32 s14, s14, 4
	v_cmp_eq_u32_e32 vcc, 0, v57
	v_add_u32_e32 v55, 4, v55
	s_or_b64 s[4:5], vcc, s[4:5]
	s_waitcnt vmcnt(0) lgkmcnt(0)
	v_fmac_f32_e32 v56, v58, v59
	s_andn2_b64 exec, exec, s[4:5]
	s_cbranch_execnz .LBB21_53
; %bb.54:
	s_or_b64 exec, exec, s[4:5]
.LBB21_55:
	s_or_b64 exec, exec, s[12:13]
	v_mov_b32_e32 v55, 0
	ds_read_b32 v55, v55 offset:60
	s_waitcnt lgkmcnt(0)
	v_mul_f32_e32 v55, v56, v55
	buffer_store_dword v55, off, s[0:3], 0 offset:60
.LBB21_56:
	s_or_b64 exec, exec, s[10:11]
	buffer_load_dword v55, off, s[0:3], 0 offset:56
	v_cmp_lt_u32_e64 s[4:5], 14, v0
	s_waitcnt vmcnt(0)
	ds_write_b32 v46, v55
	s_waitcnt lgkmcnt(0)
	; wave barrier
	s_waitcnt lgkmcnt(0)
	s_and_saveexec_b64 s[10:11], s[4:5]
	s_cbranch_execz .LBB21_66
; %bb.57:
	s_andn2_b64 vcc, exec, s[8:9]
	s_cbranch_vccnz .LBB21_59
; %bb.58:
	buffer_load_dword v55, v47, s[0:3], 0 offen
	ds_read_b32 v56, v46
	s_waitcnt vmcnt(0) lgkmcnt(0)
	v_mul_f32_e32 v55, v55, v56
	s_cbranch_execz .LBB21_60
	s_branch .LBB21_61
.LBB21_59:
                                        ; implicit-def: $vgpr55
.LBB21_60:
	ds_read_b32 v55, v46
.LBB21_61:
	s_and_saveexec_b64 s[12:13], s[6:7]
	s_cbranch_execz .LBB21_65
; %bb.62:
	v_mov_b32_e32 v56, 0
	v_add_u32_e32 v56, 60, v56
	v_add_u32_e32 v57, -15, v0
	s_movk_i32 s14, 0x9c
	s_mov_b64 s[6:7], 0
.LBB21_63:                              ; =>This Inner Loop Header: Depth=1
	buffer_load_dword v58, v56, s[0:3], 0 offen
	v_mov_b32_e32 v59, s14
	ds_read_b32 v59, v59
	v_add_u32_e32 v57, -1, v57
	s_add_i32 s14, s14, 4
	v_cmp_eq_u32_e32 vcc, 0, v57
	v_add_u32_e32 v56, 4, v56
	s_or_b64 s[6:7], vcc, s[6:7]
	s_waitcnt vmcnt(0) lgkmcnt(0)
	v_fmac_f32_e32 v55, v58, v59
	s_andn2_b64 exec, exec, s[6:7]
	s_cbranch_execnz .LBB21_63
; %bb.64:
	s_or_b64 exec, exec, s[6:7]
.LBB21_65:
	s_or_b64 exec, exec, s[12:13]
	v_mov_b32_e32 v56, 0
	ds_read_b32 v56, v56 offset:56
	s_waitcnt lgkmcnt(0)
	v_mul_f32_e32 v55, v55, v56
	buffer_store_dword v55, off, s[0:3], 0 offset:56
.LBB21_66:
	s_or_b64 exec, exec, s[10:11]
	buffer_load_dword v55, off, s[0:3], 0 offset:52
	v_cmp_lt_u32_e64 s[6:7], 13, v0
	s_waitcnt vmcnt(0)
	ds_write_b32 v46, v55
	s_waitcnt lgkmcnt(0)
	; wave barrier
	s_waitcnt lgkmcnt(0)
	s_and_saveexec_b64 s[10:11], s[6:7]
	s_cbranch_execz .LBB21_76
; %bb.67:
	s_andn2_b64 vcc, exec, s[8:9]
	s_cbranch_vccnz .LBB21_69
; %bb.68:
	buffer_load_dword v55, v47, s[0:3], 0 offen
	ds_read_b32 v56, v46
	s_waitcnt vmcnt(0) lgkmcnt(0)
	v_mul_f32_e32 v55, v55, v56
	s_cbranch_execz .LBB21_70
	s_branch .LBB21_71
.LBB21_69:
                                        ; implicit-def: $vgpr55
.LBB21_70:
	ds_read_b32 v55, v46
.LBB21_71:
	s_and_saveexec_b64 s[12:13], s[4:5]
	s_cbranch_execz .LBB21_75
; %bb.72:
	v_add_u32_e32 v56, -14, v0
	s_movk_i32 s14, 0x98
	s_mov_b64 s[4:5], 0
.LBB21_73:                              ; =>This Inner Loop Header: Depth=1
	buffer_load_dword v57, v54, s[0:3], 0 offen
	v_mov_b32_e32 v58, s14
	ds_read_b32 v58, v58
	v_add_u32_e32 v56, -1, v56
	s_add_i32 s14, s14, 4
	v_cmp_eq_u32_e32 vcc, 0, v56
	v_add_u32_e32 v54, 4, v54
	s_or_b64 s[4:5], vcc, s[4:5]
	s_waitcnt vmcnt(0) lgkmcnt(0)
	v_fmac_f32_e32 v55, v57, v58
	s_andn2_b64 exec, exec, s[4:5]
	s_cbranch_execnz .LBB21_73
; %bb.74:
	s_or_b64 exec, exec, s[4:5]
.LBB21_75:
	s_or_b64 exec, exec, s[12:13]
	v_mov_b32_e32 v54, 0
	ds_read_b32 v54, v54 offset:52
	s_waitcnt lgkmcnt(0)
	v_mul_f32_e32 v54, v55, v54
	buffer_store_dword v54, off, s[0:3], 0 offset:52
.LBB21_76:
	s_or_b64 exec, exec, s[10:11]
	buffer_load_dword v54, off, s[0:3], 0 offset:48
	v_cmp_lt_u32_e64 s[4:5], 12, v0
	s_waitcnt vmcnt(0)
	ds_write_b32 v46, v54
	s_waitcnt lgkmcnt(0)
	; wave barrier
	s_waitcnt lgkmcnt(0)
	s_and_saveexec_b64 s[10:11], s[4:5]
	s_cbranch_execz .LBB21_86
; %bb.77:
	s_andn2_b64 vcc, exec, s[8:9]
	s_cbranch_vccnz .LBB21_79
; %bb.78:
	buffer_load_dword v54, v47, s[0:3], 0 offen
	ds_read_b32 v55, v46
	s_waitcnt vmcnt(0) lgkmcnt(0)
	v_mul_f32_e32 v54, v54, v55
	s_cbranch_execz .LBB21_80
	s_branch .LBB21_81
.LBB21_79:
                                        ; implicit-def: $vgpr54
.LBB21_80:
	ds_read_b32 v54, v46
.LBB21_81:
	s_and_saveexec_b64 s[12:13], s[6:7]
	s_cbranch_execz .LBB21_85
; %bb.82:
	v_mov_b32_e32 v55, 0
	v_add_u32_e32 v55, 52, v55
	v_add_u32_e32 v56, -13, v0
	s_movk_i32 s14, 0x94
	s_mov_b64 s[6:7], 0
.LBB21_83:                              ; =>This Inner Loop Header: Depth=1
	buffer_load_dword v57, v55, s[0:3], 0 offen
	v_mov_b32_e32 v58, s14
	ds_read_b32 v58, v58
	v_add_u32_e32 v56, -1, v56
	s_add_i32 s14, s14, 4
	v_cmp_eq_u32_e32 vcc, 0, v56
	v_add_u32_e32 v55, 4, v55
	s_or_b64 s[6:7], vcc, s[6:7]
	s_waitcnt vmcnt(0) lgkmcnt(0)
	v_fmac_f32_e32 v54, v57, v58
	s_andn2_b64 exec, exec, s[6:7]
	s_cbranch_execnz .LBB21_83
; %bb.84:
	s_or_b64 exec, exec, s[6:7]
.LBB21_85:
	s_or_b64 exec, exec, s[12:13]
	v_mov_b32_e32 v55, 0
	ds_read_b32 v55, v55 offset:48
	s_waitcnt lgkmcnt(0)
	v_mul_f32_e32 v54, v54, v55
	buffer_store_dword v54, off, s[0:3], 0 offset:48
.LBB21_86:
	s_or_b64 exec, exec, s[10:11]
	buffer_load_dword v54, off, s[0:3], 0 offset:44
	v_cmp_lt_u32_e64 s[6:7], 11, v0
	s_waitcnt vmcnt(0)
	ds_write_b32 v46, v54
	s_waitcnt lgkmcnt(0)
	; wave barrier
	s_waitcnt lgkmcnt(0)
	s_and_saveexec_b64 s[10:11], s[6:7]
	s_cbranch_execz .LBB21_96
; %bb.87:
	s_andn2_b64 vcc, exec, s[8:9]
	s_cbranch_vccnz .LBB21_89
; %bb.88:
	buffer_load_dword v54, v47, s[0:3], 0 offen
	ds_read_b32 v55, v46
	s_waitcnt vmcnt(0) lgkmcnt(0)
	v_mul_f32_e32 v54, v54, v55
	s_cbranch_execz .LBB21_90
	s_branch .LBB21_91
.LBB21_89:
                                        ; implicit-def: $vgpr54
.LBB21_90:
	ds_read_b32 v54, v46
.LBB21_91:
	s_and_saveexec_b64 s[12:13], s[4:5]
	s_cbranch_execz .LBB21_95
; %bb.92:
	v_add_u32_e32 v55, -12, v0
	s_movk_i32 s14, 0x90
	s_mov_b64 s[4:5], 0
.LBB21_93:                              ; =>This Inner Loop Header: Depth=1
	buffer_load_dword v56, v53, s[0:3], 0 offen
	v_mov_b32_e32 v57, s14
	ds_read_b32 v57, v57
	v_add_u32_e32 v55, -1, v55
	s_add_i32 s14, s14, 4
	v_cmp_eq_u32_e32 vcc, 0, v55
	v_add_u32_e32 v53, 4, v53
	s_or_b64 s[4:5], vcc, s[4:5]
	s_waitcnt vmcnt(0) lgkmcnt(0)
	v_fmac_f32_e32 v54, v56, v57
	s_andn2_b64 exec, exec, s[4:5]
	s_cbranch_execnz .LBB21_93
; %bb.94:
	s_or_b64 exec, exec, s[4:5]
.LBB21_95:
	s_or_b64 exec, exec, s[12:13]
	v_mov_b32_e32 v53, 0
	ds_read_b32 v53, v53 offset:44
	s_waitcnt lgkmcnt(0)
	v_mul_f32_e32 v53, v54, v53
	buffer_store_dword v53, off, s[0:3], 0 offset:44
.LBB21_96:
	s_or_b64 exec, exec, s[10:11]
	buffer_load_dword v53, off, s[0:3], 0 offset:40
	v_cmp_lt_u32_e64 s[4:5], 10, v0
	s_waitcnt vmcnt(0)
	ds_write_b32 v46, v53
	s_waitcnt lgkmcnt(0)
	; wave barrier
	s_waitcnt lgkmcnt(0)
	s_and_saveexec_b64 s[10:11], s[4:5]
	s_cbranch_execz .LBB21_106
; %bb.97:
	s_andn2_b64 vcc, exec, s[8:9]
	s_cbranch_vccnz .LBB21_99
; %bb.98:
	buffer_load_dword v53, v47, s[0:3], 0 offen
	ds_read_b32 v54, v46
	s_waitcnt vmcnt(0) lgkmcnt(0)
	v_mul_f32_e32 v53, v53, v54
	s_cbranch_execz .LBB21_100
	s_branch .LBB21_101
.LBB21_99:
                                        ; implicit-def: $vgpr53
.LBB21_100:
	ds_read_b32 v53, v46
.LBB21_101:
	s_and_saveexec_b64 s[12:13], s[6:7]
	s_cbranch_execz .LBB21_105
; %bb.102:
	v_mov_b32_e32 v54, 0
	v_add_u32_e32 v54, 44, v54
	v_add_u32_e32 v55, -11, v0
	s_movk_i32 s14, 0x8c
	s_mov_b64 s[6:7], 0
.LBB21_103:                             ; =>This Inner Loop Header: Depth=1
	buffer_load_dword v56, v54, s[0:3], 0 offen
	v_mov_b32_e32 v57, s14
	ds_read_b32 v57, v57
	v_add_u32_e32 v55, -1, v55
	s_add_i32 s14, s14, 4
	v_cmp_eq_u32_e32 vcc, 0, v55
	v_add_u32_e32 v54, 4, v54
	s_or_b64 s[6:7], vcc, s[6:7]
	s_waitcnt vmcnt(0) lgkmcnt(0)
	v_fmac_f32_e32 v53, v56, v57
	s_andn2_b64 exec, exec, s[6:7]
	s_cbranch_execnz .LBB21_103
; %bb.104:
	s_or_b64 exec, exec, s[6:7]
.LBB21_105:
	s_or_b64 exec, exec, s[12:13]
	v_mov_b32_e32 v54, 0
	ds_read_b32 v54, v54 offset:40
	s_waitcnt lgkmcnt(0)
	v_mul_f32_e32 v53, v53, v54
	buffer_store_dword v53, off, s[0:3], 0 offset:40
.LBB21_106:
	s_or_b64 exec, exec, s[10:11]
	buffer_load_dword v53, off, s[0:3], 0 offset:36
	v_cmp_lt_u32_e64 s[6:7], 9, v0
	s_waitcnt vmcnt(0)
	ds_write_b32 v46, v53
	s_waitcnt lgkmcnt(0)
	; wave barrier
	s_waitcnt lgkmcnt(0)
	s_and_saveexec_b64 s[10:11], s[6:7]
	s_cbranch_execz .LBB21_116
; %bb.107:
	s_andn2_b64 vcc, exec, s[8:9]
	s_cbranch_vccnz .LBB21_109
; %bb.108:
	buffer_load_dword v53, v47, s[0:3], 0 offen
	ds_read_b32 v54, v46
	s_waitcnt vmcnt(0) lgkmcnt(0)
	v_mul_f32_e32 v53, v53, v54
	s_cbranch_execz .LBB21_110
	s_branch .LBB21_111
.LBB21_109:
                                        ; implicit-def: $vgpr53
.LBB21_110:
	ds_read_b32 v53, v46
.LBB21_111:
	s_and_saveexec_b64 s[12:13], s[4:5]
	s_cbranch_execz .LBB21_115
; %bb.112:
	v_add_u32_e32 v54, -10, v0
	s_movk_i32 s14, 0x88
	s_mov_b64 s[4:5], 0
.LBB21_113:                             ; =>This Inner Loop Header: Depth=1
	buffer_load_dword v55, v52, s[0:3], 0 offen
	v_mov_b32_e32 v56, s14
	ds_read_b32 v56, v56
	v_add_u32_e32 v54, -1, v54
	s_add_i32 s14, s14, 4
	v_cmp_eq_u32_e32 vcc, 0, v54
	v_add_u32_e32 v52, 4, v52
	s_or_b64 s[4:5], vcc, s[4:5]
	s_waitcnt vmcnt(0) lgkmcnt(0)
	v_fmac_f32_e32 v53, v55, v56
	s_andn2_b64 exec, exec, s[4:5]
	s_cbranch_execnz .LBB21_113
; %bb.114:
	s_or_b64 exec, exec, s[4:5]
.LBB21_115:
	s_or_b64 exec, exec, s[12:13]
	v_mov_b32_e32 v52, 0
	ds_read_b32 v52, v52 offset:36
	s_waitcnt lgkmcnt(0)
	v_mul_f32_e32 v52, v53, v52
	buffer_store_dword v52, off, s[0:3], 0 offset:36
.LBB21_116:
	s_or_b64 exec, exec, s[10:11]
	buffer_load_dword v52, off, s[0:3], 0 offset:32
	v_cmp_lt_u32_e64 s[4:5], 8, v0
	s_waitcnt vmcnt(0)
	ds_write_b32 v46, v52
	s_waitcnt lgkmcnt(0)
	; wave barrier
	s_waitcnt lgkmcnt(0)
	s_and_saveexec_b64 s[10:11], s[4:5]
	s_cbranch_execz .LBB21_126
; %bb.117:
	s_andn2_b64 vcc, exec, s[8:9]
	s_cbranch_vccnz .LBB21_119
; %bb.118:
	buffer_load_dword v52, v47, s[0:3], 0 offen
	ds_read_b32 v53, v46
	s_waitcnt vmcnt(0) lgkmcnt(0)
	v_mul_f32_e32 v52, v52, v53
	s_cbranch_execz .LBB21_120
	s_branch .LBB21_121
.LBB21_119:
                                        ; implicit-def: $vgpr52
.LBB21_120:
	ds_read_b32 v52, v46
.LBB21_121:
	s_and_saveexec_b64 s[12:13], s[6:7]
	s_cbranch_execz .LBB21_125
; %bb.122:
	v_mov_b32_e32 v53, 0
	v_add_u32_e32 v53, 36, v53
	v_add_u32_e32 v54, -9, v0
	s_movk_i32 s14, 0x84
	s_mov_b64 s[6:7], 0
.LBB21_123:                             ; =>This Inner Loop Header: Depth=1
	buffer_load_dword v55, v53, s[0:3], 0 offen
	v_mov_b32_e32 v56, s14
	ds_read_b32 v56, v56
	v_add_u32_e32 v54, -1, v54
	s_add_i32 s14, s14, 4
	v_cmp_eq_u32_e32 vcc, 0, v54
	v_add_u32_e32 v53, 4, v53
	s_or_b64 s[6:7], vcc, s[6:7]
	s_waitcnt vmcnt(0) lgkmcnt(0)
	v_fmac_f32_e32 v52, v55, v56
	s_andn2_b64 exec, exec, s[6:7]
	s_cbranch_execnz .LBB21_123
; %bb.124:
	s_or_b64 exec, exec, s[6:7]
.LBB21_125:
	s_or_b64 exec, exec, s[12:13]
	v_mov_b32_e32 v53, 0
	ds_read_b32 v53, v53 offset:32
	s_waitcnt lgkmcnt(0)
	v_mul_f32_e32 v52, v52, v53
	buffer_store_dword v52, off, s[0:3], 0 offset:32
.LBB21_126:
	s_or_b64 exec, exec, s[10:11]
	buffer_load_dword v52, off, s[0:3], 0 offset:28
	v_cmp_lt_u32_e64 s[6:7], 7, v0
	s_waitcnt vmcnt(0)
	ds_write_b32 v46, v52
	s_waitcnt lgkmcnt(0)
	; wave barrier
	s_waitcnt lgkmcnt(0)
	s_and_saveexec_b64 s[10:11], s[6:7]
	s_cbranch_execz .LBB21_136
; %bb.127:
	s_andn2_b64 vcc, exec, s[8:9]
	s_cbranch_vccnz .LBB21_129
; %bb.128:
	buffer_load_dword v52, v47, s[0:3], 0 offen
	ds_read_b32 v53, v46
	s_waitcnt vmcnt(0) lgkmcnt(0)
	v_mul_f32_e32 v52, v52, v53
	s_cbranch_execz .LBB21_130
	s_branch .LBB21_131
.LBB21_129:
                                        ; implicit-def: $vgpr52
.LBB21_130:
	ds_read_b32 v52, v46
.LBB21_131:
	s_and_saveexec_b64 s[12:13], s[4:5]
	s_cbranch_execz .LBB21_135
; %bb.132:
	v_add_u32_e32 v53, -8, v0
	s_movk_i32 s14, 0x80
	s_mov_b64 s[4:5], 0
.LBB21_133:                             ; =>This Inner Loop Header: Depth=1
	buffer_load_dword v54, v51, s[0:3], 0 offen
	v_mov_b32_e32 v55, s14
	ds_read_b32 v55, v55
	v_add_u32_e32 v53, -1, v53
	s_add_i32 s14, s14, 4
	v_cmp_eq_u32_e32 vcc, 0, v53
	v_add_u32_e32 v51, 4, v51
	s_or_b64 s[4:5], vcc, s[4:5]
	s_waitcnt vmcnt(0) lgkmcnt(0)
	v_fmac_f32_e32 v52, v54, v55
	s_andn2_b64 exec, exec, s[4:5]
	s_cbranch_execnz .LBB21_133
; %bb.134:
	s_or_b64 exec, exec, s[4:5]
.LBB21_135:
	s_or_b64 exec, exec, s[12:13]
	v_mov_b32_e32 v51, 0
	ds_read_b32 v51, v51 offset:28
	s_waitcnt lgkmcnt(0)
	v_mul_f32_e32 v51, v52, v51
	buffer_store_dword v51, off, s[0:3], 0 offset:28
.LBB21_136:
	s_or_b64 exec, exec, s[10:11]
	buffer_load_dword v51, off, s[0:3], 0 offset:24
	v_cmp_lt_u32_e64 s[4:5], 6, v0
	s_waitcnt vmcnt(0)
	ds_write_b32 v46, v51
	s_waitcnt lgkmcnt(0)
	; wave barrier
	s_waitcnt lgkmcnt(0)
	s_and_saveexec_b64 s[10:11], s[4:5]
	s_cbranch_execz .LBB21_146
; %bb.137:
	s_andn2_b64 vcc, exec, s[8:9]
	s_cbranch_vccnz .LBB21_139
; %bb.138:
	buffer_load_dword v51, v47, s[0:3], 0 offen
	ds_read_b32 v52, v46
	s_waitcnt vmcnt(0) lgkmcnt(0)
	v_mul_f32_e32 v51, v51, v52
	s_cbranch_execz .LBB21_140
	s_branch .LBB21_141
.LBB21_139:
                                        ; implicit-def: $vgpr51
.LBB21_140:
	ds_read_b32 v51, v46
.LBB21_141:
	s_and_saveexec_b64 s[12:13], s[6:7]
	s_cbranch_execz .LBB21_145
; %bb.142:
	v_mov_b32_e32 v52, 0
	v_add_u32_e32 v52, 28, v52
	v_add_u32_e32 v53, -7, v0
	s_movk_i32 s14, 0x7c
	s_mov_b64 s[6:7], 0
.LBB21_143:                             ; =>This Inner Loop Header: Depth=1
	buffer_load_dword v54, v52, s[0:3], 0 offen
	v_mov_b32_e32 v55, s14
	ds_read_b32 v55, v55
	v_add_u32_e32 v53, -1, v53
	s_add_i32 s14, s14, 4
	v_cmp_eq_u32_e32 vcc, 0, v53
	v_add_u32_e32 v52, 4, v52
	s_or_b64 s[6:7], vcc, s[6:7]
	s_waitcnt vmcnt(0) lgkmcnt(0)
	v_fmac_f32_e32 v51, v54, v55
	s_andn2_b64 exec, exec, s[6:7]
	s_cbranch_execnz .LBB21_143
; %bb.144:
	s_or_b64 exec, exec, s[6:7]
.LBB21_145:
	s_or_b64 exec, exec, s[12:13]
	v_mov_b32_e32 v52, 0
	ds_read_b32 v52, v52 offset:24
	s_waitcnt lgkmcnt(0)
	v_mul_f32_e32 v51, v51, v52
	buffer_store_dword v51, off, s[0:3], 0 offset:24
.LBB21_146:
	s_or_b64 exec, exec, s[10:11]
	buffer_load_dword v51, off, s[0:3], 0 offset:20
	v_cmp_lt_u32_e64 s[6:7], 5, v0
	s_waitcnt vmcnt(0)
	ds_write_b32 v46, v51
	s_waitcnt lgkmcnt(0)
	; wave barrier
	s_waitcnt lgkmcnt(0)
	s_and_saveexec_b64 s[10:11], s[6:7]
	s_cbranch_execz .LBB21_156
; %bb.147:
	s_andn2_b64 vcc, exec, s[8:9]
	s_cbranch_vccnz .LBB21_149
; %bb.148:
	buffer_load_dword v51, v47, s[0:3], 0 offen
	ds_read_b32 v52, v46
	s_waitcnt vmcnt(0) lgkmcnt(0)
	v_mul_f32_e32 v51, v51, v52
	s_cbranch_execz .LBB21_150
	s_branch .LBB21_151
.LBB21_149:
                                        ; implicit-def: $vgpr51
.LBB21_150:
	ds_read_b32 v51, v46
.LBB21_151:
	s_and_saveexec_b64 s[12:13], s[4:5]
	s_cbranch_execz .LBB21_155
; %bb.152:
	v_add_u32_e32 v52, -6, v0
	s_movk_i32 s14, 0x78
	s_mov_b64 s[4:5], 0
.LBB21_153:                             ; =>This Inner Loop Header: Depth=1
	buffer_load_dword v53, v50, s[0:3], 0 offen
	v_mov_b32_e32 v54, s14
	ds_read_b32 v54, v54
	v_add_u32_e32 v52, -1, v52
	s_add_i32 s14, s14, 4
	v_cmp_eq_u32_e32 vcc, 0, v52
	v_add_u32_e32 v50, 4, v50
	s_or_b64 s[4:5], vcc, s[4:5]
	s_waitcnt vmcnt(0) lgkmcnt(0)
	v_fmac_f32_e32 v51, v53, v54
	s_andn2_b64 exec, exec, s[4:5]
	s_cbranch_execnz .LBB21_153
; %bb.154:
	s_or_b64 exec, exec, s[4:5]
.LBB21_155:
	s_or_b64 exec, exec, s[12:13]
	v_mov_b32_e32 v50, 0
	ds_read_b32 v50, v50 offset:20
	s_waitcnt lgkmcnt(0)
	v_mul_f32_e32 v50, v51, v50
	buffer_store_dword v50, off, s[0:3], 0 offset:20
.LBB21_156:
	s_or_b64 exec, exec, s[10:11]
	buffer_load_dword v50, off, s[0:3], 0 offset:16
	v_cmp_lt_u32_e64 s[4:5], 4, v0
	s_waitcnt vmcnt(0)
	ds_write_b32 v46, v50
	s_waitcnt lgkmcnt(0)
	; wave barrier
	s_waitcnt lgkmcnt(0)
	s_and_saveexec_b64 s[10:11], s[4:5]
	s_cbranch_execz .LBB21_166
; %bb.157:
	s_andn2_b64 vcc, exec, s[8:9]
	s_cbranch_vccnz .LBB21_159
; %bb.158:
	buffer_load_dword v50, v47, s[0:3], 0 offen
	ds_read_b32 v51, v46
	s_waitcnt vmcnt(0) lgkmcnt(0)
	v_mul_f32_e32 v50, v50, v51
	s_cbranch_execz .LBB21_160
	s_branch .LBB21_161
.LBB21_159:
                                        ; implicit-def: $vgpr50
.LBB21_160:
	ds_read_b32 v50, v46
.LBB21_161:
	s_and_saveexec_b64 s[12:13], s[6:7]
	s_cbranch_execz .LBB21_165
; %bb.162:
	v_mov_b32_e32 v51, 0
	v_add_u32_e32 v51, 20, v51
	v_add_u32_e32 v52, -5, v0
	s_movk_i32 s14, 0x74
	s_mov_b64 s[6:7], 0
.LBB21_163:                             ; =>This Inner Loop Header: Depth=1
	buffer_load_dword v53, v51, s[0:3], 0 offen
	v_mov_b32_e32 v54, s14
	ds_read_b32 v54, v54
	v_add_u32_e32 v52, -1, v52
	s_add_i32 s14, s14, 4
	v_cmp_eq_u32_e32 vcc, 0, v52
	v_add_u32_e32 v51, 4, v51
	s_or_b64 s[6:7], vcc, s[6:7]
	s_waitcnt vmcnt(0) lgkmcnt(0)
	v_fmac_f32_e32 v50, v53, v54
	s_andn2_b64 exec, exec, s[6:7]
	s_cbranch_execnz .LBB21_163
; %bb.164:
	s_or_b64 exec, exec, s[6:7]
.LBB21_165:
	s_or_b64 exec, exec, s[12:13]
	v_mov_b32_e32 v51, 0
	ds_read_b32 v51, v51 offset:16
	s_waitcnt lgkmcnt(0)
	v_mul_f32_e32 v50, v50, v51
	buffer_store_dword v50, off, s[0:3], 0 offset:16
.LBB21_166:
	s_or_b64 exec, exec, s[10:11]
	buffer_load_dword v50, off, s[0:3], 0 offset:12
	v_cmp_lt_u32_e64 s[6:7], 3, v0
	s_waitcnt vmcnt(0)
	ds_write_b32 v46, v50
	s_waitcnt lgkmcnt(0)
	; wave barrier
	s_waitcnt lgkmcnt(0)
	s_and_saveexec_b64 s[10:11], s[6:7]
	s_cbranch_execz .LBB21_176
; %bb.167:
	s_andn2_b64 vcc, exec, s[8:9]
	s_cbranch_vccnz .LBB21_169
; %bb.168:
	buffer_load_dword v50, v47, s[0:3], 0 offen
	ds_read_b32 v51, v46
	s_waitcnt vmcnt(0) lgkmcnt(0)
	v_mul_f32_e32 v50, v50, v51
	s_cbranch_execz .LBB21_170
	s_branch .LBB21_171
.LBB21_169:
                                        ; implicit-def: $vgpr50
.LBB21_170:
	ds_read_b32 v50, v46
.LBB21_171:
	s_and_saveexec_b64 s[12:13], s[4:5]
	s_cbranch_execz .LBB21_175
; %bb.172:
	v_add_u32_e32 v51, -4, v0
	s_movk_i32 s14, 0x70
	s_mov_b64 s[4:5], 0
.LBB21_173:                             ; =>This Inner Loop Header: Depth=1
	buffer_load_dword v52, v49, s[0:3], 0 offen
	v_mov_b32_e32 v53, s14
	ds_read_b32 v53, v53
	v_add_u32_e32 v51, -1, v51
	s_add_i32 s14, s14, 4
	v_cmp_eq_u32_e32 vcc, 0, v51
	v_add_u32_e32 v49, 4, v49
	s_or_b64 s[4:5], vcc, s[4:5]
	s_waitcnt vmcnt(0) lgkmcnt(0)
	v_fmac_f32_e32 v50, v52, v53
	s_andn2_b64 exec, exec, s[4:5]
	s_cbranch_execnz .LBB21_173
; %bb.174:
	s_or_b64 exec, exec, s[4:5]
.LBB21_175:
	s_or_b64 exec, exec, s[12:13]
	v_mov_b32_e32 v49, 0
	ds_read_b32 v49, v49 offset:12
	s_waitcnt lgkmcnt(0)
	v_mul_f32_e32 v49, v50, v49
	buffer_store_dword v49, off, s[0:3], 0 offset:12
.LBB21_176:
	s_or_b64 exec, exec, s[10:11]
	buffer_load_dword v49, off, s[0:3], 0 offset:8
	v_cmp_lt_u32_e64 s[4:5], 2, v0
	s_waitcnt vmcnt(0)
	ds_write_b32 v46, v49
	s_waitcnt lgkmcnt(0)
	; wave barrier
	s_waitcnt lgkmcnt(0)
	s_and_saveexec_b64 s[10:11], s[4:5]
	s_cbranch_execz .LBB21_186
; %bb.177:
	s_andn2_b64 vcc, exec, s[8:9]
	s_cbranch_vccnz .LBB21_179
; %bb.178:
	buffer_load_dword v49, v47, s[0:3], 0 offen
	ds_read_b32 v50, v46
	s_waitcnt vmcnt(0) lgkmcnt(0)
	v_mul_f32_e32 v49, v49, v50
	s_cbranch_execz .LBB21_180
	s_branch .LBB21_181
.LBB21_179:
                                        ; implicit-def: $vgpr49
.LBB21_180:
	ds_read_b32 v49, v46
.LBB21_181:
	s_and_saveexec_b64 s[12:13], s[6:7]
	s_cbranch_execz .LBB21_185
; %bb.182:
	v_mov_b32_e32 v50, 0
	v_or_b32_e32 v50, 12, v50
	v_add_u32_e32 v51, -3, v0
	s_movk_i32 s14, 0x6c
	s_mov_b64 s[6:7], 0
.LBB21_183:                             ; =>This Inner Loop Header: Depth=1
	buffer_load_dword v52, v50, s[0:3], 0 offen
	v_mov_b32_e32 v53, s14
	ds_read_b32 v53, v53
	v_add_u32_e32 v51, -1, v51
	s_add_i32 s14, s14, 4
	v_cmp_eq_u32_e32 vcc, 0, v51
	v_add_u32_e32 v50, 4, v50
	s_or_b64 s[6:7], vcc, s[6:7]
	s_waitcnt vmcnt(0) lgkmcnt(0)
	v_fmac_f32_e32 v49, v52, v53
	s_andn2_b64 exec, exec, s[6:7]
	s_cbranch_execnz .LBB21_183
; %bb.184:
	s_or_b64 exec, exec, s[6:7]
.LBB21_185:
	s_or_b64 exec, exec, s[12:13]
	v_mov_b32_e32 v50, 0
	ds_read_b32 v50, v50 offset:8
	s_waitcnt lgkmcnt(0)
	v_mul_f32_e32 v49, v49, v50
	buffer_store_dword v49, off, s[0:3], 0 offset:8
.LBB21_186:
	s_or_b64 exec, exec, s[10:11]
	buffer_load_dword v49, off, s[0:3], 0 offset:4
	v_cmp_lt_u32_e64 s[6:7], 1, v0
	s_waitcnt vmcnt(0)
	ds_write_b32 v46, v49
	s_waitcnt lgkmcnt(0)
	; wave barrier
	s_waitcnt lgkmcnt(0)
	s_and_saveexec_b64 s[10:11], s[6:7]
	s_cbranch_execz .LBB21_196
; %bb.187:
	s_andn2_b64 vcc, exec, s[8:9]
	s_cbranch_vccnz .LBB21_189
; %bb.188:
	buffer_load_dword v49, v47, s[0:3], 0 offen
	ds_read_b32 v50, v46
	s_waitcnt vmcnt(0) lgkmcnt(0)
	v_mul_f32_e32 v49, v49, v50
	s_cbranch_execz .LBB21_190
	s_branch .LBB21_191
.LBB21_189:
                                        ; implicit-def: $vgpr49
.LBB21_190:
	ds_read_b32 v49, v46
.LBB21_191:
	s_and_saveexec_b64 s[12:13], s[4:5]
	s_cbranch_execz .LBB21_195
; %bb.192:
	v_add_u32_e32 v50, -2, v0
	s_movk_i32 s14, 0x68
	s_mov_b64 s[4:5], 0
.LBB21_193:                             ; =>This Inner Loop Header: Depth=1
	buffer_load_dword v51, v48, s[0:3], 0 offen
	v_mov_b32_e32 v52, s14
	ds_read_b32 v52, v52
	v_add_u32_e32 v50, -1, v50
	s_add_i32 s14, s14, 4
	v_cmp_eq_u32_e32 vcc, 0, v50
	v_add_u32_e32 v48, 4, v48
	s_or_b64 s[4:5], vcc, s[4:5]
	s_waitcnt vmcnt(0) lgkmcnt(0)
	v_fmac_f32_e32 v49, v51, v52
	s_andn2_b64 exec, exec, s[4:5]
	s_cbranch_execnz .LBB21_193
; %bb.194:
	s_or_b64 exec, exec, s[4:5]
.LBB21_195:
	s_or_b64 exec, exec, s[12:13]
	v_mov_b32_e32 v48, 0
	ds_read_b32 v48, v48 offset:4
	s_waitcnt lgkmcnt(0)
	v_mul_f32_e32 v48, v49, v48
	buffer_store_dword v48, off, s[0:3], 0 offset:4
.LBB21_196:
	s_or_b64 exec, exec, s[10:11]
	buffer_load_dword v48, off, s[0:3], 0
	v_cmp_ne_u32_e32 vcc, 0, v0
	s_waitcnt vmcnt(0)
	ds_write_b32 v46, v48
	s_waitcnt lgkmcnt(0)
	; wave barrier
	s_waitcnt lgkmcnt(0)
	s_and_saveexec_b64 s[4:5], vcc
	s_cbranch_execz .LBB21_206
; %bb.197:
	s_andn2_b64 vcc, exec, s[8:9]
	s_cbranch_vccnz .LBB21_199
; %bb.198:
	buffer_load_dword v48, v47, s[0:3], 0 offen
	ds_read_b32 v49, v46
	s_waitcnt vmcnt(0) lgkmcnt(0)
	v_mul_f32_e32 v48, v48, v49
	s_cbranch_execz .LBB21_200
	s_branch .LBB21_201
.LBB21_199:
                                        ; implicit-def: $vgpr48
.LBB21_200:
	ds_read_b32 v48, v46
.LBB21_201:
	s_and_saveexec_b64 s[10:11], s[6:7]
	s_cbranch_execz .LBB21_205
; %bb.202:
	v_mov_b32_e32 v49, 0
	v_or_b32_e32 v49, 4, v49
	v_add_u32_e32 v50, -1, v0
	s_movk_i32 s12, 0x64
	s_mov_b64 s[6:7], 0
.LBB21_203:                             ; =>This Inner Loop Header: Depth=1
	buffer_load_dword v51, v49, s[0:3], 0 offen
	v_mov_b32_e32 v52, s12
	ds_read_b32 v52, v52
	v_add_u32_e32 v50, -1, v50
	s_add_i32 s12, s12, 4
	v_cmp_eq_u32_e32 vcc, 0, v50
	v_add_u32_e32 v49, 4, v49
	s_or_b64 s[6:7], vcc, s[6:7]
	s_waitcnt vmcnt(0) lgkmcnt(0)
	v_fmac_f32_e32 v48, v51, v52
	s_andn2_b64 exec, exec, s[6:7]
	s_cbranch_execnz .LBB21_203
; %bb.204:
	s_or_b64 exec, exec, s[6:7]
.LBB21_205:
	s_or_b64 exec, exec, s[10:11]
	v_mov_b32_e32 v49, 0
	ds_read_b32 v49, v49
	s_waitcnt lgkmcnt(0)
	v_mul_f32_e32 v48, v48, v49
	buffer_store_dword v48, off, s[0:3], 0
.LBB21_206:
	s_or_b64 exec, exec, s[4:5]
	s_mov_b64 s[4:5], 0
.LBB21_207:
	s_and_b64 vcc, exec, s[4:5]
	s_cbranch_vccz .LBB21_411
; %bb.208:
	buffer_load_dword v48, off, s[0:3], 0 offset:4
	v_cmp_eq_u32_e64 s[6:7], 0, v0
	s_waitcnt vmcnt(0)
	ds_write_b32 v46, v48
	s_waitcnt lgkmcnt(0)
	; wave barrier
	s_waitcnt lgkmcnt(0)
	s_and_saveexec_b64 s[4:5], s[6:7]
	s_cbranch_execz .LBB21_214
; %bb.209:
	s_and_b64 vcc, exec, s[8:9]
	s_cbranch_vccz .LBB21_211
; %bb.210:
	buffer_load_dword v48, v47, s[0:3], 0 offen
	ds_read_b32 v49, v46
	s_waitcnt vmcnt(0) lgkmcnt(0)
	v_mul_f32_e32 v48, v48, v49
	s_cbranch_execz .LBB21_212
	s_branch .LBB21_213
.LBB21_211:
                                        ; implicit-def: $vgpr48
.LBB21_212:
	ds_read_b32 v48, v46
.LBB21_213:
	v_mov_b32_e32 v49, 0
	ds_read_b32 v49, v49 offset:4
	s_waitcnt lgkmcnt(0)
	v_mul_f32_e32 v48, v48, v49
	buffer_store_dword v48, off, s[0:3], 0 offset:4
.LBB21_214:
	s_or_b64 exec, exec, s[4:5]
	buffer_load_dword v48, off, s[0:3], 0 offset:8
	v_cndmask_b32_e64 v49, 0, 1, s[8:9]
	v_cmp_gt_u32_e32 vcc, 2, v0
	v_cmp_ne_u32_e64 s[4:5], 1, v49
	s_waitcnt vmcnt(0)
	ds_write_b32 v46, v48
	s_waitcnt lgkmcnt(0)
	; wave barrier
	s_waitcnt lgkmcnt(0)
	s_and_saveexec_b64 s[8:9], vcc
	s_cbranch_execz .LBB21_222
; %bb.215:
	s_and_b64 vcc, exec, s[4:5]
	s_cbranch_vccnz .LBB21_217
; %bb.216:
	buffer_load_dword v48, v47, s[0:3], 0 offen
	ds_read_b32 v49, v46
	s_waitcnt vmcnt(0) lgkmcnt(0)
	v_mul_f32_e32 v48, v48, v49
	s_cbranch_execz .LBB21_218
	s_branch .LBB21_219
.LBB21_217:
                                        ; implicit-def: $vgpr48
.LBB21_218:
	ds_read_b32 v48, v46
.LBB21_219:
	s_and_saveexec_b64 s[10:11], s[6:7]
	s_cbranch_execz .LBB21_221
; %bb.220:
	buffer_load_dword v49, v47, s[0:3], 0 offen offset:4
	ds_read_b32 v50, v46 offset:4
	s_waitcnt vmcnt(0) lgkmcnt(0)
	v_fmac_f32_e32 v48, v49, v50
.LBB21_221:
	s_or_b64 exec, exec, s[10:11]
	v_mov_b32_e32 v49, 0
	ds_read_b32 v49, v49 offset:8
	s_waitcnt lgkmcnt(0)
	v_mul_f32_e32 v48, v48, v49
	buffer_store_dword v48, off, s[0:3], 0 offset:8
.LBB21_222:
	s_or_b64 exec, exec, s[8:9]
	buffer_load_dword v48, off, s[0:3], 0 offset:12
	v_cmp_gt_u32_e32 vcc, 3, v0
	s_waitcnt vmcnt(0)
	ds_write_b32 v46, v48
	s_waitcnt lgkmcnt(0)
	; wave barrier
	s_waitcnt lgkmcnt(0)
	s_and_saveexec_b64 s[8:9], vcc
	s_cbranch_execz .LBB21_230
; %bb.223:
	s_and_b64 vcc, exec, s[4:5]
	s_cbranch_vccnz .LBB21_225
; %bb.224:
	buffer_load_dword v48, v47, s[0:3], 0 offen
	ds_read_b32 v49, v46
	s_waitcnt vmcnt(0) lgkmcnt(0)
	v_mul_f32_e32 v48, v48, v49
	s_cbranch_execz .LBB21_226
	s_branch .LBB21_227
.LBB21_225:
                                        ; implicit-def: $vgpr48
.LBB21_226:
	ds_read_b32 v48, v46
.LBB21_227:
	v_cmp_ne_u32_e32 vcc, 2, v0
	s_and_saveexec_b64 s[10:11], vcc
	s_cbranch_execz .LBB21_229
; %bb.228:
	buffer_load_dword v49, v47, s[0:3], 0 offen offset:4
	buffer_load_dword v50, off, s[0:3], 0 offset:8
	v_mov_b32_e32 v51, 0
	ds_read_b32 v52, v46 offset:4
	ds_read_b32 v51, v51 offset:104
	s_waitcnt vmcnt(1) lgkmcnt(1)
	v_fmac_f32_e32 v48, v49, v52
	s_waitcnt vmcnt(0) lgkmcnt(0)
	v_fma_f32 v49, v50, v51, v48
	v_cndmask_b32_e64 v48, v48, v49, s[6:7]
.LBB21_229:
	s_or_b64 exec, exec, s[10:11]
	v_mov_b32_e32 v49, 0
	ds_read_b32 v49, v49 offset:12
	s_waitcnt lgkmcnt(0)
	v_mul_f32_e32 v48, v48, v49
	buffer_store_dword v48, off, s[0:3], 0 offset:12
.LBB21_230:
	s_or_b64 exec, exec, s[8:9]
	buffer_load_dword v48, off, s[0:3], 0 offset:16
	v_cmp_gt_u32_e32 vcc, 4, v0
	s_waitcnt vmcnt(0)
	ds_write_b32 v46, v48
	s_waitcnt lgkmcnt(0)
	; wave barrier
	s_waitcnt lgkmcnt(0)
	s_and_saveexec_b64 s[6:7], vcc
	s_cbranch_execz .LBB21_240
; %bb.231:
	s_and_b64 vcc, exec, s[4:5]
	s_cbranch_vccnz .LBB21_233
; %bb.232:
	buffer_load_dword v48, v47, s[0:3], 0 offen
	ds_read_b32 v49, v46
	s_waitcnt vmcnt(0) lgkmcnt(0)
	v_mul_f32_e32 v48, v48, v49
	s_cbranch_execz .LBB21_234
	s_branch .LBB21_235
.LBB21_233:
                                        ; implicit-def: $vgpr48
.LBB21_234:
	ds_read_b32 v48, v46
.LBB21_235:
	v_cmp_ne_u32_e32 vcc, 3, v0
	s_and_saveexec_b64 s[8:9], vcc
	s_cbranch_execz .LBB21_239
; %bb.236:
	v_mov_b32_e32 v50, 0
	v_add_u32_e32 v49, 0x64, v1
	v_add3_u32 v50, v1, v50, 4
	s_mov_b64 s[10:11], 0
	v_mov_b32_e32 v51, v0
.LBB21_237:                             ; =>This Inner Loop Header: Depth=1
	buffer_load_dword v52, v50, s[0:3], 0 offen
	ds_read_b32 v53, v49
	v_add_u32_e32 v51, 1, v51
	v_cmp_lt_u32_e32 vcc, 2, v51
	v_add_u32_e32 v49, 4, v49
	v_add_u32_e32 v50, 4, v50
	s_or_b64 s[10:11], vcc, s[10:11]
	s_waitcnt vmcnt(0) lgkmcnt(0)
	v_fmac_f32_e32 v48, v52, v53
	s_andn2_b64 exec, exec, s[10:11]
	s_cbranch_execnz .LBB21_237
; %bb.238:
	s_or_b64 exec, exec, s[10:11]
.LBB21_239:
	s_or_b64 exec, exec, s[8:9]
	v_mov_b32_e32 v49, 0
	ds_read_b32 v49, v49 offset:16
	s_waitcnt lgkmcnt(0)
	v_mul_f32_e32 v48, v48, v49
	buffer_store_dword v48, off, s[0:3], 0 offset:16
.LBB21_240:
	s_or_b64 exec, exec, s[6:7]
	buffer_load_dword v48, off, s[0:3], 0 offset:20
	v_cmp_gt_u32_e32 vcc, 5, v0
	s_waitcnt vmcnt(0)
	ds_write_b32 v46, v48
	s_waitcnt lgkmcnt(0)
	; wave barrier
	s_waitcnt lgkmcnt(0)
	s_and_saveexec_b64 s[6:7], vcc
	s_cbranch_execz .LBB21_250
; %bb.241:
	s_and_b64 vcc, exec, s[4:5]
	s_cbranch_vccnz .LBB21_243
; %bb.242:
	buffer_load_dword v48, v47, s[0:3], 0 offen
	ds_read_b32 v49, v46
	s_waitcnt vmcnt(0) lgkmcnt(0)
	v_mul_f32_e32 v48, v48, v49
	s_cbranch_execz .LBB21_244
	s_branch .LBB21_245
.LBB21_243:
                                        ; implicit-def: $vgpr48
.LBB21_244:
	ds_read_b32 v48, v46
.LBB21_245:
	v_cmp_ne_u32_e32 vcc, 4, v0
	s_and_saveexec_b64 s[8:9], vcc
	s_cbranch_execz .LBB21_249
; %bb.246:
	v_mov_b32_e32 v50, 0
	v_add_u32_e32 v49, 0x64, v1
	v_add3_u32 v50, v1, v50, 4
	s_mov_b64 s[10:11], 0
	v_mov_b32_e32 v51, v0
.LBB21_247:                             ; =>This Inner Loop Header: Depth=1
	buffer_load_dword v52, v50, s[0:3], 0 offen
	ds_read_b32 v53, v49
	v_add_u32_e32 v51, 1, v51
	v_cmp_lt_u32_e32 vcc, 3, v51
	v_add_u32_e32 v49, 4, v49
	v_add_u32_e32 v50, 4, v50
	s_or_b64 s[10:11], vcc, s[10:11]
	s_waitcnt vmcnt(0) lgkmcnt(0)
	v_fmac_f32_e32 v48, v52, v53
	s_andn2_b64 exec, exec, s[10:11]
	s_cbranch_execnz .LBB21_247
; %bb.248:
	s_or_b64 exec, exec, s[10:11]
.LBB21_249:
	s_or_b64 exec, exec, s[8:9]
	v_mov_b32_e32 v49, 0
	ds_read_b32 v49, v49 offset:20
	s_waitcnt lgkmcnt(0)
	v_mul_f32_e32 v48, v48, v49
	buffer_store_dword v48, off, s[0:3], 0 offset:20
.LBB21_250:
	;; [unrolled: 56-line block ×16, first 2 shown]
	s_or_b64 exec, exec, s[6:7]
	buffer_load_dword v48, off, s[0:3], 0 offset:80
	v_cmp_gt_u32_e64 s[6:7], 20, v0
	s_waitcnt vmcnt(0)
	ds_write_b32 v46, v48
	s_waitcnt lgkmcnt(0)
	; wave barrier
	s_waitcnt lgkmcnt(0)
	s_and_saveexec_b64 s[8:9], s[6:7]
	s_cbranch_execz .LBB21_400
; %bb.391:
	s_and_b64 vcc, exec, s[4:5]
	s_cbranch_vccnz .LBB21_393
; %bb.392:
	buffer_load_dword v48, v47, s[0:3], 0 offen
	ds_read_b32 v49, v46
	s_waitcnt vmcnt(0) lgkmcnt(0)
	v_mul_f32_e32 v48, v48, v49
	s_cbranch_execz .LBB21_394
	s_branch .LBB21_395
.LBB21_393:
                                        ; implicit-def: $vgpr48
.LBB21_394:
	ds_read_b32 v48, v46
.LBB21_395:
	v_cmp_ne_u32_e32 vcc, 19, v0
	s_and_saveexec_b64 s[10:11], vcc
	s_cbranch_execz .LBB21_399
; %bb.396:
	v_mov_b32_e32 v50, 0
	v_add_u32_e32 v49, 0x64, v1
	v_add3_u32 v50, v1, v50, 4
	s_mov_b64 s[12:13], 0
	v_mov_b32_e32 v51, v0
.LBB21_397:                             ; =>This Inner Loop Header: Depth=1
	buffer_load_dword v52, v50, s[0:3], 0 offen
	ds_read_b32 v53, v49
	v_add_u32_e32 v51, 1, v51
	v_cmp_lt_u32_e32 vcc, 18, v51
	v_add_u32_e32 v49, 4, v49
	v_add_u32_e32 v50, 4, v50
	s_or_b64 s[12:13], vcc, s[12:13]
	s_waitcnt vmcnt(0) lgkmcnt(0)
	v_fmac_f32_e32 v48, v52, v53
	s_andn2_b64 exec, exec, s[12:13]
	s_cbranch_execnz .LBB21_397
; %bb.398:
	s_or_b64 exec, exec, s[12:13]
.LBB21_399:
	s_or_b64 exec, exec, s[10:11]
	v_mov_b32_e32 v49, 0
	ds_read_b32 v49, v49 offset:80
	s_waitcnt lgkmcnt(0)
	v_mul_f32_e32 v48, v48, v49
	buffer_store_dword v48, off, s[0:3], 0 offset:80
.LBB21_400:
	s_or_b64 exec, exec, s[8:9]
	buffer_load_dword v48, off, s[0:3], 0 offset:84
	v_cmp_ne_u32_e32 vcc, 21, v0
	s_waitcnt vmcnt(0)
	ds_write_b32 v46, v48
	s_waitcnt lgkmcnt(0)
	; wave barrier
	s_waitcnt lgkmcnt(0)
	s_and_saveexec_b64 s[8:9], vcc
	s_cbranch_execz .LBB21_410
; %bb.401:
	s_and_b64 vcc, exec, s[4:5]
	s_cbranch_vccnz .LBB21_403
; %bb.402:
	buffer_load_dword v47, v47, s[0:3], 0 offen
	ds_read_b32 v48, v46
	s_waitcnt vmcnt(0) lgkmcnt(0)
	v_mul_f32_e32 v47, v47, v48
	s_cbranch_execz .LBB21_404
	s_branch .LBB21_405
.LBB21_403:
                                        ; implicit-def: $vgpr47
.LBB21_404:
	ds_read_b32 v47, v46
.LBB21_405:
	s_and_saveexec_b64 s[4:5], s[6:7]
	s_cbranch_execz .LBB21_409
; %bb.406:
	v_mov_b32_e32 v48, 0
	v_add_u32_e32 v46, 0x64, v1
	v_add3_u32 v1, v1, v48, 4
	s_mov_b64 s[6:7], 0
.LBB21_407:                             ; =>This Inner Loop Header: Depth=1
	buffer_load_dword v48, v1, s[0:3], 0 offen
	ds_read_b32 v49, v46
	v_add_u32_e32 v0, 1, v0
	v_cmp_lt_u32_e32 vcc, 19, v0
	v_add_u32_e32 v46, 4, v46
	v_add_u32_e32 v1, 4, v1
	s_or_b64 s[6:7], vcc, s[6:7]
	s_waitcnt vmcnt(0) lgkmcnt(0)
	v_fmac_f32_e32 v47, v48, v49
	s_andn2_b64 exec, exec, s[6:7]
	s_cbranch_execnz .LBB21_407
; %bb.408:
	s_or_b64 exec, exec, s[6:7]
.LBB21_409:
	s_or_b64 exec, exec, s[4:5]
	v_mov_b32_e32 v0, 0
	ds_read_b32 v0, v0 offset:84
	s_waitcnt lgkmcnt(0)
	v_mul_f32_e32 v0, v47, v0
	buffer_store_dword v0, off, s[0:3], 0 offset:84
.LBB21_410:
	s_or_b64 exec, exec, s[8:9]
.LBB21_411:
	buffer_load_dword v0, off, s[0:3], 0
	buffer_load_dword v1, off, s[0:3], 0 offset:4
	buffer_load_dword v46, off, s[0:3], 0 offset:8
	;; [unrolled: 1-line block ×15, first 2 shown]
	s_waitcnt vmcnt(15)
	global_store_dword v[2:3], v0, off
	s_waitcnt vmcnt(15)
	global_store_dword v[4:5], v1, off
	buffer_load_dword v0, off, s[0:3], 0 offset:64
	s_nop 0
	buffer_load_dword v1, off, s[0:3], 0 offset:68
	buffer_load_dword v2, off, s[0:3], 0 offset:72
	;; [unrolled: 1-line block ×5, first 2 shown]
	s_waitcnt vmcnt(21)
	global_store_dword v[6:7], v46, off
	s_waitcnt vmcnt(21)
	global_store_dword v[8:9], v47, off
	s_waitcnt vmcnt(21)
	global_store_dword v[10:11], v48, off
	s_waitcnt vmcnt(21)
	global_store_dword v[12:13], v49, off
	s_waitcnt vmcnt(21)
	global_store_dword v[14:15], v50, off
	s_waitcnt vmcnt(21)
	global_store_dword v[18:19], v51, off
	s_waitcnt vmcnt(21)
	global_store_dword v[20:21], v52, off
	s_waitcnt vmcnt(21)
	global_store_dword v[22:23], v53, off
	s_waitcnt vmcnt(21)
	global_store_dword v[24:25], v54, off
	s_waitcnt vmcnt(21)
	global_store_dword v[26:27], v55, off
	s_waitcnt vmcnt(21)
	global_store_dword v[28:29], v56, off
	s_waitcnt vmcnt(21)
	global_store_dword v[30:31], v57, off
	s_waitcnt vmcnt(21)
	global_store_dword v[32:33], v58, off
	s_waitcnt vmcnt(21)
	global_store_dword v[34:35], v59, off
	s_waitcnt vmcnt(19)
	global_store_dword v[36:37], v0, off
	s_waitcnt vmcnt(19)
	global_store_dword v[38:39], v1, off
	s_waitcnt vmcnt(19)
	global_store_dword v[40:41], v2, off
	s_waitcnt vmcnt(19)
	global_store_dword v[42:43], v3, off
	s_waitcnt vmcnt(19)
	global_store_dword v[44:45], v4, off
	s_waitcnt vmcnt(19)
	global_store_dword v[16:17], v5, off
.LBB21_412:
	s_endpgm
	.section	.rodata,"a",@progbits
	.p2align	6, 0x0
	.amdhsa_kernel _ZN9rocsolver6v33100L18trti2_kernel_smallILi22EfPfEEv13rocblas_fill_17rocblas_diagonal_T1_iil
		.amdhsa_group_segment_fixed_size 184
		.amdhsa_private_segment_fixed_size 96
		.amdhsa_kernarg_size 32
		.amdhsa_user_sgpr_count 8
		.amdhsa_user_sgpr_private_segment_buffer 1
		.amdhsa_user_sgpr_dispatch_ptr 0
		.amdhsa_user_sgpr_queue_ptr 0
		.amdhsa_user_sgpr_kernarg_segment_ptr 1
		.amdhsa_user_sgpr_dispatch_id 0
		.amdhsa_user_sgpr_flat_scratch_init 1
		.amdhsa_user_sgpr_kernarg_preload_length 0
		.amdhsa_user_sgpr_kernarg_preload_offset 0
		.amdhsa_user_sgpr_private_segment_size 0
		.amdhsa_uses_dynamic_stack 0
		.amdhsa_system_sgpr_private_segment_wavefront_offset 1
		.amdhsa_system_sgpr_workgroup_id_x 1
		.amdhsa_system_sgpr_workgroup_id_y 0
		.amdhsa_system_sgpr_workgroup_id_z 0
		.amdhsa_system_sgpr_workgroup_info 0
		.amdhsa_system_vgpr_workitem_id 0
		.amdhsa_next_free_vgpr 62
		.amdhsa_next_free_sgpr 20
		.amdhsa_accum_offset 64
		.amdhsa_reserve_vcc 1
		.amdhsa_reserve_flat_scratch 0
		.amdhsa_float_round_mode_32 0
		.amdhsa_float_round_mode_16_64 0
		.amdhsa_float_denorm_mode_32 3
		.amdhsa_float_denorm_mode_16_64 3
		.amdhsa_dx10_clamp 1
		.amdhsa_ieee_mode 1
		.amdhsa_fp16_overflow 0
		.amdhsa_tg_split 0
		.amdhsa_exception_fp_ieee_invalid_op 0
		.amdhsa_exception_fp_denorm_src 0
		.amdhsa_exception_fp_ieee_div_zero 0
		.amdhsa_exception_fp_ieee_overflow 0
		.amdhsa_exception_fp_ieee_underflow 0
		.amdhsa_exception_fp_ieee_inexact 0
		.amdhsa_exception_int_div_zero 0
	.end_amdhsa_kernel
	.section	.text._ZN9rocsolver6v33100L18trti2_kernel_smallILi22EfPfEEv13rocblas_fill_17rocblas_diagonal_T1_iil,"axG",@progbits,_ZN9rocsolver6v33100L18trti2_kernel_smallILi22EfPfEEv13rocblas_fill_17rocblas_diagonal_T1_iil,comdat
.Lfunc_end21:
	.size	_ZN9rocsolver6v33100L18trti2_kernel_smallILi22EfPfEEv13rocblas_fill_17rocblas_diagonal_T1_iil, .Lfunc_end21-_ZN9rocsolver6v33100L18trti2_kernel_smallILi22EfPfEEv13rocblas_fill_17rocblas_diagonal_T1_iil
                                        ; -- End function
	.section	.AMDGPU.csdata,"",@progbits
; Kernel info:
; codeLenInByte = 10540
; NumSgprs: 24
; NumVgprs: 62
; NumAgprs: 0
; TotalNumVgprs: 62
; ScratchSize: 96
; MemoryBound: 0
; FloatMode: 240
; IeeeMode: 1
; LDSByteSize: 184 bytes/workgroup (compile time only)
; SGPRBlocks: 2
; VGPRBlocks: 7
; NumSGPRsForWavesPerEU: 24
; NumVGPRsForWavesPerEU: 62
; AccumOffset: 64
; Occupancy: 8
; WaveLimiterHint : 0
; COMPUTE_PGM_RSRC2:SCRATCH_EN: 1
; COMPUTE_PGM_RSRC2:USER_SGPR: 8
; COMPUTE_PGM_RSRC2:TRAP_HANDLER: 0
; COMPUTE_PGM_RSRC2:TGID_X_EN: 1
; COMPUTE_PGM_RSRC2:TGID_Y_EN: 0
; COMPUTE_PGM_RSRC2:TGID_Z_EN: 0
; COMPUTE_PGM_RSRC2:TIDIG_COMP_CNT: 0
; COMPUTE_PGM_RSRC3_GFX90A:ACCUM_OFFSET: 15
; COMPUTE_PGM_RSRC3_GFX90A:TG_SPLIT: 0
	.section	.text._ZN9rocsolver6v33100L18trti2_kernel_smallILi23EfPfEEv13rocblas_fill_17rocblas_diagonal_T1_iil,"axG",@progbits,_ZN9rocsolver6v33100L18trti2_kernel_smallILi23EfPfEEv13rocblas_fill_17rocblas_diagonal_T1_iil,comdat
	.globl	_ZN9rocsolver6v33100L18trti2_kernel_smallILi23EfPfEEv13rocblas_fill_17rocblas_diagonal_T1_iil ; -- Begin function _ZN9rocsolver6v33100L18trti2_kernel_smallILi23EfPfEEv13rocblas_fill_17rocblas_diagonal_T1_iil
	.p2align	8
	.type	_ZN9rocsolver6v33100L18trti2_kernel_smallILi23EfPfEEv13rocblas_fill_17rocblas_diagonal_T1_iil,@function
_ZN9rocsolver6v33100L18trti2_kernel_smallILi23EfPfEEv13rocblas_fill_17rocblas_diagonal_T1_iil: ; @_ZN9rocsolver6v33100L18trti2_kernel_smallILi23EfPfEEv13rocblas_fill_17rocblas_diagonal_T1_iil
; %bb.0:
	s_add_u32 s0, s0, s9
	s_addc_u32 s1, s1, 0
	v_cmp_gt_u32_e32 vcc, 23, v0
	s_and_saveexec_b64 s[6:7], vcc
	s_cbranch_execz .LBB22_432
; %bb.1:
	s_load_dwordx8 s[12:19], s[4:5], 0x0
	s_ashr_i32 s6, s8, 31
	v_lshlrev_b32_e32 v1, 2, v0
	s_waitcnt lgkmcnt(0)
	s_mul_i32 s7, s8, s19
	s_mul_hi_u32 s9, s8, s18
	s_add_i32 s7, s9, s7
	s_mul_i32 s6, s6, s18
	s_add_i32 s7, s7, s6
	s_mul_i32 s6, s8, s18
	s_ashr_i32 s5, s16, 31
	s_lshl_b64 s[6:7], s[6:7], 2
	s_mov_b32 s4, s16
	s_add_u32 s6, s14, s6
	s_addc_u32 s7, s15, s7
	s_lshl_b64 s[4:5], s[4:5], 2
	s_add_u32 s4, s6, s4
	s_addc_u32 s5, s7, s5
	v_mov_b32_e32 v2, s5
	v_add_co_u32_e32 v4, vcc, s4, v1
	s_ashr_i32 s7, s17, 31
	s_mov_b32 s6, s17
	v_addc_co_u32_e32 v5, vcc, 0, v2, vcc
	s_lshl_b64 s[6:7], s[6:7], 2
	v_add_co_u32_e32 v2, vcc, s6, v4
	s_add_i32 s6, s17, s17
	v_add_u32_e32 v8, s6, v0
	v_mov_b32_e32 v3, s7
	v_ashrrev_i32_e32 v9, 31, v8
	v_addc_co_u32_e32 v3, vcc, v5, v3, vcc
	v_lshlrev_b64 v[6:7], 2, v[8:9]
	v_add_u32_e32 v10, s17, v8
	v_mov_b32_e32 v9, s5
	v_add_co_u32_e32 v6, vcc, s4, v6
	v_ashrrev_i32_e32 v11, 31, v10
	v_addc_co_u32_e32 v7, vcc, v9, v7, vcc
	v_lshlrev_b64 v[8:9], 2, v[10:11]
	v_mov_b32_e32 v11, s5
	v_add_co_u32_e32 v8, vcc, s4, v8
	global_load_dword v31, v1, s[4:5]
	v_addc_co_u32_e32 v9, vcc, v11, v9, vcc
	global_load_dword v33, v[2:3], off
	global_load_dword v48, v[6:7], off
	;; [unrolled: 1-line block ×3, first 2 shown]
	v_add_u32_e32 v12, s17, v10
	v_add_u32_e32 v14, s17, v12
	v_ashrrev_i32_e32 v13, 31, v12
	v_add_u32_e32 v16, s17, v14
	v_lshlrev_b64 v[10:11], 2, v[12:13]
	v_add_u32_e32 v18, s17, v16
	v_mov_b32_e32 v13, s5
	v_add_co_u32_e32 v10, vcc, s4, v10
	v_ashrrev_i32_e32 v15, 31, v14
	v_add_u32_e32 v20, s17, v18
	v_addc_co_u32_e32 v11, vcc, v13, v11, vcc
	v_lshlrev_b64 v[12:13], 2, v[14:15]
	v_add_u32_e32 v22, s17, v20
	v_mov_b32_e32 v15, s5
	v_add_co_u32_e32 v12, vcc, s4, v12
	v_ashrrev_i32_e32 v17, 31, v16
	v_add_u32_e32 v24, s17, v22
	v_addc_co_u32_e32 v13, vcc, v15, v13, vcc
	;; [unrolled: 7-line block ×7, first 2 shown]
	v_lshlrev_b64 v[24:25], 2, v[26:27]
	v_add_u32_e32 v28, s17, v46
	v_mov_b32_e32 v27, s5
	v_add_co_u32_e32 v24, vcc, s4, v24
	v_ashrrev_i32_e32 v29, 31, v28
	v_addc_co_u32_e32 v25, vcc, v27, v25, vcc
	v_lshlrev_b64 v[26:27], 2, v[28:29]
	v_mov_b32_e32 v29, s5
	v_add_co_u32_e32 v26, vcc, s4, v26
	v_add_u32_e32 v28, s17, v28
	v_addc_co_u32_e32 v27, vcc, v29, v27, vcc
	v_ashrrev_i32_e32 v29, 31, v28
	v_lshlrev_b64 v[28:29], 2, v[28:29]
	v_mov_b32_e32 v37, s5
	v_add_co_u32_e32 v28, vcc, s4, v28
	v_addc_co_u32_e32 v29, vcc, v37, v29, vcc
	global_load_dword v49, v[10:11], off
	global_load_dword v50, v[12:13], off
	;; [unrolled: 1-line block ×6, first 2 shown]
	s_waitcnt vmcnt(9)
	buffer_store_dword v31, off, s[0:3], 0
	s_waitcnt vmcnt(9)
	buffer_store_dword v33, off, s[0:3], 0 offset:4
	s_waitcnt vmcnt(8)
	buffer_store_dword v35, off, s[0:3], 0 offset:12
	v_ashrrev_i32_e32 v31, 31, v30
	v_lshlrev_b64 v[30:31], 2, v[30:31]
	v_mov_b32_e32 v33, s5
	v_add_co_u32_e32 v30, vcc, s4, v30
	v_addc_co_u32_e32 v31, vcc, v33, v31, vcc
	v_ashrrev_i32_e32 v33, 31, v32
	v_lshlrev_b64 v[32:33], 2, v[32:33]
	v_mov_b32_e32 v35, s5
	v_add_co_u32_e32 v32, vcc, s4, v32
	v_addc_co_u32_e32 v33, vcc, v35, v33, vcc
	v_ashrrev_i32_e32 v35, 31, v34
	v_lshlrev_b64 v[34:35], 2, v[34:35]
	v_add_co_u32_e32 v34, vcc, s4, v34
	v_addc_co_u32_e32 v35, vcc, v37, v35, vcc
	v_ashrrev_i32_e32 v37, 31, v36
	v_lshlrev_b64 v[36:37], 2, v[36:37]
	v_mov_b32_e32 v39, s5
	v_add_co_u32_e32 v36, vcc, s4, v36
	v_addc_co_u32_e32 v37, vcc, v39, v37, vcc
	v_ashrrev_i32_e32 v39, 31, v38
	v_lshlrev_b64 v[38:39], 2, v[38:39]
	v_mov_b32_e32 v41, s5
	;; [unrolled: 5-line block ×6, first 2 shown]
	v_add_co_u32_e32 v46, vcc, s4, v46
	global_load_dword v55, v[20:21], off
	global_load_dword v56, v[22:23], off
	;; [unrolled: 1-line block ×8, first 2 shown]
	v_addc_co_u32_e32 v47, vcc, v59, v47, vcc
	global_load_dword v64, v[40:41], off
	global_load_dword v65, v[42:43], off
	;; [unrolled: 1-line block ×5, first 2 shown]
	s_cmpk_lg_i32 s13, 0x84
	buffer_store_dword v48, off, s[0:3], 0 offset:8
	s_waitcnt vmcnt(22)
	buffer_store_dword v49, off, s[0:3], 0 offset:16
	s_waitcnt vmcnt(22)
	;; [unrolled: 2-line block ×7, first 2 shown]
	buffer_store_dword v57, off, s[0:3], 0 offset:44
	buffer_store_dword v56, off, s[0:3], 0 offset:40
	v_mov_b32_e32 v59, 0
	s_cselect_b64 s[10:11], -1, 0
	s_cmpk_eq_i32 s13, 0x84
	v_mov_b32_e32 v48, -1.0
	s_waitcnt vmcnt(18)
	buffer_store_dword v58, off, s[0:3], 0 offset:48
	s_waitcnt vmcnt(18)
	buffer_store_dword v60, off, s[0:3], 0 offset:52
	;; [unrolled: 2-line block ×10, first 2 shown]
	buffer_store_dword v54, off, s[0:3], 0 offset:88
	s_cbranch_scc1 .LBB22_3
; %bb.2:
	v_lshl_add_u32 v48, v0, 2, v59
	buffer_load_dword v49, v48, s[0:3], 0 offen
	s_waitcnt vmcnt(0)
	v_div_scale_f32 v50, s[4:5], v49, v49, 1.0
	v_rcp_f32_e32 v51, v50
	v_div_scale_f32 v52, vcc, 1.0, v49, 1.0
	v_fma_f32 v53, -v50, v51, 1.0
	v_fmac_f32_e32 v51, v53, v51
	v_mul_f32_e32 v53, v52, v51
	v_fma_f32 v54, -v50, v53, v52
	v_fmac_f32_e32 v53, v54, v51
	v_fma_f32 v50, -v50, v53, v52
	v_div_fmas_f32 v50, v50, v51, v53
	v_div_fixup_f32 v49, v50, v49, 1.0
	buffer_store_dword v49, v48, s[0:3], 0 offen
	v_xor_b32_e32 v48, 0x80000000, v49
.LBB22_3:
	ds_write_b32 v1, v48
	s_cmpk_eq_i32 s12, 0x79
	v_add_u32_e32 v48, 0x60, v1
	v_add_u32_e32 v49, 0, v1
	s_mov_b64 s[4:5], -1
	s_cbranch_scc1 .LBB22_217
; %bb.4:
	buffer_load_dword v50, off, s[0:3], 0 offset:84
	v_cmp_eq_u32_e64 s[4:5], 22, v0
	s_waitcnt vmcnt(0)
	ds_write_b32 v48, v50
	s_waitcnt lgkmcnt(0)
	; wave barrier
	s_waitcnt lgkmcnt(0)
	s_and_saveexec_b64 s[6:7], s[4:5]
	s_cbranch_execz .LBB22_10
; %bb.5:
	s_and_b64 vcc, exec, s[10:11]
	s_cbranch_vccz .LBB22_7
; %bb.6:
	buffer_load_dword v50, v49, s[0:3], 0 offen
	ds_read_b32 v51, v48
	s_waitcnt vmcnt(0) lgkmcnt(0)
	v_mul_f32_e32 v50, v50, v51
	s_cbranch_execz .LBB22_8
	s_branch .LBB22_9
.LBB22_7:
                                        ; implicit-def: $vgpr50
.LBB22_8:
	ds_read_b32 v50, v48
.LBB22_9:
	v_mov_b32_e32 v51, 0
	ds_read_b32 v51, v51 offset:84
	s_waitcnt lgkmcnt(0)
	v_mul_f32_e32 v50, v50, v51
	buffer_store_dword v50, off, s[0:3], 0 offset:84
.LBB22_10:
	s_or_b64 exec, exec, s[6:7]
	buffer_load_dword v60, off, s[0:3], 0 offset:80
	v_or_b32_e32 v50, 8, v59
	v_add_u32_e32 v51, 16, v59
	v_add_u32_e32 v52, 24, v59
	;; [unrolled: 1-line block ×9, first 2 shown]
	v_cmp_lt_u32_e64 s[8:9], 20, v0
	s_waitcnt vmcnt(0)
	ds_write_b32 v48, v60
	s_waitcnt lgkmcnt(0)
	; wave barrier
	s_waitcnt lgkmcnt(0)
	s_and_saveexec_b64 s[6:7], s[8:9]
	s_cbranch_execz .LBB22_16
; %bb.11:
	s_andn2_b64 vcc, exec, s[10:11]
	s_cbranch_vccnz .LBB22_13
; %bb.12:
	buffer_load_dword v60, v49, s[0:3], 0 offen
	ds_read_b32 v61, v48
	s_waitcnt vmcnt(0) lgkmcnt(0)
	v_mul_f32_e32 v60, v60, v61
	s_cbranch_execz .LBB22_14
	s_branch .LBB22_15
.LBB22_13:
                                        ; implicit-def: $vgpr60
.LBB22_14:
	ds_read_b32 v60, v48
.LBB22_15:
	buffer_load_dword v61, off, s[0:3], 0 offset:84
	v_mov_b32_e32 v62, 0
	ds_read2_b32 v[62:63], v62 offset0:20 offset1:45
	s_waitcnt vmcnt(0) lgkmcnt(0)
	v_fma_f32 v61, v61, v63, v60
	v_cndmask_b32_e64 v60, v60, v61, s[4:5]
	v_mul_f32_e32 v60, v60, v62
	buffer_store_dword v60, off, s[0:3], 0 offset:80
.LBB22_16:
	s_or_b64 exec, exec, s[6:7]
	buffer_load_dword v60, off, s[0:3], 0 offset:76
	v_cmp_lt_u32_e64 s[6:7], 19, v0
	s_waitcnt vmcnt(0)
	ds_write_b32 v48, v60
	s_waitcnt lgkmcnt(0)
	; wave barrier
	s_waitcnt lgkmcnt(0)
	s_and_saveexec_b64 s[4:5], s[6:7]
	s_cbranch_execz .LBB22_26
; %bb.17:
	s_andn2_b64 vcc, exec, s[10:11]
	s_cbranch_vccnz .LBB22_19
; %bb.18:
	buffer_load_dword v60, v49, s[0:3], 0 offen
	ds_read_b32 v61, v48
	s_waitcnt vmcnt(0) lgkmcnt(0)
	v_mul_f32_e32 v60, v60, v61
	s_cbranch_execz .LBB22_20
	s_branch .LBB22_21
.LBB22_19:
                                        ; implicit-def: $vgpr60
.LBB22_20:
	ds_read_b32 v60, v48
.LBB22_21:
	s_and_saveexec_b64 s[12:13], s[8:9]
	s_cbranch_execz .LBB22_25
; %bb.22:
	v_subrev_u32_e32 v61, 20, v0
	s_movk_i32 s14, 0xb0
	s_mov_b64 s[8:9], 0
.LBB22_23:                              ; =>This Inner Loop Header: Depth=1
	buffer_load_dword v62, v59, s[0:3], 0 offen
	v_mov_b32_e32 v63, s14
	ds_read_b32 v63, v63
	v_add_u32_e32 v61, -1, v61
	s_add_i32 s14, s14, 4
	v_cmp_eq_u32_e32 vcc, 0, v61
	v_add_u32_e32 v59, 4, v59
	s_or_b64 s[8:9], vcc, s[8:9]
	s_waitcnt vmcnt(0) lgkmcnt(0)
	v_fmac_f32_e32 v60, v62, v63
	s_andn2_b64 exec, exec, s[8:9]
	s_cbranch_execnz .LBB22_23
; %bb.24:
	s_or_b64 exec, exec, s[8:9]
.LBB22_25:
	s_or_b64 exec, exec, s[12:13]
	v_mov_b32_e32 v59, 0
	ds_read_b32 v59, v59 offset:76
	s_waitcnt lgkmcnt(0)
	v_mul_f32_e32 v59, v60, v59
	buffer_store_dword v59, off, s[0:3], 0 offset:76
.LBB22_26:
	s_or_b64 exec, exec, s[4:5]
	buffer_load_dword v59, off, s[0:3], 0 offset:72
	v_cmp_lt_u32_e64 s[4:5], 18, v0
	s_waitcnt vmcnt(0)
	ds_write_b32 v48, v59
	s_waitcnt lgkmcnt(0)
	; wave barrier
	s_waitcnt lgkmcnt(0)
	s_and_saveexec_b64 s[8:9], s[4:5]
	s_cbranch_execz .LBB22_36
; %bb.27:
	s_andn2_b64 vcc, exec, s[10:11]
	s_cbranch_vccnz .LBB22_29
; %bb.28:
	buffer_load_dword v59, v49, s[0:3], 0 offen
	ds_read_b32 v60, v48
	s_waitcnt vmcnt(0) lgkmcnt(0)
	v_mul_f32_e32 v59, v59, v60
	s_cbranch_execz .LBB22_30
	s_branch .LBB22_31
.LBB22_29:
                                        ; implicit-def: $vgpr59
.LBB22_30:
	ds_read_b32 v59, v48
.LBB22_31:
	s_and_saveexec_b64 s[12:13], s[6:7]
	s_cbranch_execz .LBB22_35
; %bb.32:
	v_mov_b32_e32 v60, 0
	v_add_u32_e32 v60, 0x4c, v60
	v_subrev_u32_e32 v61, 19, v0
	s_movk_i32 s14, 0xac
	s_mov_b64 s[6:7], 0
.LBB22_33:                              ; =>This Inner Loop Header: Depth=1
	buffer_load_dword v62, v60, s[0:3], 0 offen
	v_mov_b32_e32 v63, s14
	ds_read_b32 v63, v63
	v_add_u32_e32 v61, -1, v61
	s_add_i32 s14, s14, 4
	v_cmp_eq_u32_e32 vcc, 0, v61
	v_add_u32_e32 v60, 4, v60
	s_or_b64 s[6:7], vcc, s[6:7]
	s_waitcnt vmcnt(0) lgkmcnt(0)
	v_fmac_f32_e32 v59, v62, v63
	s_andn2_b64 exec, exec, s[6:7]
	s_cbranch_execnz .LBB22_33
; %bb.34:
	s_or_b64 exec, exec, s[6:7]
.LBB22_35:
	s_or_b64 exec, exec, s[12:13]
	v_mov_b32_e32 v60, 0
	ds_read_b32 v60, v60 offset:72
	s_waitcnt lgkmcnt(0)
	v_mul_f32_e32 v59, v59, v60
	buffer_store_dword v59, off, s[0:3], 0 offset:72
.LBB22_36:
	s_or_b64 exec, exec, s[8:9]
	buffer_load_dword v59, off, s[0:3], 0 offset:68
	v_cmp_lt_u32_e64 s[6:7], 17, v0
	s_waitcnt vmcnt(0)
	ds_write_b32 v48, v59
	s_waitcnt lgkmcnt(0)
	; wave barrier
	s_waitcnt lgkmcnt(0)
	s_and_saveexec_b64 s[8:9], s[6:7]
	s_cbranch_execz .LBB22_46
; %bb.37:
	s_andn2_b64 vcc, exec, s[10:11]
	s_cbranch_vccnz .LBB22_39
; %bb.38:
	buffer_load_dword v59, v49, s[0:3], 0 offen
	ds_read_b32 v60, v48
	s_waitcnt vmcnt(0) lgkmcnt(0)
	v_mul_f32_e32 v59, v59, v60
	s_cbranch_execz .LBB22_40
	s_branch .LBB22_41
.LBB22_39:
                                        ; implicit-def: $vgpr59
.LBB22_40:
	ds_read_b32 v59, v48
.LBB22_41:
	s_and_saveexec_b64 s[12:13], s[4:5]
	s_cbranch_execz .LBB22_45
; %bb.42:
	v_subrev_u32_e32 v60, 18, v0
	s_movk_i32 s14, 0xa8
	s_mov_b64 s[4:5], 0
.LBB22_43:                              ; =>This Inner Loop Header: Depth=1
	buffer_load_dword v61, v58, s[0:3], 0 offen
	v_mov_b32_e32 v62, s14
	ds_read_b32 v62, v62
	v_add_u32_e32 v60, -1, v60
	s_add_i32 s14, s14, 4
	v_cmp_eq_u32_e32 vcc, 0, v60
	v_add_u32_e32 v58, 4, v58
	s_or_b64 s[4:5], vcc, s[4:5]
	s_waitcnt vmcnt(0) lgkmcnt(0)
	v_fmac_f32_e32 v59, v61, v62
	s_andn2_b64 exec, exec, s[4:5]
	s_cbranch_execnz .LBB22_43
; %bb.44:
	s_or_b64 exec, exec, s[4:5]
.LBB22_45:
	s_or_b64 exec, exec, s[12:13]
	v_mov_b32_e32 v58, 0
	ds_read_b32 v58, v58 offset:68
	s_waitcnt lgkmcnt(0)
	v_mul_f32_e32 v58, v59, v58
	buffer_store_dword v58, off, s[0:3], 0 offset:68
.LBB22_46:
	s_or_b64 exec, exec, s[8:9]
	buffer_load_dword v58, off, s[0:3], 0 offset:64
	v_cmp_lt_u32_e64 s[4:5], 16, v0
	s_waitcnt vmcnt(0)
	ds_write_b32 v48, v58
	s_waitcnt lgkmcnt(0)
	; wave barrier
	s_waitcnt lgkmcnt(0)
	s_and_saveexec_b64 s[8:9], s[4:5]
	s_cbranch_execz .LBB22_56
; %bb.47:
	s_andn2_b64 vcc, exec, s[10:11]
	s_cbranch_vccnz .LBB22_49
; %bb.48:
	buffer_load_dword v58, v49, s[0:3], 0 offen
	ds_read_b32 v59, v48
	s_waitcnt vmcnt(0) lgkmcnt(0)
	v_mul_f32_e32 v58, v58, v59
	s_cbranch_execz .LBB22_50
	s_branch .LBB22_51
.LBB22_49:
                                        ; implicit-def: $vgpr58
.LBB22_50:
	ds_read_b32 v58, v48
.LBB22_51:
	s_and_saveexec_b64 s[12:13], s[6:7]
	s_cbranch_execz .LBB22_55
; %bb.52:
	v_mov_b32_e32 v59, 0
	v_add_u32_e32 v59, 0x44, v59
	v_subrev_u32_e32 v60, 17, v0
	s_movk_i32 s14, 0xa4
	s_mov_b64 s[6:7], 0
.LBB22_53:                              ; =>This Inner Loop Header: Depth=1
	buffer_load_dword v61, v59, s[0:3], 0 offen
	v_mov_b32_e32 v62, s14
	ds_read_b32 v62, v62
	v_add_u32_e32 v60, -1, v60
	s_add_i32 s14, s14, 4
	v_cmp_eq_u32_e32 vcc, 0, v60
	v_add_u32_e32 v59, 4, v59
	s_or_b64 s[6:7], vcc, s[6:7]
	s_waitcnt vmcnt(0) lgkmcnt(0)
	v_fmac_f32_e32 v58, v61, v62
	s_andn2_b64 exec, exec, s[6:7]
	s_cbranch_execnz .LBB22_53
; %bb.54:
	s_or_b64 exec, exec, s[6:7]
.LBB22_55:
	s_or_b64 exec, exec, s[12:13]
	v_mov_b32_e32 v59, 0
	ds_read_b32 v59, v59 offset:64
	s_waitcnt lgkmcnt(0)
	v_mul_f32_e32 v58, v58, v59
	buffer_store_dword v58, off, s[0:3], 0 offset:64
.LBB22_56:
	s_or_b64 exec, exec, s[8:9]
	buffer_load_dword v58, off, s[0:3], 0 offset:60
	v_cmp_lt_u32_e64 s[6:7], 15, v0
	s_waitcnt vmcnt(0)
	ds_write_b32 v48, v58
	s_waitcnt lgkmcnt(0)
	; wave barrier
	s_waitcnt lgkmcnt(0)
	s_and_saveexec_b64 s[8:9], s[6:7]
	s_cbranch_execz .LBB22_66
; %bb.57:
	s_andn2_b64 vcc, exec, s[10:11]
	s_cbranch_vccnz .LBB22_59
; %bb.58:
	buffer_load_dword v58, v49, s[0:3], 0 offen
	ds_read_b32 v59, v48
	s_waitcnt vmcnt(0) lgkmcnt(0)
	v_mul_f32_e32 v58, v58, v59
	s_cbranch_execz .LBB22_60
	s_branch .LBB22_61
.LBB22_59:
                                        ; implicit-def: $vgpr58
.LBB22_60:
	ds_read_b32 v58, v48
.LBB22_61:
	s_and_saveexec_b64 s[12:13], s[4:5]
	s_cbranch_execz .LBB22_65
; %bb.62:
	v_add_u32_e32 v59, -16, v0
	s_movk_i32 s14, 0xa0
	s_mov_b64 s[4:5], 0
.LBB22_63:                              ; =>This Inner Loop Header: Depth=1
	buffer_load_dword v60, v57, s[0:3], 0 offen
	v_mov_b32_e32 v61, s14
	ds_read_b32 v61, v61
	v_add_u32_e32 v59, -1, v59
	s_add_i32 s14, s14, 4
	v_cmp_eq_u32_e32 vcc, 0, v59
	v_add_u32_e32 v57, 4, v57
	s_or_b64 s[4:5], vcc, s[4:5]
	s_waitcnt vmcnt(0) lgkmcnt(0)
	v_fmac_f32_e32 v58, v60, v61
	s_andn2_b64 exec, exec, s[4:5]
	s_cbranch_execnz .LBB22_63
; %bb.64:
	s_or_b64 exec, exec, s[4:5]
.LBB22_65:
	s_or_b64 exec, exec, s[12:13]
	v_mov_b32_e32 v57, 0
	ds_read_b32 v57, v57 offset:60
	s_waitcnt lgkmcnt(0)
	v_mul_f32_e32 v57, v58, v57
	buffer_store_dword v57, off, s[0:3], 0 offset:60
.LBB22_66:
	s_or_b64 exec, exec, s[8:9]
	buffer_load_dword v57, off, s[0:3], 0 offset:56
	v_cmp_lt_u32_e64 s[4:5], 14, v0
	s_waitcnt vmcnt(0)
	ds_write_b32 v48, v57
	s_waitcnt lgkmcnt(0)
	; wave barrier
	s_waitcnt lgkmcnt(0)
	s_and_saveexec_b64 s[8:9], s[4:5]
	s_cbranch_execz .LBB22_76
; %bb.67:
	s_andn2_b64 vcc, exec, s[10:11]
	s_cbranch_vccnz .LBB22_69
; %bb.68:
	buffer_load_dword v57, v49, s[0:3], 0 offen
	ds_read_b32 v58, v48
	s_waitcnt vmcnt(0) lgkmcnt(0)
	v_mul_f32_e32 v57, v57, v58
	s_cbranch_execz .LBB22_70
	s_branch .LBB22_71
.LBB22_69:
                                        ; implicit-def: $vgpr57
.LBB22_70:
	ds_read_b32 v57, v48
.LBB22_71:
	s_and_saveexec_b64 s[12:13], s[6:7]
	s_cbranch_execz .LBB22_75
; %bb.72:
	v_mov_b32_e32 v58, 0
	v_add_u32_e32 v58, 60, v58
	v_add_u32_e32 v59, -15, v0
	s_movk_i32 s14, 0x9c
	s_mov_b64 s[6:7], 0
.LBB22_73:                              ; =>This Inner Loop Header: Depth=1
	buffer_load_dword v60, v58, s[0:3], 0 offen
	v_mov_b32_e32 v61, s14
	ds_read_b32 v61, v61
	v_add_u32_e32 v59, -1, v59
	s_add_i32 s14, s14, 4
	v_cmp_eq_u32_e32 vcc, 0, v59
	v_add_u32_e32 v58, 4, v58
	s_or_b64 s[6:7], vcc, s[6:7]
	s_waitcnt vmcnt(0) lgkmcnt(0)
	v_fmac_f32_e32 v57, v60, v61
	s_andn2_b64 exec, exec, s[6:7]
	s_cbranch_execnz .LBB22_73
; %bb.74:
	s_or_b64 exec, exec, s[6:7]
.LBB22_75:
	s_or_b64 exec, exec, s[12:13]
	v_mov_b32_e32 v58, 0
	ds_read_b32 v58, v58 offset:56
	s_waitcnt lgkmcnt(0)
	v_mul_f32_e32 v57, v57, v58
	buffer_store_dword v57, off, s[0:3], 0 offset:56
.LBB22_76:
	s_or_b64 exec, exec, s[8:9]
	buffer_load_dword v57, off, s[0:3], 0 offset:52
	v_cmp_lt_u32_e64 s[6:7], 13, v0
	s_waitcnt vmcnt(0)
	ds_write_b32 v48, v57
	s_waitcnt lgkmcnt(0)
	; wave barrier
	s_waitcnt lgkmcnt(0)
	s_and_saveexec_b64 s[8:9], s[6:7]
	s_cbranch_execz .LBB22_86
; %bb.77:
	s_andn2_b64 vcc, exec, s[10:11]
	s_cbranch_vccnz .LBB22_79
; %bb.78:
	buffer_load_dword v57, v49, s[0:3], 0 offen
	ds_read_b32 v58, v48
	s_waitcnt vmcnt(0) lgkmcnt(0)
	v_mul_f32_e32 v57, v57, v58
	s_cbranch_execz .LBB22_80
	s_branch .LBB22_81
.LBB22_79:
                                        ; implicit-def: $vgpr57
.LBB22_80:
	ds_read_b32 v57, v48
.LBB22_81:
	s_and_saveexec_b64 s[12:13], s[4:5]
	s_cbranch_execz .LBB22_85
; %bb.82:
	v_add_u32_e32 v58, -14, v0
	s_movk_i32 s14, 0x98
	s_mov_b64 s[4:5], 0
.LBB22_83:                              ; =>This Inner Loop Header: Depth=1
	buffer_load_dword v59, v56, s[0:3], 0 offen
	v_mov_b32_e32 v60, s14
	ds_read_b32 v60, v60
	v_add_u32_e32 v58, -1, v58
	s_add_i32 s14, s14, 4
	v_cmp_eq_u32_e32 vcc, 0, v58
	v_add_u32_e32 v56, 4, v56
	s_or_b64 s[4:5], vcc, s[4:5]
	s_waitcnt vmcnt(0) lgkmcnt(0)
	v_fmac_f32_e32 v57, v59, v60
	s_andn2_b64 exec, exec, s[4:5]
	s_cbranch_execnz .LBB22_83
; %bb.84:
	s_or_b64 exec, exec, s[4:5]
.LBB22_85:
	s_or_b64 exec, exec, s[12:13]
	v_mov_b32_e32 v56, 0
	ds_read_b32 v56, v56 offset:52
	s_waitcnt lgkmcnt(0)
	v_mul_f32_e32 v56, v57, v56
	buffer_store_dword v56, off, s[0:3], 0 offset:52
.LBB22_86:
	s_or_b64 exec, exec, s[8:9]
	buffer_load_dword v56, off, s[0:3], 0 offset:48
	v_cmp_lt_u32_e64 s[4:5], 12, v0
	s_waitcnt vmcnt(0)
	ds_write_b32 v48, v56
	s_waitcnt lgkmcnt(0)
	; wave barrier
	s_waitcnt lgkmcnt(0)
	s_and_saveexec_b64 s[8:9], s[4:5]
	s_cbranch_execz .LBB22_96
; %bb.87:
	s_andn2_b64 vcc, exec, s[10:11]
	s_cbranch_vccnz .LBB22_89
; %bb.88:
	buffer_load_dword v56, v49, s[0:3], 0 offen
	ds_read_b32 v57, v48
	s_waitcnt vmcnt(0) lgkmcnt(0)
	v_mul_f32_e32 v56, v56, v57
	s_cbranch_execz .LBB22_90
	s_branch .LBB22_91
.LBB22_89:
                                        ; implicit-def: $vgpr56
.LBB22_90:
	ds_read_b32 v56, v48
.LBB22_91:
	s_and_saveexec_b64 s[12:13], s[6:7]
	s_cbranch_execz .LBB22_95
; %bb.92:
	v_mov_b32_e32 v57, 0
	v_add_u32_e32 v57, 52, v57
	v_add_u32_e32 v58, -13, v0
	s_movk_i32 s14, 0x94
	s_mov_b64 s[6:7], 0
.LBB22_93:                              ; =>This Inner Loop Header: Depth=1
	buffer_load_dword v59, v57, s[0:3], 0 offen
	v_mov_b32_e32 v60, s14
	ds_read_b32 v60, v60
	v_add_u32_e32 v58, -1, v58
	s_add_i32 s14, s14, 4
	v_cmp_eq_u32_e32 vcc, 0, v58
	v_add_u32_e32 v57, 4, v57
	s_or_b64 s[6:7], vcc, s[6:7]
	s_waitcnt vmcnt(0) lgkmcnt(0)
	v_fmac_f32_e32 v56, v59, v60
	s_andn2_b64 exec, exec, s[6:7]
	s_cbranch_execnz .LBB22_93
; %bb.94:
	s_or_b64 exec, exec, s[6:7]
.LBB22_95:
	s_or_b64 exec, exec, s[12:13]
	v_mov_b32_e32 v57, 0
	ds_read_b32 v57, v57 offset:48
	s_waitcnt lgkmcnt(0)
	v_mul_f32_e32 v56, v56, v57
	buffer_store_dword v56, off, s[0:3], 0 offset:48
.LBB22_96:
	s_or_b64 exec, exec, s[8:9]
	buffer_load_dword v56, off, s[0:3], 0 offset:44
	v_cmp_lt_u32_e64 s[6:7], 11, v0
	s_waitcnt vmcnt(0)
	ds_write_b32 v48, v56
	s_waitcnt lgkmcnt(0)
	; wave barrier
	s_waitcnt lgkmcnt(0)
	s_and_saveexec_b64 s[8:9], s[6:7]
	s_cbranch_execz .LBB22_106
; %bb.97:
	s_andn2_b64 vcc, exec, s[10:11]
	s_cbranch_vccnz .LBB22_99
; %bb.98:
	buffer_load_dword v56, v49, s[0:3], 0 offen
	ds_read_b32 v57, v48
	s_waitcnt vmcnt(0) lgkmcnt(0)
	v_mul_f32_e32 v56, v56, v57
	s_cbranch_execz .LBB22_100
	s_branch .LBB22_101
.LBB22_99:
                                        ; implicit-def: $vgpr56
.LBB22_100:
	ds_read_b32 v56, v48
.LBB22_101:
	s_and_saveexec_b64 s[12:13], s[4:5]
	s_cbranch_execz .LBB22_105
; %bb.102:
	v_add_u32_e32 v57, -12, v0
	s_movk_i32 s14, 0x90
	s_mov_b64 s[4:5], 0
.LBB22_103:                             ; =>This Inner Loop Header: Depth=1
	buffer_load_dword v58, v55, s[0:3], 0 offen
	v_mov_b32_e32 v59, s14
	ds_read_b32 v59, v59
	v_add_u32_e32 v57, -1, v57
	s_add_i32 s14, s14, 4
	v_cmp_eq_u32_e32 vcc, 0, v57
	v_add_u32_e32 v55, 4, v55
	s_or_b64 s[4:5], vcc, s[4:5]
	s_waitcnt vmcnt(0) lgkmcnt(0)
	v_fmac_f32_e32 v56, v58, v59
	s_andn2_b64 exec, exec, s[4:5]
	s_cbranch_execnz .LBB22_103
; %bb.104:
	s_or_b64 exec, exec, s[4:5]
.LBB22_105:
	s_or_b64 exec, exec, s[12:13]
	v_mov_b32_e32 v55, 0
	ds_read_b32 v55, v55 offset:44
	s_waitcnt lgkmcnt(0)
	v_mul_f32_e32 v55, v56, v55
	buffer_store_dword v55, off, s[0:3], 0 offset:44
.LBB22_106:
	s_or_b64 exec, exec, s[8:9]
	buffer_load_dword v55, off, s[0:3], 0 offset:40
	v_cmp_lt_u32_e64 s[4:5], 10, v0
	s_waitcnt vmcnt(0)
	ds_write_b32 v48, v55
	s_waitcnt lgkmcnt(0)
	; wave barrier
	s_waitcnt lgkmcnt(0)
	s_and_saveexec_b64 s[8:9], s[4:5]
	s_cbranch_execz .LBB22_116
; %bb.107:
	s_andn2_b64 vcc, exec, s[10:11]
	s_cbranch_vccnz .LBB22_109
; %bb.108:
	buffer_load_dword v55, v49, s[0:3], 0 offen
	ds_read_b32 v56, v48
	s_waitcnt vmcnt(0) lgkmcnt(0)
	v_mul_f32_e32 v55, v55, v56
	s_cbranch_execz .LBB22_110
	s_branch .LBB22_111
.LBB22_109:
                                        ; implicit-def: $vgpr55
.LBB22_110:
	ds_read_b32 v55, v48
.LBB22_111:
	s_and_saveexec_b64 s[12:13], s[6:7]
	s_cbranch_execz .LBB22_115
; %bb.112:
	v_mov_b32_e32 v56, 0
	v_add_u32_e32 v56, 44, v56
	v_add_u32_e32 v57, -11, v0
	s_movk_i32 s14, 0x8c
	s_mov_b64 s[6:7], 0
.LBB22_113:                             ; =>This Inner Loop Header: Depth=1
	buffer_load_dword v58, v56, s[0:3], 0 offen
	v_mov_b32_e32 v59, s14
	ds_read_b32 v59, v59
	v_add_u32_e32 v57, -1, v57
	s_add_i32 s14, s14, 4
	v_cmp_eq_u32_e32 vcc, 0, v57
	v_add_u32_e32 v56, 4, v56
	s_or_b64 s[6:7], vcc, s[6:7]
	s_waitcnt vmcnt(0) lgkmcnt(0)
	v_fmac_f32_e32 v55, v58, v59
	s_andn2_b64 exec, exec, s[6:7]
	s_cbranch_execnz .LBB22_113
; %bb.114:
	s_or_b64 exec, exec, s[6:7]
.LBB22_115:
	s_or_b64 exec, exec, s[12:13]
	v_mov_b32_e32 v56, 0
	ds_read_b32 v56, v56 offset:40
	s_waitcnt lgkmcnt(0)
	v_mul_f32_e32 v55, v55, v56
	buffer_store_dword v55, off, s[0:3], 0 offset:40
.LBB22_116:
	s_or_b64 exec, exec, s[8:9]
	buffer_load_dword v55, off, s[0:3], 0 offset:36
	v_cmp_lt_u32_e64 s[6:7], 9, v0
	s_waitcnt vmcnt(0)
	ds_write_b32 v48, v55
	s_waitcnt lgkmcnt(0)
	; wave barrier
	s_waitcnt lgkmcnt(0)
	s_and_saveexec_b64 s[8:9], s[6:7]
	s_cbranch_execz .LBB22_126
; %bb.117:
	s_andn2_b64 vcc, exec, s[10:11]
	s_cbranch_vccnz .LBB22_119
; %bb.118:
	buffer_load_dword v55, v49, s[0:3], 0 offen
	ds_read_b32 v56, v48
	s_waitcnt vmcnt(0) lgkmcnt(0)
	v_mul_f32_e32 v55, v55, v56
	s_cbranch_execz .LBB22_120
	s_branch .LBB22_121
.LBB22_119:
                                        ; implicit-def: $vgpr55
.LBB22_120:
	ds_read_b32 v55, v48
.LBB22_121:
	s_and_saveexec_b64 s[12:13], s[4:5]
	s_cbranch_execz .LBB22_125
; %bb.122:
	v_add_u32_e32 v56, -10, v0
	s_movk_i32 s14, 0x88
	s_mov_b64 s[4:5], 0
.LBB22_123:                             ; =>This Inner Loop Header: Depth=1
	buffer_load_dword v57, v54, s[0:3], 0 offen
	v_mov_b32_e32 v58, s14
	ds_read_b32 v58, v58
	v_add_u32_e32 v56, -1, v56
	s_add_i32 s14, s14, 4
	v_cmp_eq_u32_e32 vcc, 0, v56
	v_add_u32_e32 v54, 4, v54
	s_or_b64 s[4:5], vcc, s[4:5]
	s_waitcnt vmcnt(0) lgkmcnt(0)
	v_fmac_f32_e32 v55, v57, v58
	s_andn2_b64 exec, exec, s[4:5]
	s_cbranch_execnz .LBB22_123
; %bb.124:
	s_or_b64 exec, exec, s[4:5]
.LBB22_125:
	s_or_b64 exec, exec, s[12:13]
	v_mov_b32_e32 v54, 0
	ds_read_b32 v54, v54 offset:36
	s_waitcnt lgkmcnt(0)
	v_mul_f32_e32 v54, v55, v54
	buffer_store_dword v54, off, s[0:3], 0 offset:36
.LBB22_126:
	s_or_b64 exec, exec, s[8:9]
	buffer_load_dword v54, off, s[0:3], 0 offset:32
	v_cmp_lt_u32_e64 s[4:5], 8, v0
	s_waitcnt vmcnt(0)
	ds_write_b32 v48, v54
	s_waitcnt lgkmcnt(0)
	; wave barrier
	s_waitcnt lgkmcnt(0)
	s_and_saveexec_b64 s[8:9], s[4:5]
	s_cbranch_execz .LBB22_136
; %bb.127:
	s_andn2_b64 vcc, exec, s[10:11]
	s_cbranch_vccnz .LBB22_129
; %bb.128:
	buffer_load_dword v54, v49, s[0:3], 0 offen
	ds_read_b32 v55, v48
	s_waitcnt vmcnt(0) lgkmcnt(0)
	v_mul_f32_e32 v54, v54, v55
	s_cbranch_execz .LBB22_130
	s_branch .LBB22_131
.LBB22_129:
                                        ; implicit-def: $vgpr54
.LBB22_130:
	ds_read_b32 v54, v48
.LBB22_131:
	s_and_saveexec_b64 s[12:13], s[6:7]
	s_cbranch_execz .LBB22_135
; %bb.132:
	v_mov_b32_e32 v55, 0
	v_add_u32_e32 v55, 36, v55
	v_add_u32_e32 v56, -9, v0
	s_movk_i32 s14, 0x84
	s_mov_b64 s[6:7], 0
.LBB22_133:                             ; =>This Inner Loop Header: Depth=1
	buffer_load_dword v57, v55, s[0:3], 0 offen
	v_mov_b32_e32 v58, s14
	ds_read_b32 v58, v58
	v_add_u32_e32 v56, -1, v56
	s_add_i32 s14, s14, 4
	v_cmp_eq_u32_e32 vcc, 0, v56
	v_add_u32_e32 v55, 4, v55
	s_or_b64 s[6:7], vcc, s[6:7]
	s_waitcnt vmcnt(0) lgkmcnt(0)
	v_fmac_f32_e32 v54, v57, v58
	s_andn2_b64 exec, exec, s[6:7]
	s_cbranch_execnz .LBB22_133
; %bb.134:
	s_or_b64 exec, exec, s[6:7]
.LBB22_135:
	s_or_b64 exec, exec, s[12:13]
	v_mov_b32_e32 v55, 0
	ds_read_b32 v55, v55 offset:32
	s_waitcnt lgkmcnt(0)
	v_mul_f32_e32 v54, v54, v55
	buffer_store_dword v54, off, s[0:3], 0 offset:32
.LBB22_136:
	s_or_b64 exec, exec, s[8:9]
	buffer_load_dword v54, off, s[0:3], 0 offset:28
	v_cmp_lt_u32_e64 s[6:7], 7, v0
	s_waitcnt vmcnt(0)
	ds_write_b32 v48, v54
	s_waitcnt lgkmcnt(0)
	; wave barrier
	s_waitcnt lgkmcnt(0)
	s_and_saveexec_b64 s[8:9], s[6:7]
	s_cbranch_execz .LBB22_146
; %bb.137:
	s_andn2_b64 vcc, exec, s[10:11]
	s_cbranch_vccnz .LBB22_139
; %bb.138:
	buffer_load_dword v54, v49, s[0:3], 0 offen
	ds_read_b32 v55, v48
	s_waitcnt vmcnt(0) lgkmcnt(0)
	v_mul_f32_e32 v54, v54, v55
	s_cbranch_execz .LBB22_140
	s_branch .LBB22_141
.LBB22_139:
                                        ; implicit-def: $vgpr54
.LBB22_140:
	ds_read_b32 v54, v48
.LBB22_141:
	s_and_saveexec_b64 s[12:13], s[4:5]
	s_cbranch_execz .LBB22_145
; %bb.142:
	v_add_u32_e32 v55, -8, v0
	s_movk_i32 s14, 0x80
	s_mov_b64 s[4:5], 0
.LBB22_143:                             ; =>This Inner Loop Header: Depth=1
	buffer_load_dword v56, v53, s[0:3], 0 offen
	v_mov_b32_e32 v57, s14
	ds_read_b32 v57, v57
	v_add_u32_e32 v55, -1, v55
	s_add_i32 s14, s14, 4
	v_cmp_eq_u32_e32 vcc, 0, v55
	v_add_u32_e32 v53, 4, v53
	s_or_b64 s[4:5], vcc, s[4:5]
	s_waitcnt vmcnt(0) lgkmcnt(0)
	v_fmac_f32_e32 v54, v56, v57
	s_andn2_b64 exec, exec, s[4:5]
	s_cbranch_execnz .LBB22_143
; %bb.144:
	s_or_b64 exec, exec, s[4:5]
.LBB22_145:
	s_or_b64 exec, exec, s[12:13]
	v_mov_b32_e32 v53, 0
	ds_read_b32 v53, v53 offset:28
	s_waitcnt lgkmcnt(0)
	v_mul_f32_e32 v53, v54, v53
	buffer_store_dword v53, off, s[0:3], 0 offset:28
.LBB22_146:
	s_or_b64 exec, exec, s[8:9]
	buffer_load_dword v53, off, s[0:3], 0 offset:24
	v_cmp_lt_u32_e64 s[4:5], 6, v0
	s_waitcnt vmcnt(0)
	ds_write_b32 v48, v53
	s_waitcnt lgkmcnt(0)
	; wave barrier
	s_waitcnt lgkmcnt(0)
	s_and_saveexec_b64 s[8:9], s[4:5]
	s_cbranch_execz .LBB22_156
; %bb.147:
	s_andn2_b64 vcc, exec, s[10:11]
	s_cbranch_vccnz .LBB22_149
; %bb.148:
	buffer_load_dword v53, v49, s[0:3], 0 offen
	ds_read_b32 v54, v48
	s_waitcnt vmcnt(0) lgkmcnt(0)
	v_mul_f32_e32 v53, v53, v54
	s_cbranch_execz .LBB22_150
	s_branch .LBB22_151
.LBB22_149:
                                        ; implicit-def: $vgpr53
.LBB22_150:
	ds_read_b32 v53, v48
.LBB22_151:
	s_and_saveexec_b64 s[12:13], s[6:7]
	s_cbranch_execz .LBB22_155
; %bb.152:
	v_mov_b32_e32 v54, 0
	v_add_u32_e32 v54, 28, v54
	v_add_u32_e32 v55, -7, v0
	s_movk_i32 s14, 0x7c
	s_mov_b64 s[6:7], 0
.LBB22_153:                             ; =>This Inner Loop Header: Depth=1
	buffer_load_dword v56, v54, s[0:3], 0 offen
	v_mov_b32_e32 v57, s14
	ds_read_b32 v57, v57
	v_add_u32_e32 v55, -1, v55
	s_add_i32 s14, s14, 4
	v_cmp_eq_u32_e32 vcc, 0, v55
	v_add_u32_e32 v54, 4, v54
	s_or_b64 s[6:7], vcc, s[6:7]
	s_waitcnt vmcnt(0) lgkmcnt(0)
	v_fmac_f32_e32 v53, v56, v57
	s_andn2_b64 exec, exec, s[6:7]
	s_cbranch_execnz .LBB22_153
; %bb.154:
	s_or_b64 exec, exec, s[6:7]
.LBB22_155:
	s_or_b64 exec, exec, s[12:13]
	v_mov_b32_e32 v54, 0
	ds_read_b32 v54, v54 offset:24
	s_waitcnt lgkmcnt(0)
	v_mul_f32_e32 v53, v53, v54
	buffer_store_dword v53, off, s[0:3], 0 offset:24
.LBB22_156:
	s_or_b64 exec, exec, s[8:9]
	buffer_load_dword v53, off, s[0:3], 0 offset:20
	v_cmp_lt_u32_e64 s[6:7], 5, v0
	s_waitcnt vmcnt(0)
	ds_write_b32 v48, v53
	s_waitcnt lgkmcnt(0)
	; wave barrier
	s_waitcnt lgkmcnt(0)
	s_and_saveexec_b64 s[8:9], s[6:7]
	s_cbranch_execz .LBB22_166
; %bb.157:
	s_andn2_b64 vcc, exec, s[10:11]
	s_cbranch_vccnz .LBB22_159
; %bb.158:
	buffer_load_dword v53, v49, s[0:3], 0 offen
	ds_read_b32 v54, v48
	s_waitcnt vmcnt(0) lgkmcnt(0)
	v_mul_f32_e32 v53, v53, v54
	s_cbranch_execz .LBB22_160
	s_branch .LBB22_161
.LBB22_159:
                                        ; implicit-def: $vgpr53
.LBB22_160:
	ds_read_b32 v53, v48
.LBB22_161:
	s_and_saveexec_b64 s[12:13], s[4:5]
	s_cbranch_execz .LBB22_165
; %bb.162:
	v_add_u32_e32 v54, -6, v0
	s_movk_i32 s14, 0x78
	s_mov_b64 s[4:5], 0
.LBB22_163:                             ; =>This Inner Loop Header: Depth=1
	buffer_load_dword v55, v52, s[0:3], 0 offen
	v_mov_b32_e32 v56, s14
	ds_read_b32 v56, v56
	v_add_u32_e32 v54, -1, v54
	s_add_i32 s14, s14, 4
	v_cmp_eq_u32_e32 vcc, 0, v54
	v_add_u32_e32 v52, 4, v52
	s_or_b64 s[4:5], vcc, s[4:5]
	s_waitcnt vmcnt(0) lgkmcnt(0)
	v_fmac_f32_e32 v53, v55, v56
	s_andn2_b64 exec, exec, s[4:5]
	s_cbranch_execnz .LBB22_163
; %bb.164:
	s_or_b64 exec, exec, s[4:5]
.LBB22_165:
	s_or_b64 exec, exec, s[12:13]
	v_mov_b32_e32 v52, 0
	ds_read_b32 v52, v52 offset:20
	s_waitcnt lgkmcnt(0)
	v_mul_f32_e32 v52, v53, v52
	buffer_store_dword v52, off, s[0:3], 0 offset:20
.LBB22_166:
	s_or_b64 exec, exec, s[8:9]
	buffer_load_dword v52, off, s[0:3], 0 offset:16
	v_cmp_lt_u32_e64 s[4:5], 4, v0
	s_waitcnt vmcnt(0)
	ds_write_b32 v48, v52
	s_waitcnt lgkmcnt(0)
	; wave barrier
	s_waitcnt lgkmcnt(0)
	s_and_saveexec_b64 s[8:9], s[4:5]
	s_cbranch_execz .LBB22_176
; %bb.167:
	s_andn2_b64 vcc, exec, s[10:11]
	s_cbranch_vccnz .LBB22_169
; %bb.168:
	buffer_load_dword v52, v49, s[0:3], 0 offen
	ds_read_b32 v53, v48
	s_waitcnt vmcnt(0) lgkmcnt(0)
	v_mul_f32_e32 v52, v52, v53
	s_cbranch_execz .LBB22_170
	s_branch .LBB22_171
.LBB22_169:
                                        ; implicit-def: $vgpr52
.LBB22_170:
	ds_read_b32 v52, v48
.LBB22_171:
	s_and_saveexec_b64 s[12:13], s[6:7]
	s_cbranch_execz .LBB22_175
; %bb.172:
	v_mov_b32_e32 v53, 0
	v_add_u32_e32 v53, 20, v53
	v_add_u32_e32 v54, -5, v0
	s_movk_i32 s14, 0x74
	s_mov_b64 s[6:7], 0
.LBB22_173:                             ; =>This Inner Loop Header: Depth=1
	buffer_load_dword v55, v53, s[0:3], 0 offen
	v_mov_b32_e32 v56, s14
	ds_read_b32 v56, v56
	v_add_u32_e32 v54, -1, v54
	s_add_i32 s14, s14, 4
	v_cmp_eq_u32_e32 vcc, 0, v54
	v_add_u32_e32 v53, 4, v53
	s_or_b64 s[6:7], vcc, s[6:7]
	s_waitcnt vmcnt(0) lgkmcnt(0)
	v_fmac_f32_e32 v52, v55, v56
	s_andn2_b64 exec, exec, s[6:7]
	s_cbranch_execnz .LBB22_173
; %bb.174:
	s_or_b64 exec, exec, s[6:7]
.LBB22_175:
	s_or_b64 exec, exec, s[12:13]
	v_mov_b32_e32 v53, 0
	ds_read_b32 v53, v53 offset:16
	s_waitcnt lgkmcnt(0)
	v_mul_f32_e32 v52, v52, v53
	buffer_store_dword v52, off, s[0:3], 0 offset:16
.LBB22_176:
	s_or_b64 exec, exec, s[8:9]
	buffer_load_dword v52, off, s[0:3], 0 offset:12
	v_cmp_lt_u32_e64 s[6:7], 3, v0
	s_waitcnt vmcnt(0)
	ds_write_b32 v48, v52
	s_waitcnt lgkmcnt(0)
	; wave barrier
	s_waitcnt lgkmcnt(0)
	s_and_saveexec_b64 s[8:9], s[6:7]
	s_cbranch_execz .LBB22_186
; %bb.177:
	s_andn2_b64 vcc, exec, s[10:11]
	s_cbranch_vccnz .LBB22_179
; %bb.178:
	buffer_load_dword v52, v49, s[0:3], 0 offen
	ds_read_b32 v53, v48
	s_waitcnt vmcnt(0) lgkmcnt(0)
	v_mul_f32_e32 v52, v52, v53
	s_cbranch_execz .LBB22_180
	s_branch .LBB22_181
.LBB22_179:
                                        ; implicit-def: $vgpr52
.LBB22_180:
	ds_read_b32 v52, v48
.LBB22_181:
	s_and_saveexec_b64 s[12:13], s[4:5]
	s_cbranch_execz .LBB22_185
; %bb.182:
	v_add_u32_e32 v53, -4, v0
	s_movk_i32 s14, 0x70
	s_mov_b64 s[4:5], 0
.LBB22_183:                             ; =>This Inner Loop Header: Depth=1
	buffer_load_dword v54, v51, s[0:3], 0 offen
	v_mov_b32_e32 v55, s14
	ds_read_b32 v55, v55
	v_add_u32_e32 v53, -1, v53
	s_add_i32 s14, s14, 4
	v_cmp_eq_u32_e32 vcc, 0, v53
	v_add_u32_e32 v51, 4, v51
	s_or_b64 s[4:5], vcc, s[4:5]
	s_waitcnt vmcnt(0) lgkmcnt(0)
	v_fmac_f32_e32 v52, v54, v55
	s_andn2_b64 exec, exec, s[4:5]
	s_cbranch_execnz .LBB22_183
; %bb.184:
	s_or_b64 exec, exec, s[4:5]
.LBB22_185:
	s_or_b64 exec, exec, s[12:13]
	v_mov_b32_e32 v51, 0
	ds_read_b32 v51, v51 offset:12
	s_waitcnt lgkmcnt(0)
	v_mul_f32_e32 v51, v52, v51
	buffer_store_dword v51, off, s[0:3], 0 offset:12
.LBB22_186:
	s_or_b64 exec, exec, s[8:9]
	buffer_load_dword v51, off, s[0:3], 0 offset:8
	v_cmp_lt_u32_e64 s[4:5], 2, v0
	s_waitcnt vmcnt(0)
	ds_write_b32 v48, v51
	s_waitcnt lgkmcnt(0)
	; wave barrier
	s_waitcnt lgkmcnt(0)
	s_and_saveexec_b64 s[8:9], s[4:5]
	s_cbranch_execz .LBB22_196
; %bb.187:
	s_andn2_b64 vcc, exec, s[10:11]
	s_cbranch_vccnz .LBB22_189
; %bb.188:
	buffer_load_dword v51, v49, s[0:3], 0 offen
	ds_read_b32 v52, v48
	s_waitcnt vmcnt(0) lgkmcnt(0)
	v_mul_f32_e32 v51, v51, v52
	s_cbranch_execz .LBB22_190
	s_branch .LBB22_191
.LBB22_189:
                                        ; implicit-def: $vgpr51
.LBB22_190:
	ds_read_b32 v51, v48
.LBB22_191:
	s_and_saveexec_b64 s[12:13], s[6:7]
	s_cbranch_execz .LBB22_195
; %bb.192:
	v_mov_b32_e32 v52, 0
	v_or_b32_e32 v52, 12, v52
	v_add_u32_e32 v53, -3, v0
	s_movk_i32 s14, 0x6c
	s_mov_b64 s[6:7], 0
.LBB22_193:                             ; =>This Inner Loop Header: Depth=1
	buffer_load_dword v54, v52, s[0:3], 0 offen
	v_mov_b32_e32 v55, s14
	ds_read_b32 v55, v55
	v_add_u32_e32 v53, -1, v53
	s_add_i32 s14, s14, 4
	v_cmp_eq_u32_e32 vcc, 0, v53
	v_add_u32_e32 v52, 4, v52
	s_or_b64 s[6:7], vcc, s[6:7]
	s_waitcnt vmcnt(0) lgkmcnt(0)
	v_fmac_f32_e32 v51, v54, v55
	s_andn2_b64 exec, exec, s[6:7]
	s_cbranch_execnz .LBB22_193
; %bb.194:
	s_or_b64 exec, exec, s[6:7]
.LBB22_195:
	s_or_b64 exec, exec, s[12:13]
	v_mov_b32_e32 v52, 0
	ds_read_b32 v52, v52 offset:8
	s_waitcnt lgkmcnt(0)
	v_mul_f32_e32 v51, v51, v52
	buffer_store_dword v51, off, s[0:3], 0 offset:8
.LBB22_196:
	s_or_b64 exec, exec, s[8:9]
	buffer_load_dword v51, off, s[0:3], 0 offset:4
	v_cmp_lt_u32_e64 s[6:7], 1, v0
	s_waitcnt vmcnt(0)
	ds_write_b32 v48, v51
	s_waitcnt lgkmcnt(0)
	; wave barrier
	s_waitcnt lgkmcnt(0)
	s_and_saveexec_b64 s[8:9], s[6:7]
	s_cbranch_execz .LBB22_206
; %bb.197:
	s_andn2_b64 vcc, exec, s[10:11]
	s_cbranch_vccnz .LBB22_199
; %bb.198:
	buffer_load_dword v51, v49, s[0:3], 0 offen
	ds_read_b32 v52, v48
	s_waitcnt vmcnt(0) lgkmcnt(0)
	v_mul_f32_e32 v51, v51, v52
	s_cbranch_execz .LBB22_200
	s_branch .LBB22_201
.LBB22_199:
                                        ; implicit-def: $vgpr51
.LBB22_200:
	ds_read_b32 v51, v48
.LBB22_201:
	s_and_saveexec_b64 s[12:13], s[4:5]
	s_cbranch_execz .LBB22_205
; %bb.202:
	v_add_u32_e32 v52, -2, v0
	s_movk_i32 s14, 0x68
	s_mov_b64 s[4:5], 0
.LBB22_203:                             ; =>This Inner Loop Header: Depth=1
	buffer_load_dword v53, v50, s[0:3], 0 offen
	v_mov_b32_e32 v54, s14
	ds_read_b32 v54, v54
	v_add_u32_e32 v52, -1, v52
	s_add_i32 s14, s14, 4
	v_cmp_eq_u32_e32 vcc, 0, v52
	v_add_u32_e32 v50, 4, v50
	s_or_b64 s[4:5], vcc, s[4:5]
	s_waitcnt vmcnt(0) lgkmcnt(0)
	v_fmac_f32_e32 v51, v53, v54
	s_andn2_b64 exec, exec, s[4:5]
	s_cbranch_execnz .LBB22_203
; %bb.204:
	s_or_b64 exec, exec, s[4:5]
.LBB22_205:
	s_or_b64 exec, exec, s[12:13]
	v_mov_b32_e32 v50, 0
	ds_read_b32 v50, v50 offset:4
	s_waitcnt lgkmcnt(0)
	v_mul_f32_e32 v50, v51, v50
	buffer_store_dword v50, off, s[0:3], 0 offset:4
.LBB22_206:
	s_or_b64 exec, exec, s[8:9]
	buffer_load_dword v50, off, s[0:3], 0
	v_cmp_ne_u32_e32 vcc, 0, v0
	s_waitcnt vmcnt(0)
	ds_write_b32 v48, v50
	s_waitcnt lgkmcnt(0)
	; wave barrier
	s_waitcnt lgkmcnt(0)
	s_and_saveexec_b64 s[4:5], vcc
	s_cbranch_execz .LBB22_216
; %bb.207:
	s_andn2_b64 vcc, exec, s[10:11]
	s_cbranch_vccnz .LBB22_209
; %bb.208:
	buffer_load_dword v50, v49, s[0:3], 0 offen
	ds_read_b32 v51, v48
	s_waitcnt vmcnt(0) lgkmcnt(0)
	v_mul_f32_e32 v50, v50, v51
	s_cbranch_execz .LBB22_210
	s_branch .LBB22_211
.LBB22_209:
                                        ; implicit-def: $vgpr50
.LBB22_210:
	ds_read_b32 v50, v48
.LBB22_211:
	s_and_saveexec_b64 s[8:9], s[6:7]
	s_cbranch_execz .LBB22_215
; %bb.212:
	v_mov_b32_e32 v51, 0
	v_or_b32_e32 v51, 4, v51
	v_add_u32_e32 v52, -1, v0
	s_movk_i32 s12, 0x64
	s_mov_b64 s[6:7], 0
.LBB22_213:                             ; =>This Inner Loop Header: Depth=1
	buffer_load_dword v53, v51, s[0:3], 0 offen
	v_mov_b32_e32 v54, s12
	ds_read_b32 v54, v54
	v_add_u32_e32 v52, -1, v52
	s_add_i32 s12, s12, 4
	v_cmp_eq_u32_e32 vcc, 0, v52
	v_add_u32_e32 v51, 4, v51
	s_or_b64 s[6:7], vcc, s[6:7]
	s_waitcnt vmcnt(0) lgkmcnt(0)
	v_fmac_f32_e32 v50, v53, v54
	s_andn2_b64 exec, exec, s[6:7]
	s_cbranch_execnz .LBB22_213
; %bb.214:
	s_or_b64 exec, exec, s[6:7]
.LBB22_215:
	s_or_b64 exec, exec, s[8:9]
	v_mov_b32_e32 v51, 0
	ds_read_b32 v51, v51
	s_waitcnt lgkmcnt(0)
	v_mul_f32_e32 v50, v50, v51
	buffer_store_dword v50, off, s[0:3], 0
.LBB22_216:
	s_or_b64 exec, exec, s[4:5]
	s_mov_b64 s[4:5], 0
.LBB22_217:
	s_and_b64 vcc, exec, s[4:5]
	s_cbranch_vccz .LBB22_431
; %bb.218:
	buffer_load_dword v50, off, s[0:3], 0 offset:4
	v_cmp_eq_u32_e64 s[6:7], 0, v0
	s_waitcnt vmcnt(0)
	ds_write_b32 v48, v50
	s_waitcnt lgkmcnt(0)
	; wave barrier
	s_waitcnt lgkmcnt(0)
	s_and_saveexec_b64 s[4:5], s[6:7]
	s_cbranch_execz .LBB22_224
; %bb.219:
	s_and_b64 vcc, exec, s[10:11]
	s_cbranch_vccz .LBB22_221
; %bb.220:
	buffer_load_dword v50, v49, s[0:3], 0 offen
	ds_read_b32 v51, v48
	s_waitcnt vmcnt(0) lgkmcnt(0)
	v_mul_f32_e32 v50, v50, v51
	s_cbranch_execz .LBB22_222
	s_branch .LBB22_223
.LBB22_221:
                                        ; implicit-def: $vgpr50
.LBB22_222:
	ds_read_b32 v50, v48
.LBB22_223:
	v_mov_b32_e32 v51, 0
	ds_read_b32 v51, v51 offset:4
	s_waitcnt lgkmcnt(0)
	v_mul_f32_e32 v50, v50, v51
	buffer_store_dword v50, off, s[0:3], 0 offset:4
.LBB22_224:
	s_or_b64 exec, exec, s[4:5]
	buffer_load_dword v50, off, s[0:3], 0 offset:8
	v_cndmask_b32_e64 v51, 0, 1, s[10:11]
	v_cmp_gt_u32_e32 vcc, 2, v0
	v_cmp_ne_u32_e64 s[4:5], 1, v51
	s_waitcnt vmcnt(0)
	ds_write_b32 v48, v50
	s_waitcnt lgkmcnt(0)
	; wave barrier
	s_waitcnt lgkmcnt(0)
	s_and_saveexec_b64 s[8:9], vcc
	s_cbranch_execz .LBB22_232
; %bb.225:
	s_and_b64 vcc, exec, s[4:5]
	s_cbranch_vccnz .LBB22_227
; %bb.226:
	buffer_load_dword v50, v49, s[0:3], 0 offen
	ds_read_b32 v51, v48
	s_waitcnt vmcnt(0) lgkmcnt(0)
	v_mul_f32_e32 v50, v50, v51
	s_cbranch_execz .LBB22_228
	s_branch .LBB22_229
.LBB22_227:
                                        ; implicit-def: $vgpr50
.LBB22_228:
	ds_read_b32 v50, v48
.LBB22_229:
	s_and_saveexec_b64 s[10:11], s[6:7]
	s_cbranch_execz .LBB22_231
; %bb.230:
	buffer_load_dword v51, v49, s[0:3], 0 offen offset:4
	ds_read_b32 v52, v48 offset:4
	s_waitcnt vmcnt(0) lgkmcnt(0)
	v_fmac_f32_e32 v50, v51, v52
.LBB22_231:
	s_or_b64 exec, exec, s[10:11]
	v_mov_b32_e32 v51, 0
	ds_read_b32 v51, v51 offset:8
	s_waitcnt lgkmcnt(0)
	v_mul_f32_e32 v50, v50, v51
	buffer_store_dword v50, off, s[0:3], 0 offset:8
.LBB22_232:
	s_or_b64 exec, exec, s[8:9]
	buffer_load_dword v50, off, s[0:3], 0 offset:12
	v_cmp_gt_u32_e32 vcc, 3, v0
	s_waitcnt vmcnt(0)
	ds_write_b32 v48, v50
	s_waitcnt lgkmcnt(0)
	; wave barrier
	s_waitcnt lgkmcnt(0)
	s_and_saveexec_b64 s[8:9], vcc
	s_cbranch_execz .LBB22_240
; %bb.233:
	s_and_b64 vcc, exec, s[4:5]
	s_cbranch_vccnz .LBB22_235
; %bb.234:
	buffer_load_dword v50, v49, s[0:3], 0 offen
	ds_read_b32 v51, v48
	s_waitcnt vmcnt(0) lgkmcnt(0)
	v_mul_f32_e32 v50, v50, v51
	s_cbranch_execz .LBB22_236
	s_branch .LBB22_237
.LBB22_235:
                                        ; implicit-def: $vgpr50
.LBB22_236:
	ds_read_b32 v50, v48
.LBB22_237:
	v_cmp_ne_u32_e32 vcc, 2, v0
	s_and_saveexec_b64 s[10:11], vcc
	s_cbranch_execz .LBB22_239
; %bb.238:
	buffer_load_dword v51, v49, s[0:3], 0 offen offset:4
	buffer_load_dword v52, off, s[0:3], 0 offset:8
	v_mov_b32_e32 v53, 0
	ds_read_b32 v54, v48 offset:4
	ds_read_b32 v53, v53 offset:104
	s_waitcnt vmcnt(1) lgkmcnt(1)
	v_fmac_f32_e32 v50, v51, v54
	s_waitcnt vmcnt(0) lgkmcnt(0)
	v_fma_f32 v51, v52, v53, v50
	v_cndmask_b32_e64 v50, v50, v51, s[6:7]
.LBB22_239:
	s_or_b64 exec, exec, s[10:11]
	v_mov_b32_e32 v51, 0
	ds_read_b32 v51, v51 offset:12
	s_waitcnt lgkmcnt(0)
	v_mul_f32_e32 v50, v50, v51
	buffer_store_dword v50, off, s[0:3], 0 offset:12
.LBB22_240:
	s_or_b64 exec, exec, s[8:9]
	buffer_load_dword v50, off, s[0:3], 0 offset:16
	v_cmp_gt_u32_e32 vcc, 4, v0
	s_waitcnt vmcnt(0)
	ds_write_b32 v48, v50
	s_waitcnt lgkmcnt(0)
	; wave barrier
	s_waitcnt lgkmcnt(0)
	s_and_saveexec_b64 s[6:7], vcc
	s_cbranch_execz .LBB22_250
; %bb.241:
	s_and_b64 vcc, exec, s[4:5]
	s_cbranch_vccnz .LBB22_243
; %bb.242:
	buffer_load_dword v50, v49, s[0:3], 0 offen
	ds_read_b32 v51, v48
	s_waitcnt vmcnt(0) lgkmcnt(0)
	v_mul_f32_e32 v50, v50, v51
	s_cbranch_execz .LBB22_244
	s_branch .LBB22_245
.LBB22_243:
                                        ; implicit-def: $vgpr50
.LBB22_244:
	ds_read_b32 v50, v48
.LBB22_245:
	v_cmp_ne_u32_e32 vcc, 3, v0
	s_and_saveexec_b64 s[8:9], vcc
	s_cbranch_execz .LBB22_249
; %bb.246:
	v_mov_b32_e32 v52, 0
	v_add_u32_e32 v51, 0x64, v1
	v_add3_u32 v52, v1, v52, 4
	s_mov_b64 s[10:11], 0
	v_mov_b32_e32 v53, v0
.LBB22_247:                             ; =>This Inner Loop Header: Depth=1
	buffer_load_dword v54, v52, s[0:3], 0 offen
	ds_read_b32 v55, v51
	v_add_u32_e32 v53, 1, v53
	v_cmp_lt_u32_e32 vcc, 2, v53
	v_add_u32_e32 v51, 4, v51
	v_add_u32_e32 v52, 4, v52
	s_or_b64 s[10:11], vcc, s[10:11]
	s_waitcnt vmcnt(0) lgkmcnt(0)
	v_fmac_f32_e32 v50, v54, v55
	s_andn2_b64 exec, exec, s[10:11]
	s_cbranch_execnz .LBB22_247
; %bb.248:
	s_or_b64 exec, exec, s[10:11]
.LBB22_249:
	s_or_b64 exec, exec, s[8:9]
	v_mov_b32_e32 v51, 0
	ds_read_b32 v51, v51 offset:16
	s_waitcnt lgkmcnt(0)
	v_mul_f32_e32 v50, v50, v51
	buffer_store_dword v50, off, s[0:3], 0 offset:16
.LBB22_250:
	s_or_b64 exec, exec, s[6:7]
	buffer_load_dword v50, off, s[0:3], 0 offset:20
	v_cmp_gt_u32_e32 vcc, 5, v0
	s_waitcnt vmcnt(0)
	ds_write_b32 v48, v50
	s_waitcnt lgkmcnt(0)
	; wave barrier
	s_waitcnt lgkmcnt(0)
	s_and_saveexec_b64 s[6:7], vcc
	s_cbranch_execz .LBB22_260
; %bb.251:
	s_and_b64 vcc, exec, s[4:5]
	s_cbranch_vccnz .LBB22_253
; %bb.252:
	buffer_load_dword v50, v49, s[0:3], 0 offen
	ds_read_b32 v51, v48
	s_waitcnt vmcnt(0) lgkmcnt(0)
	v_mul_f32_e32 v50, v50, v51
	s_cbranch_execz .LBB22_254
	s_branch .LBB22_255
.LBB22_253:
                                        ; implicit-def: $vgpr50
.LBB22_254:
	ds_read_b32 v50, v48
.LBB22_255:
	v_cmp_ne_u32_e32 vcc, 4, v0
	s_and_saveexec_b64 s[8:9], vcc
	s_cbranch_execz .LBB22_259
; %bb.256:
	v_mov_b32_e32 v52, 0
	v_add_u32_e32 v51, 0x64, v1
	v_add3_u32 v52, v1, v52, 4
	s_mov_b64 s[10:11], 0
	v_mov_b32_e32 v53, v0
.LBB22_257:                             ; =>This Inner Loop Header: Depth=1
	buffer_load_dword v54, v52, s[0:3], 0 offen
	ds_read_b32 v55, v51
	v_add_u32_e32 v53, 1, v53
	v_cmp_lt_u32_e32 vcc, 3, v53
	v_add_u32_e32 v51, 4, v51
	v_add_u32_e32 v52, 4, v52
	s_or_b64 s[10:11], vcc, s[10:11]
	s_waitcnt vmcnt(0) lgkmcnt(0)
	v_fmac_f32_e32 v50, v54, v55
	s_andn2_b64 exec, exec, s[10:11]
	s_cbranch_execnz .LBB22_257
; %bb.258:
	s_or_b64 exec, exec, s[10:11]
.LBB22_259:
	s_or_b64 exec, exec, s[8:9]
	v_mov_b32_e32 v51, 0
	ds_read_b32 v51, v51 offset:20
	s_waitcnt lgkmcnt(0)
	v_mul_f32_e32 v50, v50, v51
	buffer_store_dword v50, off, s[0:3], 0 offset:20
.LBB22_260:
	;; [unrolled: 56-line block ×17, first 2 shown]
	s_or_b64 exec, exec, s[6:7]
	buffer_load_dword v50, off, s[0:3], 0 offset:84
	v_cmp_gt_u32_e64 s[6:7], 21, v0
	s_waitcnt vmcnt(0)
	ds_write_b32 v48, v50
	s_waitcnt lgkmcnt(0)
	; wave barrier
	s_waitcnt lgkmcnt(0)
	s_and_saveexec_b64 s[8:9], s[6:7]
	s_cbranch_execz .LBB22_420
; %bb.411:
	s_and_b64 vcc, exec, s[4:5]
	s_cbranch_vccnz .LBB22_413
; %bb.412:
	buffer_load_dword v50, v49, s[0:3], 0 offen
	ds_read_b32 v51, v48
	s_waitcnt vmcnt(0) lgkmcnt(0)
	v_mul_f32_e32 v50, v50, v51
	s_cbranch_execz .LBB22_414
	s_branch .LBB22_415
.LBB22_413:
                                        ; implicit-def: $vgpr50
.LBB22_414:
	ds_read_b32 v50, v48
.LBB22_415:
	v_cmp_ne_u32_e32 vcc, 20, v0
	s_and_saveexec_b64 s[10:11], vcc
	s_cbranch_execz .LBB22_419
; %bb.416:
	v_mov_b32_e32 v52, 0
	v_add_u32_e32 v51, 0x64, v1
	v_add3_u32 v52, v1, v52, 4
	s_mov_b64 s[12:13], 0
	v_mov_b32_e32 v53, v0
.LBB22_417:                             ; =>This Inner Loop Header: Depth=1
	buffer_load_dword v54, v52, s[0:3], 0 offen
	ds_read_b32 v55, v51
	v_add_u32_e32 v53, 1, v53
	v_cmp_lt_u32_e32 vcc, 19, v53
	v_add_u32_e32 v51, 4, v51
	v_add_u32_e32 v52, 4, v52
	s_or_b64 s[12:13], vcc, s[12:13]
	s_waitcnt vmcnt(0) lgkmcnt(0)
	v_fmac_f32_e32 v50, v54, v55
	s_andn2_b64 exec, exec, s[12:13]
	s_cbranch_execnz .LBB22_417
; %bb.418:
	s_or_b64 exec, exec, s[12:13]
.LBB22_419:
	s_or_b64 exec, exec, s[10:11]
	v_mov_b32_e32 v51, 0
	ds_read_b32 v51, v51 offset:84
	s_waitcnt lgkmcnt(0)
	v_mul_f32_e32 v50, v50, v51
	buffer_store_dword v50, off, s[0:3], 0 offset:84
.LBB22_420:
	s_or_b64 exec, exec, s[8:9]
	buffer_load_dword v50, off, s[0:3], 0 offset:88
	v_cmp_ne_u32_e32 vcc, 22, v0
	s_waitcnt vmcnt(0)
	ds_write_b32 v48, v50
	s_waitcnt lgkmcnt(0)
	; wave barrier
	s_waitcnt lgkmcnt(0)
	s_and_saveexec_b64 s[8:9], vcc
	s_cbranch_execz .LBB22_430
; %bb.421:
	s_and_b64 vcc, exec, s[4:5]
	s_cbranch_vccnz .LBB22_423
; %bb.422:
	buffer_load_dword v49, v49, s[0:3], 0 offen
	ds_read_b32 v50, v48
	s_waitcnt vmcnt(0) lgkmcnt(0)
	v_mul_f32_e32 v49, v49, v50
	s_cbranch_execz .LBB22_424
	s_branch .LBB22_425
.LBB22_423:
                                        ; implicit-def: $vgpr49
.LBB22_424:
	ds_read_b32 v49, v48
.LBB22_425:
	s_and_saveexec_b64 s[4:5], s[6:7]
	s_cbranch_execz .LBB22_429
; %bb.426:
	v_mov_b32_e32 v50, 0
	v_add_u32_e32 v48, 0x64, v1
	v_add3_u32 v1, v1, v50, 4
	s_mov_b64 s[6:7], 0
.LBB22_427:                             ; =>This Inner Loop Header: Depth=1
	buffer_load_dword v50, v1, s[0:3], 0 offen
	ds_read_b32 v51, v48
	v_add_u32_e32 v0, 1, v0
	v_cmp_lt_u32_e32 vcc, 20, v0
	v_add_u32_e32 v48, 4, v48
	v_add_u32_e32 v1, 4, v1
	s_or_b64 s[6:7], vcc, s[6:7]
	s_waitcnt vmcnt(0) lgkmcnt(0)
	v_fmac_f32_e32 v49, v50, v51
	s_andn2_b64 exec, exec, s[6:7]
	s_cbranch_execnz .LBB22_427
; %bb.428:
	s_or_b64 exec, exec, s[6:7]
.LBB22_429:
	s_or_b64 exec, exec, s[4:5]
	v_mov_b32_e32 v0, 0
	ds_read_b32 v0, v0 offset:88
	s_waitcnt lgkmcnt(0)
	v_mul_f32_e32 v0, v49, v0
	buffer_store_dword v0, off, s[0:3], 0 offset:88
.LBB22_430:
	s_or_b64 exec, exec, s[8:9]
.LBB22_431:
	buffer_load_dword v0, off, s[0:3], 0
	buffer_load_dword v1, off, s[0:3], 0 offset:4
	buffer_load_dword v48, off, s[0:3], 0 offset:8
	;; [unrolled: 1-line block ×15, first 2 shown]
	s_waitcnt vmcnt(15)
	global_store_dword v[4:5], v0, off
	buffer_load_dword v0, off, s[0:3], 0 offset:64
	s_nop 0
	buffer_load_dword v4, off, s[0:3], 0 offset:68
	buffer_load_dword v5, off, s[0:3], 0 offset:72
	;; [unrolled: 1-line block ×6, first 2 shown]
	s_waitcnt vmcnt(22)
	global_store_dword v[2:3], v1, off
	s_waitcnt vmcnt(22)
	global_store_dword v[6:7], v48, off
	;; [unrolled: 2-line block ×22, first 2 shown]
.LBB22_432:
	s_endpgm
	.section	.rodata,"a",@progbits
	.p2align	6, 0x0
	.amdhsa_kernel _ZN9rocsolver6v33100L18trti2_kernel_smallILi23EfPfEEv13rocblas_fill_17rocblas_diagonal_T1_iil
		.amdhsa_group_segment_fixed_size 188
		.amdhsa_private_segment_fixed_size 96
		.amdhsa_kernarg_size 32
		.amdhsa_user_sgpr_count 8
		.amdhsa_user_sgpr_private_segment_buffer 1
		.amdhsa_user_sgpr_dispatch_ptr 0
		.amdhsa_user_sgpr_queue_ptr 0
		.amdhsa_user_sgpr_kernarg_segment_ptr 1
		.amdhsa_user_sgpr_dispatch_id 0
		.amdhsa_user_sgpr_flat_scratch_init 1
		.amdhsa_user_sgpr_kernarg_preload_length 0
		.amdhsa_user_sgpr_kernarg_preload_offset 0
		.amdhsa_user_sgpr_private_segment_size 0
		.amdhsa_uses_dynamic_stack 0
		.amdhsa_system_sgpr_private_segment_wavefront_offset 1
		.amdhsa_system_sgpr_workgroup_id_x 1
		.amdhsa_system_sgpr_workgroup_id_y 0
		.amdhsa_system_sgpr_workgroup_id_z 0
		.amdhsa_system_sgpr_workgroup_info 0
		.amdhsa_system_vgpr_workitem_id 0
		.amdhsa_next_free_vgpr 69
		.amdhsa_next_free_sgpr 20
		.amdhsa_accum_offset 72
		.amdhsa_reserve_vcc 1
		.amdhsa_reserve_flat_scratch 0
		.amdhsa_float_round_mode_32 0
		.amdhsa_float_round_mode_16_64 0
		.amdhsa_float_denorm_mode_32 3
		.amdhsa_float_denorm_mode_16_64 3
		.amdhsa_dx10_clamp 1
		.amdhsa_ieee_mode 1
		.amdhsa_fp16_overflow 0
		.amdhsa_tg_split 0
		.amdhsa_exception_fp_ieee_invalid_op 0
		.amdhsa_exception_fp_denorm_src 0
		.amdhsa_exception_fp_ieee_div_zero 0
		.amdhsa_exception_fp_ieee_overflow 0
		.amdhsa_exception_fp_ieee_underflow 0
		.amdhsa_exception_fp_ieee_inexact 0
		.amdhsa_exception_int_div_zero 0
	.end_amdhsa_kernel
	.section	.text._ZN9rocsolver6v33100L18trti2_kernel_smallILi23EfPfEEv13rocblas_fill_17rocblas_diagonal_T1_iil,"axG",@progbits,_ZN9rocsolver6v33100L18trti2_kernel_smallILi23EfPfEEv13rocblas_fill_17rocblas_diagonal_T1_iil,comdat
.Lfunc_end22:
	.size	_ZN9rocsolver6v33100L18trti2_kernel_smallILi23EfPfEEv13rocblas_fill_17rocblas_diagonal_T1_iil, .Lfunc_end22-_ZN9rocsolver6v33100L18trti2_kernel_smallILi23EfPfEEv13rocblas_fill_17rocblas_diagonal_T1_iil
                                        ; -- End function
	.section	.AMDGPU.csdata,"",@progbits
; Kernel info:
; codeLenInByte = 11048
; NumSgprs: 24
; NumVgprs: 69
; NumAgprs: 0
; TotalNumVgprs: 69
; ScratchSize: 96
; MemoryBound: 0
; FloatMode: 240
; IeeeMode: 1
; LDSByteSize: 188 bytes/workgroup (compile time only)
; SGPRBlocks: 2
; VGPRBlocks: 8
; NumSGPRsForWavesPerEU: 24
; NumVGPRsForWavesPerEU: 69
; AccumOffset: 72
; Occupancy: 7
; WaveLimiterHint : 0
; COMPUTE_PGM_RSRC2:SCRATCH_EN: 1
; COMPUTE_PGM_RSRC2:USER_SGPR: 8
; COMPUTE_PGM_RSRC2:TRAP_HANDLER: 0
; COMPUTE_PGM_RSRC2:TGID_X_EN: 1
; COMPUTE_PGM_RSRC2:TGID_Y_EN: 0
; COMPUTE_PGM_RSRC2:TGID_Z_EN: 0
; COMPUTE_PGM_RSRC2:TIDIG_COMP_CNT: 0
; COMPUTE_PGM_RSRC3_GFX90A:ACCUM_OFFSET: 17
; COMPUTE_PGM_RSRC3_GFX90A:TG_SPLIT: 0
	.section	.text._ZN9rocsolver6v33100L18trti2_kernel_smallILi24EfPfEEv13rocblas_fill_17rocblas_diagonal_T1_iil,"axG",@progbits,_ZN9rocsolver6v33100L18trti2_kernel_smallILi24EfPfEEv13rocblas_fill_17rocblas_diagonal_T1_iil,comdat
	.globl	_ZN9rocsolver6v33100L18trti2_kernel_smallILi24EfPfEEv13rocblas_fill_17rocblas_diagonal_T1_iil ; -- Begin function _ZN9rocsolver6v33100L18trti2_kernel_smallILi24EfPfEEv13rocblas_fill_17rocblas_diagonal_T1_iil
	.p2align	8
	.type	_ZN9rocsolver6v33100L18trti2_kernel_smallILi24EfPfEEv13rocblas_fill_17rocblas_diagonal_T1_iil,@function
_ZN9rocsolver6v33100L18trti2_kernel_smallILi24EfPfEEv13rocblas_fill_17rocblas_diagonal_T1_iil: ; @_ZN9rocsolver6v33100L18trti2_kernel_smallILi24EfPfEEv13rocblas_fill_17rocblas_diagonal_T1_iil
; %bb.0:
	s_add_u32 s0, s0, s9
	s_addc_u32 s1, s1, 0
	v_cmp_gt_u32_e32 vcc, 24, v0
	s_and_saveexec_b64 s[6:7], vcc
	s_cbranch_execz .LBB23_452
; %bb.1:
	s_load_dwordx8 s[12:19], s[4:5], 0x0
	s_ashr_i32 s6, s8, 31
	v_lshlrev_b32_e32 v1, 2, v0
	s_waitcnt lgkmcnt(0)
	s_mul_i32 s7, s8, s19
	s_mul_hi_u32 s9, s8, s18
	s_add_i32 s7, s9, s7
	s_mul_i32 s6, s6, s18
	s_add_i32 s7, s7, s6
	s_mul_i32 s6, s8, s18
	s_ashr_i32 s5, s16, 31
	s_lshl_b64 s[6:7], s[6:7], 2
	s_mov_b32 s4, s16
	s_add_u32 s6, s14, s6
	s_addc_u32 s7, s15, s7
	s_lshl_b64 s[4:5], s[4:5], 2
	s_add_u32 s4, s6, s4
	s_addc_u32 s5, s7, s5
	v_mov_b32_e32 v3, s5
	v_add_co_u32_e32 v2, vcc, s4, v1
	s_ashr_i32 s7, s17, 31
	s_mov_b32 s6, s17
	v_addc_co_u32_e32 v3, vcc, 0, v3, vcc
	s_lshl_b64 s[6:7], s[6:7], 2
	v_add_co_u32_e32 v4, vcc, s6, v2
	s_add_i32 s6, s17, s17
	v_add_u32_e32 v8, s6, v0
	v_add_u32_e32 v10, s17, v8
	v_mov_b32_e32 v5, s7
	v_ashrrev_i32_e32 v11, 31, v10
	v_addc_co_u32_e32 v5, vcc, v3, v5, vcc
	v_lshlrev_b64 v[6:7], 2, v[10:11]
	v_mov_b32_e32 v9, s5
	v_add_co_u32_e32 v6, vcc, s4, v6
	v_addc_co_u32_e32 v7, vcc, v9, v7, vcc
	v_ashrrev_i32_e32 v9, 31, v8
	global_load_dword v23, v1, s[4:5]
	global_load_dword v25, v[4:5], off
	global_load_dword v27, v[6:7], off
	v_lshlrev_b64 v[8:9], 2, v[8:9]
	v_mov_b32_e32 v11, s5
	v_add_co_u32_e32 v8, vcc, s4, v8
	v_add_u32_e32 v10, s17, v10
	v_addc_co_u32_e32 v9, vcc, v11, v9, vcc
	v_ashrrev_i32_e32 v11, 31, v10
	v_add_u32_e32 v12, s17, v10
	v_lshlrev_b64 v[10:11], 2, v[10:11]
	v_mov_b32_e32 v15, s5
	v_ashrrev_i32_e32 v13, 31, v12
	v_add_co_u32_e32 v10, vcc, s4, v10
	v_add_u32_e32 v14, s17, v12
	v_addc_co_u32_e32 v11, vcc, v15, v11, vcc
	v_lshlrev_b64 v[12:13], 2, v[12:13]
	v_mov_b32_e32 v17, s5
	v_add_co_u32_e32 v12, vcc, s4, v12
	v_ashrrev_i32_e32 v15, 31, v14
	v_add_u32_e32 v16, s17, v14
	v_addc_co_u32_e32 v13, vcc, v17, v13, vcc
	v_lshlrev_b64 v[14:15], 2, v[14:15]
	v_add_co_u32_e32 v14, vcc, s4, v14
	v_addc_co_u32_e32 v15, vcc, v17, v15, vcc
	v_ashrrev_i32_e32 v17, 31, v16
	v_add_u32_e32 v20, s17, v16
	v_lshlrev_b64 v[16:17], 2, v[16:17]
	v_mov_b32_e32 v18, s5
	v_add_co_u32_e32 v16, vcc, s4, v16
	v_ashrrev_i32_e32 v21, 31, v20
	v_addc_co_u32_e32 v17, vcc, v18, v17, vcc
	v_lshlrev_b64 v[18:19], 2, v[20:21]
	v_mov_b32_e32 v21, s5
	v_add_co_u32_e32 v18, vcc, s4, v18
	v_addc_co_u32_e32 v19, vcc, v21, v19, vcc
	global_load_dword v33, v[10:11], off
	global_load_dword v35, v[12:13], off
	;; [unrolled: 1-line block ×6, first 2 shown]
	v_add_u32_e32 v22, s17, v20
	v_add_u32_e32 v24, s17, v22
	;; [unrolled: 1-line block ×15, first 2 shown]
	v_ashrrev_i32_e32 v21, 31, v20
	v_lshlrev_b64 v[20:21], 2, v[20:21]
	v_mov_b32_e32 v29, s5
	v_add_co_u32_e32 v20, vcc, s4, v20
	v_addc_co_u32_e32 v21, vcc, v29, v21, vcc
	global_load_dword v53, v[20:21], off
	s_waitcnt vmcnt(9)
	buffer_store_dword v23, off, s[0:3], 0
	s_waitcnt vmcnt(9)
	buffer_store_dword v25, off, s[0:3], 0 offset:4
	s_waitcnt vmcnt(9)
	buffer_store_dword v27, off, s[0:3], 0 offset:12
	v_ashrrev_i32_e32 v23, 31, v22
	v_lshlrev_b64 v[22:23], 2, v[22:23]
	v_mov_b32_e32 v25, s5
	v_add_co_u32_e32 v22, vcc, s4, v22
	v_addc_co_u32_e32 v23, vcc, v25, v23, vcc
	v_ashrrev_i32_e32 v25, 31, v24
	v_lshlrev_b64 v[24:25], 2, v[24:25]
	v_mov_b32_e32 v27, s5
	v_add_co_u32_e32 v24, vcc, s4, v24
	v_addc_co_u32_e32 v25, vcc, v27, v25, vcc
	v_ashrrev_i32_e32 v27, 31, v26
	v_lshlrev_b64 v[26:27], 2, v[26:27]
	v_add_co_u32_e32 v26, vcc, s4, v26
	v_addc_co_u32_e32 v27, vcc, v29, v27, vcc
	v_ashrrev_i32_e32 v29, 31, v28
	v_lshlrev_b64 v[28:29], 2, v[28:29]
	v_mov_b32_e32 v31, s5
	v_add_co_u32_e32 v28, vcc, s4, v28
	v_addc_co_u32_e32 v29, vcc, v31, v29, vcc
	v_ashrrev_i32_e32 v31, 31, v30
	v_lshlrev_b64 v[30:31], 2, v[30:31]
	v_mov_b32_e32 v39, s5
	v_add_co_u32_e32 v30, vcc, s4, v30
	s_waitcnt vmcnt(4)
	buffer_store_dword v37, off, s[0:3], 0 offset:8
	buffer_store_dword v33, off, s[0:3], 0 offset:16
	;; [unrolled: 1-line block ×3, first 2 shown]
	v_ashrrev_i32_e32 v33, 31, v32
	v_addc_co_u32_e32 v31, vcc, v39, v31, vcc
	v_lshlrev_b64 v[32:33], 2, v[32:33]
	v_mov_b32_e32 v35, s5
	v_add_co_u32_e32 v32, vcc, s4, v32
	v_addc_co_u32_e32 v33, vcc, v35, v33, vcc
	v_ashrrev_i32_e32 v35, 31, v34
	v_lshlrev_b64 v[34:35], 2, v[34:35]
	v_mov_b32_e32 v37, s5
	v_add_co_u32_e32 v34, vcc, s4, v34
	v_addc_co_u32_e32 v35, vcc, v37, v35, vcc
	v_ashrrev_i32_e32 v37, 31, v36
	v_lshlrev_b64 v[36:37], 2, v[36:37]
	v_add_co_u32_e32 v36, vcc, s4, v36
	v_addc_co_u32_e32 v37, vcc, v39, v37, vcc
	v_ashrrev_i32_e32 v39, 31, v38
	v_lshlrev_b64 v[38:39], 2, v[38:39]
	v_mov_b32_e32 v41, s5
	v_add_co_u32_e32 v38, vcc, s4, v38
	v_addc_co_u32_e32 v39, vcc, v41, v39, vcc
	v_ashrrev_i32_e32 v41, 31, v40
	v_lshlrev_b64 v[40:41], 2, v[40:41]
	v_mov_b32_e32 v43, s5
	;; [unrolled: 5-line block ×6, first 2 shown]
	v_add_co_u32_e32 v48, vcc, s4, v48
	global_load_dword v54, v[22:23], off
	global_load_dword v55, v[24:25], off
	;; [unrolled: 1-line block ×8, first 2 shown]
	v_addc_co_u32_e32 v49, vcc, v61, v49, vcc
	global_load_dword v63, v[38:39], off
	global_load_dword v64, v[40:41], off
	;; [unrolled: 1-line block ×6, first 2 shown]
	s_cmpk_lg_i32 s13, 0x84
	buffer_store_dword v50, off, s[0:3], 0 offset:24
	buffer_store_dword v51, off, s[0:3], 0 offset:28
	buffer_store_dword v52, off, s[0:3], 0 offset:32
	s_waitcnt vmcnt(16)
	buffer_store_dword v54, off, s[0:3], 0 offset:36
	s_waitcnt vmcnt(15)
	buffer_store_dword v56, off, s[0:3], 0 offset:44
	buffer_store_dword v55, off, s[0:3], 0 offset:40
	s_waitcnt vmcnt(16)
	buffer_store_dword v57, off, s[0:3], 0 offset:48
	s_waitcnt vmcnt(16)
	;; [unrolled: 2-line block ×3, first 2 shown]
	buffer_store_dword v59, off, s[0:3], 0 offset:56
	v_mov_b32_e32 v61, 0
	s_cselect_b64 s[8:9], -1, 0
	s_cmpk_eq_i32 s13, 0x84
	v_mov_b32_e32 v50, -1.0
	s_waitcnt vmcnt(16)
	buffer_store_dword v60, off, s[0:3], 0 offset:60
	s_waitcnt vmcnt(16)
	buffer_store_dword v62, off, s[0:3], 0 offset:64
	;; [unrolled: 2-line block ×7, first 2 shown]
	buffer_store_dword v53, off, s[0:3], 0 offset:92
	buffer_store_dword v66, off, s[0:3], 0 offset:88
	s_cbranch_scc1 .LBB23_3
; %bb.2:
	v_lshl_add_u32 v50, v0, 2, v61
	buffer_load_dword v51, v50, s[0:3], 0 offen
	s_waitcnt vmcnt(0)
	v_div_scale_f32 v52, s[4:5], v51, v51, 1.0
	v_rcp_f32_e32 v53, v52
	v_div_scale_f32 v54, vcc, 1.0, v51, 1.0
	v_fma_f32 v55, -v52, v53, 1.0
	v_fmac_f32_e32 v53, v55, v53
	v_mul_f32_e32 v55, v54, v53
	v_fma_f32 v56, -v52, v55, v54
	v_fmac_f32_e32 v55, v56, v53
	v_fma_f32 v52, -v52, v55, v54
	v_div_fmas_f32 v52, v52, v53, v55
	v_div_fixup_f32 v51, v52, v51, 1.0
	buffer_store_dword v51, v50, s[0:3], 0 offen
	v_xor_b32_e32 v50, 0x80000000, v51
.LBB23_3:
	ds_write_b32 v1, v50
	s_cmpk_eq_i32 s12, 0x79
	v_add_u32_e32 v50, 0x60, v1
	v_add_u32_e32 v51, 0, v1
	s_mov_b64 s[4:5], -1
	s_cbranch_scc1 .LBB23_227
; %bb.4:
	buffer_load_dword v52, off, s[0:3], 0 offset:88
	v_cmp_eq_u32_e64 s[4:5], 23, v0
	s_waitcnt vmcnt(0)
	ds_write_b32 v50, v52
	s_waitcnt lgkmcnt(0)
	; wave barrier
	s_waitcnt lgkmcnt(0)
	s_and_saveexec_b64 s[6:7], s[4:5]
	s_cbranch_execz .LBB23_10
; %bb.5:
	s_and_b64 vcc, exec, s[8:9]
	s_cbranch_vccz .LBB23_7
; %bb.6:
	buffer_load_dword v52, v51, s[0:3], 0 offen
	ds_read_b32 v53, v50
	s_waitcnt vmcnt(0) lgkmcnt(0)
	v_mul_f32_e32 v52, v52, v53
	s_cbranch_execz .LBB23_8
	s_branch .LBB23_9
.LBB23_7:
                                        ; implicit-def: $vgpr52
.LBB23_8:
	ds_read_b32 v52, v50
.LBB23_9:
	v_mov_b32_e32 v53, 0
	ds_read_b32 v53, v53 offset:88
	s_waitcnt lgkmcnt(0)
	v_mul_f32_e32 v52, v52, v53
	buffer_store_dword v52, off, s[0:3], 0 offset:88
.LBB23_10:
	s_or_b64 exec, exec, s[6:7]
	buffer_load_dword v62, off, s[0:3], 0 offset:84
	v_or_b32_e32 v52, 8, v61
	v_add_u32_e32 v53, 16, v61
	v_add_u32_e32 v54, 24, v61
	;; [unrolled: 1-line block ×9, first 2 shown]
	v_cmp_lt_u32_e64 s[6:7], 21, v0
	s_waitcnt vmcnt(0)
	ds_write_b32 v50, v62
	s_waitcnt lgkmcnt(0)
	; wave barrier
	s_waitcnt lgkmcnt(0)
	s_and_saveexec_b64 s[10:11], s[6:7]
	s_cbranch_execz .LBB23_16
; %bb.11:
	s_andn2_b64 vcc, exec, s[8:9]
	s_cbranch_vccnz .LBB23_13
; %bb.12:
	buffer_load_dword v62, v51, s[0:3], 0 offen
	ds_read_b32 v63, v50
	s_waitcnt vmcnt(0) lgkmcnt(0)
	v_mul_f32_e32 v62, v62, v63
	s_cbranch_execz .LBB23_14
	s_branch .LBB23_15
.LBB23_13:
                                        ; implicit-def: $vgpr62
.LBB23_14:
	ds_read_b32 v62, v50
.LBB23_15:
	buffer_load_dword v63, off, s[0:3], 0 offset:88
	v_mov_b32_e32 v64, 0
	ds_read2_b32 v[64:65], v64 offset0:21 offset1:46
	s_waitcnt vmcnt(0) lgkmcnt(0)
	v_fma_f32 v63, v63, v65, v62
	v_cndmask_b32_e64 v62, v62, v63, s[4:5]
	v_mul_f32_e32 v62, v62, v64
	buffer_store_dword v62, off, s[0:3], 0 offset:84
.LBB23_16:
	s_or_b64 exec, exec, s[10:11]
	buffer_load_dword v62, off, s[0:3], 0 offset:80
	v_cmp_lt_u32_e64 s[4:5], 20, v0
	s_waitcnt vmcnt(0)
	ds_write_b32 v50, v62
	s_waitcnt lgkmcnt(0)
	; wave barrier
	s_waitcnt lgkmcnt(0)
	s_and_saveexec_b64 s[10:11], s[4:5]
	s_cbranch_execz .LBB23_26
; %bb.17:
	s_andn2_b64 vcc, exec, s[8:9]
	s_cbranch_vccnz .LBB23_19
; %bb.18:
	buffer_load_dword v62, v51, s[0:3], 0 offen
	ds_read_b32 v63, v50
	s_waitcnt vmcnt(0) lgkmcnt(0)
	v_mul_f32_e32 v62, v62, v63
	s_cbranch_execz .LBB23_20
	s_branch .LBB23_21
.LBB23_19:
                                        ; implicit-def: $vgpr62
.LBB23_20:
	ds_read_b32 v62, v50
.LBB23_21:
	s_and_saveexec_b64 s[12:13], s[6:7]
	s_cbranch_execz .LBB23_25
; %bb.22:
	v_mov_b32_e32 v63, 0
	v_add_u32_e32 v63, 0x54, v63
	v_subrev_u32_e32 v64, 21, v0
	s_movk_i32 s14, 0xb4
	s_mov_b64 s[6:7], 0
.LBB23_23:                              ; =>This Inner Loop Header: Depth=1
	buffer_load_dword v65, v63, s[0:3], 0 offen
	v_mov_b32_e32 v66, s14
	ds_read_b32 v66, v66
	v_add_u32_e32 v64, -1, v64
	s_add_i32 s14, s14, 4
	v_cmp_eq_u32_e32 vcc, 0, v64
	v_add_u32_e32 v63, 4, v63
	s_or_b64 s[6:7], vcc, s[6:7]
	s_waitcnt vmcnt(0) lgkmcnt(0)
	v_fmac_f32_e32 v62, v65, v66
	s_andn2_b64 exec, exec, s[6:7]
	s_cbranch_execnz .LBB23_23
; %bb.24:
	s_or_b64 exec, exec, s[6:7]
.LBB23_25:
	s_or_b64 exec, exec, s[12:13]
	v_mov_b32_e32 v63, 0
	ds_read_b32 v63, v63 offset:80
	s_waitcnt lgkmcnt(0)
	v_mul_f32_e32 v62, v62, v63
	buffer_store_dword v62, off, s[0:3], 0 offset:80
.LBB23_26:
	s_or_b64 exec, exec, s[10:11]
	buffer_load_dword v62, off, s[0:3], 0 offset:76
	v_cmp_lt_u32_e64 s[6:7], 19, v0
	s_waitcnt vmcnt(0)
	ds_write_b32 v50, v62
	s_waitcnt lgkmcnt(0)
	; wave barrier
	s_waitcnt lgkmcnt(0)
	s_and_saveexec_b64 s[10:11], s[6:7]
	s_cbranch_execz .LBB23_36
; %bb.27:
	s_andn2_b64 vcc, exec, s[8:9]
	s_cbranch_vccnz .LBB23_29
; %bb.28:
	buffer_load_dword v62, v51, s[0:3], 0 offen
	ds_read_b32 v63, v50
	s_waitcnt vmcnt(0) lgkmcnt(0)
	v_mul_f32_e32 v62, v62, v63
	s_cbranch_execz .LBB23_30
	s_branch .LBB23_31
.LBB23_29:
                                        ; implicit-def: $vgpr62
.LBB23_30:
	ds_read_b32 v62, v50
.LBB23_31:
	s_and_saveexec_b64 s[12:13], s[4:5]
	s_cbranch_execz .LBB23_35
; %bb.32:
	v_subrev_u32_e32 v63, 20, v0
	s_movk_i32 s14, 0xb0
	s_mov_b64 s[4:5], 0
.LBB23_33:                              ; =>This Inner Loop Header: Depth=1
	buffer_load_dword v64, v61, s[0:3], 0 offen
	v_mov_b32_e32 v65, s14
	ds_read_b32 v65, v65
	v_add_u32_e32 v63, -1, v63
	s_add_i32 s14, s14, 4
	v_cmp_eq_u32_e32 vcc, 0, v63
	v_add_u32_e32 v61, 4, v61
	s_or_b64 s[4:5], vcc, s[4:5]
	s_waitcnt vmcnt(0) lgkmcnt(0)
	v_fmac_f32_e32 v62, v64, v65
	s_andn2_b64 exec, exec, s[4:5]
	s_cbranch_execnz .LBB23_33
; %bb.34:
	s_or_b64 exec, exec, s[4:5]
.LBB23_35:
	s_or_b64 exec, exec, s[12:13]
	v_mov_b32_e32 v61, 0
	ds_read_b32 v61, v61 offset:76
	s_waitcnt lgkmcnt(0)
	v_mul_f32_e32 v61, v62, v61
	buffer_store_dword v61, off, s[0:3], 0 offset:76
.LBB23_36:
	s_or_b64 exec, exec, s[10:11]
	buffer_load_dword v61, off, s[0:3], 0 offset:72
	v_cmp_lt_u32_e64 s[4:5], 18, v0
	s_waitcnt vmcnt(0)
	ds_write_b32 v50, v61
	s_waitcnt lgkmcnt(0)
	; wave barrier
	s_waitcnt lgkmcnt(0)
	s_and_saveexec_b64 s[10:11], s[4:5]
	s_cbranch_execz .LBB23_46
; %bb.37:
	s_andn2_b64 vcc, exec, s[8:9]
	s_cbranch_vccnz .LBB23_39
; %bb.38:
	buffer_load_dword v61, v51, s[0:3], 0 offen
	ds_read_b32 v62, v50
	s_waitcnt vmcnt(0) lgkmcnt(0)
	v_mul_f32_e32 v61, v61, v62
	s_cbranch_execz .LBB23_40
	s_branch .LBB23_41
.LBB23_39:
                                        ; implicit-def: $vgpr61
.LBB23_40:
	ds_read_b32 v61, v50
.LBB23_41:
	s_and_saveexec_b64 s[12:13], s[6:7]
	s_cbranch_execz .LBB23_45
; %bb.42:
	v_mov_b32_e32 v62, 0
	v_add_u32_e32 v62, 0x4c, v62
	v_subrev_u32_e32 v63, 19, v0
	s_movk_i32 s14, 0xac
	s_mov_b64 s[6:7], 0
.LBB23_43:                              ; =>This Inner Loop Header: Depth=1
	buffer_load_dword v64, v62, s[0:3], 0 offen
	v_mov_b32_e32 v65, s14
	ds_read_b32 v65, v65
	v_add_u32_e32 v63, -1, v63
	s_add_i32 s14, s14, 4
	v_cmp_eq_u32_e32 vcc, 0, v63
	v_add_u32_e32 v62, 4, v62
	s_or_b64 s[6:7], vcc, s[6:7]
	s_waitcnt vmcnt(0) lgkmcnt(0)
	v_fmac_f32_e32 v61, v64, v65
	s_andn2_b64 exec, exec, s[6:7]
	s_cbranch_execnz .LBB23_43
; %bb.44:
	s_or_b64 exec, exec, s[6:7]
.LBB23_45:
	s_or_b64 exec, exec, s[12:13]
	v_mov_b32_e32 v62, 0
	ds_read_b32 v62, v62 offset:72
	s_waitcnt lgkmcnt(0)
	v_mul_f32_e32 v61, v61, v62
	buffer_store_dword v61, off, s[0:3], 0 offset:72
.LBB23_46:
	s_or_b64 exec, exec, s[10:11]
	buffer_load_dword v61, off, s[0:3], 0 offset:68
	v_cmp_lt_u32_e64 s[6:7], 17, v0
	s_waitcnt vmcnt(0)
	ds_write_b32 v50, v61
	s_waitcnt lgkmcnt(0)
	; wave barrier
	s_waitcnt lgkmcnt(0)
	s_and_saveexec_b64 s[10:11], s[6:7]
	s_cbranch_execz .LBB23_56
; %bb.47:
	s_andn2_b64 vcc, exec, s[8:9]
	s_cbranch_vccnz .LBB23_49
; %bb.48:
	buffer_load_dword v61, v51, s[0:3], 0 offen
	ds_read_b32 v62, v50
	s_waitcnt vmcnt(0) lgkmcnt(0)
	v_mul_f32_e32 v61, v61, v62
	s_cbranch_execz .LBB23_50
	s_branch .LBB23_51
.LBB23_49:
                                        ; implicit-def: $vgpr61
.LBB23_50:
	ds_read_b32 v61, v50
.LBB23_51:
	s_and_saveexec_b64 s[12:13], s[4:5]
	s_cbranch_execz .LBB23_55
; %bb.52:
	v_subrev_u32_e32 v62, 18, v0
	s_movk_i32 s14, 0xa8
	s_mov_b64 s[4:5], 0
.LBB23_53:                              ; =>This Inner Loop Header: Depth=1
	buffer_load_dword v63, v60, s[0:3], 0 offen
	v_mov_b32_e32 v64, s14
	ds_read_b32 v64, v64
	v_add_u32_e32 v62, -1, v62
	s_add_i32 s14, s14, 4
	v_cmp_eq_u32_e32 vcc, 0, v62
	v_add_u32_e32 v60, 4, v60
	s_or_b64 s[4:5], vcc, s[4:5]
	s_waitcnt vmcnt(0) lgkmcnt(0)
	v_fmac_f32_e32 v61, v63, v64
	s_andn2_b64 exec, exec, s[4:5]
	s_cbranch_execnz .LBB23_53
; %bb.54:
	s_or_b64 exec, exec, s[4:5]
.LBB23_55:
	s_or_b64 exec, exec, s[12:13]
	v_mov_b32_e32 v60, 0
	ds_read_b32 v60, v60 offset:68
	s_waitcnt lgkmcnt(0)
	v_mul_f32_e32 v60, v61, v60
	buffer_store_dword v60, off, s[0:3], 0 offset:68
.LBB23_56:
	s_or_b64 exec, exec, s[10:11]
	buffer_load_dword v60, off, s[0:3], 0 offset:64
	v_cmp_lt_u32_e64 s[4:5], 16, v0
	s_waitcnt vmcnt(0)
	ds_write_b32 v50, v60
	s_waitcnt lgkmcnt(0)
	; wave barrier
	s_waitcnt lgkmcnt(0)
	s_and_saveexec_b64 s[10:11], s[4:5]
	s_cbranch_execz .LBB23_66
; %bb.57:
	s_andn2_b64 vcc, exec, s[8:9]
	s_cbranch_vccnz .LBB23_59
; %bb.58:
	buffer_load_dword v60, v51, s[0:3], 0 offen
	ds_read_b32 v61, v50
	s_waitcnt vmcnt(0) lgkmcnt(0)
	v_mul_f32_e32 v60, v60, v61
	s_cbranch_execz .LBB23_60
	s_branch .LBB23_61
.LBB23_59:
                                        ; implicit-def: $vgpr60
.LBB23_60:
	ds_read_b32 v60, v50
.LBB23_61:
	s_and_saveexec_b64 s[12:13], s[6:7]
	s_cbranch_execz .LBB23_65
; %bb.62:
	v_mov_b32_e32 v61, 0
	v_add_u32_e32 v61, 0x44, v61
	v_subrev_u32_e32 v62, 17, v0
	s_movk_i32 s14, 0xa4
	s_mov_b64 s[6:7], 0
.LBB23_63:                              ; =>This Inner Loop Header: Depth=1
	buffer_load_dword v63, v61, s[0:3], 0 offen
	v_mov_b32_e32 v64, s14
	ds_read_b32 v64, v64
	v_add_u32_e32 v62, -1, v62
	s_add_i32 s14, s14, 4
	v_cmp_eq_u32_e32 vcc, 0, v62
	v_add_u32_e32 v61, 4, v61
	s_or_b64 s[6:7], vcc, s[6:7]
	s_waitcnt vmcnt(0) lgkmcnt(0)
	v_fmac_f32_e32 v60, v63, v64
	s_andn2_b64 exec, exec, s[6:7]
	s_cbranch_execnz .LBB23_63
; %bb.64:
	s_or_b64 exec, exec, s[6:7]
.LBB23_65:
	s_or_b64 exec, exec, s[12:13]
	v_mov_b32_e32 v61, 0
	ds_read_b32 v61, v61 offset:64
	s_waitcnt lgkmcnt(0)
	v_mul_f32_e32 v60, v60, v61
	buffer_store_dword v60, off, s[0:3], 0 offset:64
.LBB23_66:
	s_or_b64 exec, exec, s[10:11]
	buffer_load_dword v60, off, s[0:3], 0 offset:60
	v_cmp_lt_u32_e64 s[6:7], 15, v0
	s_waitcnt vmcnt(0)
	ds_write_b32 v50, v60
	s_waitcnt lgkmcnt(0)
	; wave barrier
	s_waitcnt lgkmcnt(0)
	s_and_saveexec_b64 s[10:11], s[6:7]
	s_cbranch_execz .LBB23_76
; %bb.67:
	s_andn2_b64 vcc, exec, s[8:9]
	s_cbranch_vccnz .LBB23_69
; %bb.68:
	buffer_load_dword v60, v51, s[0:3], 0 offen
	ds_read_b32 v61, v50
	s_waitcnt vmcnt(0) lgkmcnt(0)
	v_mul_f32_e32 v60, v60, v61
	s_cbranch_execz .LBB23_70
	s_branch .LBB23_71
.LBB23_69:
                                        ; implicit-def: $vgpr60
.LBB23_70:
	ds_read_b32 v60, v50
.LBB23_71:
	s_and_saveexec_b64 s[12:13], s[4:5]
	s_cbranch_execz .LBB23_75
; %bb.72:
	v_add_u32_e32 v61, -16, v0
	s_movk_i32 s14, 0xa0
	s_mov_b64 s[4:5], 0
.LBB23_73:                              ; =>This Inner Loop Header: Depth=1
	buffer_load_dword v62, v59, s[0:3], 0 offen
	v_mov_b32_e32 v63, s14
	ds_read_b32 v63, v63
	v_add_u32_e32 v61, -1, v61
	s_add_i32 s14, s14, 4
	v_cmp_eq_u32_e32 vcc, 0, v61
	v_add_u32_e32 v59, 4, v59
	s_or_b64 s[4:5], vcc, s[4:5]
	s_waitcnt vmcnt(0) lgkmcnt(0)
	v_fmac_f32_e32 v60, v62, v63
	s_andn2_b64 exec, exec, s[4:5]
	s_cbranch_execnz .LBB23_73
; %bb.74:
	s_or_b64 exec, exec, s[4:5]
.LBB23_75:
	s_or_b64 exec, exec, s[12:13]
	v_mov_b32_e32 v59, 0
	ds_read_b32 v59, v59 offset:60
	s_waitcnt lgkmcnt(0)
	v_mul_f32_e32 v59, v60, v59
	buffer_store_dword v59, off, s[0:3], 0 offset:60
.LBB23_76:
	s_or_b64 exec, exec, s[10:11]
	buffer_load_dword v59, off, s[0:3], 0 offset:56
	v_cmp_lt_u32_e64 s[4:5], 14, v0
	s_waitcnt vmcnt(0)
	ds_write_b32 v50, v59
	s_waitcnt lgkmcnt(0)
	; wave barrier
	s_waitcnt lgkmcnt(0)
	s_and_saveexec_b64 s[10:11], s[4:5]
	s_cbranch_execz .LBB23_86
; %bb.77:
	s_andn2_b64 vcc, exec, s[8:9]
	s_cbranch_vccnz .LBB23_79
; %bb.78:
	buffer_load_dword v59, v51, s[0:3], 0 offen
	ds_read_b32 v60, v50
	s_waitcnt vmcnt(0) lgkmcnt(0)
	v_mul_f32_e32 v59, v59, v60
	s_cbranch_execz .LBB23_80
	s_branch .LBB23_81
.LBB23_79:
                                        ; implicit-def: $vgpr59
.LBB23_80:
	ds_read_b32 v59, v50
.LBB23_81:
	s_and_saveexec_b64 s[12:13], s[6:7]
	s_cbranch_execz .LBB23_85
; %bb.82:
	v_mov_b32_e32 v60, 0
	v_add_u32_e32 v60, 60, v60
	v_add_u32_e32 v61, -15, v0
	s_movk_i32 s14, 0x9c
	s_mov_b64 s[6:7], 0
.LBB23_83:                              ; =>This Inner Loop Header: Depth=1
	buffer_load_dword v62, v60, s[0:3], 0 offen
	v_mov_b32_e32 v63, s14
	ds_read_b32 v63, v63
	v_add_u32_e32 v61, -1, v61
	s_add_i32 s14, s14, 4
	v_cmp_eq_u32_e32 vcc, 0, v61
	v_add_u32_e32 v60, 4, v60
	s_or_b64 s[6:7], vcc, s[6:7]
	s_waitcnt vmcnt(0) lgkmcnt(0)
	v_fmac_f32_e32 v59, v62, v63
	s_andn2_b64 exec, exec, s[6:7]
	s_cbranch_execnz .LBB23_83
; %bb.84:
	s_or_b64 exec, exec, s[6:7]
.LBB23_85:
	s_or_b64 exec, exec, s[12:13]
	v_mov_b32_e32 v60, 0
	ds_read_b32 v60, v60 offset:56
	s_waitcnt lgkmcnt(0)
	v_mul_f32_e32 v59, v59, v60
	buffer_store_dword v59, off, s[0:3], 0 offset:56
.LBB23_86:
	s_or_b64 exec, exec, s[10:11]
	buffer_load_dword v59, off, s[0:3], 0 offset:52
	v_cmp_lt_u32_e64 s[6:7], 13, v0
	s_waitcnt vmcnt(0)
	ds_write_b32 v50, v59
	s_waitcnt lgkmcnt(0)
	; wave barrier
	s_waitcnt lgkmcnt(0)
	s_and_saveexec_b64 s[10:11], s[6:7]
	s_cbranch_execz .LBB23_96
; %bb.87:
	s_andn2_b64 vcc, exec, s[8:9]
	s_cbranch_vccnz .LBB23_89
; %bb.88:
	buffer_load_dword v59, v51, s[0:3], 0 offen
	ds_read_b32 v60, v50
	s_waitcnt vmcnt(0) lgkmcnt(0)
	v_mul_f32_e32 v59, v59, v60
	s_cbranch_execz .LBB23_90
	s_branch .LBB23_91
.LBB23_89:
                                        ; implicit-def: $vgpr59
.LBB23_90:
	ds_read_b32 v59, v50
.LBB23_91:
	s_and_saveexec_b64 s[12:13], s[4:5]
	s_cbranch_execz .LBB23_95
; %bb.92:
	v_add_u32_e32 v60, -14, v0
	s_movk_i32 s14, 0x98
	s_mov_b64 s[4:5], 0
.LBB23_93:                              ; =>This Inner Loop Header: Depth=1
	buffer_load_dword v61, v58, s[0:3], 0 offen
	v_mov_b32_e32 v62, s14
	ds_read_b32 v62, v62
	v_add_u32_e32 v60, -1, v60
	s_add_i32 s14, s14, 4
	v_cmp_eq_u32_e32 vcc, 0, v60
	v_add_u32_e32 v58, 4, v58
	s_or_b64 s[4:5], vcc, s[4:5]
	s_waitcnt vmcnt(0) lgkmcnt(0)
	v_fmac_f32_e32 v59, v61, v62
	s_andn2_b64 exec, exec, s[4:5]
	s_cbranch_execnz .LBB23_93
; %bb.94:
	s_or_b64 exec, exec, s[4:5]
.LBB23_95:
	s_or_b64 exec, exec, s[12:13]
	v_mov_b32_e32 v58, 0
	ds_read_b32 v58, v58 offset:52
	s_waitcnt lgkmcnt(0)
	v_mul_f32_e32 v58, v59, v58
	buffer_store_dword v58, off, s[0:3], 0 offset:52
.LBB23_96:
	s_or_b64 exec, exec, s[10:11]
	buffer_load_dword v58, off, s[0:3], 0 offset:48
	v_cmp_lt_u32_e64 s[4:5], 12, v0
	s_waitcnt vmcnt(0)
	ds_write_b32 v50, v58
	s_waitcnt lgkmcnt(0)
	; wave barrier
	s_waitcnt lgkmcnt(0)
	s_and_saveexec_b64 s[10:11], s[4:5]
	s_cbranch_execz .LBB23_106
; %bb.97:
	s_andn2_b64 vcc, exec, s[8:9]
	s_cbranch_vccnz .LBB23_99
; %bb.98:
	buffer_load_dword v58, v51, s[0:3], 0 offen
	ds_read_b32 v59, v50
	s_waitcnt vmcnt(0) lgkmcnt(0)
	v_mul_f32_e32 v58, v58, v59
	s_cbranch_execz .LBB23_100
	s_branch .LBB23_101
.LBB23_99:
                                        ; implicit-def: $vgpr58
.LBB23_100:
	ds_read_b32 v58, v50
.LBB23_101:
	s_and_saveexec_b64 s[12:13], s[6:7]
	s_cbranch_execz .LBB23_105
; %bb.102:
	v_mov_b32_e32 v59, 0
	v_add_u32_e32 v59, 52, v59
	v_add_u32_e32 v60, -13, v0
	s_movk_i32 s14, 0x94
	s_mov_b64 s[6:7], 0
.LBB23_103:                             ; =>This Inner Loop Header: Depth=1
	buffer_load_dword v61, v59, s[0:3], 0 offen
	v_mov_b32_e32 v62, s14
	ds_read_b32 v62, v62
	v_add_u32_e32 v60, -1, v60
	s_add_i32 s14, s14, 4
	v_cmp_eq_u32_e32 vcc, 0, v60
	v_add_u32_e32 v59, 4, v59
	s_or_b64 s[6:7], vcc, s[6:7]
	s_waitcnt vmcnt(0) lgkmcnt(0)
	v_fmac_f32_e32 v58, v61, v62
	s_andn2_b64 exec, exec, s[6:7]
	s_cbranch_execnz .LBB23_103
; %bb.104:
	s_or_b64 exec, exec, s[6:7]
.LBB23_105:
	s_or_b64 exec, exec, s[12:13]
	v_mov_b32_e32 v59, 0
	ds_read_b32 v59, v59 offset:48
	s_waitcnt lgkmcnt(0)
	v_mul_f32_e32 v58, v58, v59
	buffer_store_dword v58, off, s[0:3], 0 offset:48
.LBB23_106:
	s_or_b64 exec, exec, s[10:11]
	buffer_load_dword v58, off, s[0:3], 0 offset:44
	v_cmp_lt_u32_e64 s[6:7], 11, v0
	s_waitcnt vmcnt(0)
	ds_write_b32 v50, v58
	s_waitcnt lgkmcnt(0)
	; wave barrier
	s_waitcnt lgkmcnt(0)
	s_and_saveexec_b64 s[10:11], s[6:7]
	s_cbranch_execz .LBB23_116
; %bb.107:
	s_andn2_b64 vcc, exec, s[8:9]
	s_cbranch_vccnz .LBB23_109
; %bb.108:
	buffer_load_dword v58, v51, s[0:3], 0 offen
	ds_read_b32 v59, v50
	s_waitcnt vmcnt(0) lgkmcnt(0)
	v_mul_f32_e32 v58, v58, v59
	s_cbranch_execz .LBB23_110
	s_branch .LBB23_111
.LBB23_109:
                                        ; implicit-def: $vgpr58
.LBB23_110:
	ds_read_b32 v58, v50
.LBB23_111:
	s_and_saveexec_b64 s[12:13], s[4:5]
	s_cbranch_execz .LBB23_115
; %bb.112:
	v_add_u32_e32 v59, -12, v0
	s_movk_i32 s14, 0x90
	s_mov_b64 s[4:5], 0
.LBB23_113:                             ; =>This Inner Loop Header: Depth=1
	buffer_load_dword v60, v57, s[0:3], 0 offen
	v_mov_b32_e32 v61, s14
	ds_read_b32 v61, v61
	v_add_u32_e32 v59, -1, v59
	s_add_i32 s14, s14, 4
	v_cmp_eq_u32_e32 vcc, 0, v59
	v_add_u32_e32 v57, 4, v57
	s_or_b64 s[4:5], vcc, s[4:5]
	s_waitcnt vmcnt(0) lgkmcnt(0)
	v_fmac_f32_e32 v58, v60, v61
	s_andn2_b64 exec, exec, s[4:5]
	s_cbranch_execnz .LBB23_113
; %bb.114:
	s_or_b64 exec, exec, s[4:5]
.LBB23_115:
	s_or_b64 exec, exec, s[12:13]
	v_mov_b32_e32 v57, 0
	ds_read_b32 v57, v57 offset:44
	s_waitcnt lgkmcnt(0)
	v_mul_f32_e32 v57, v58, v57
	buffer_store_dword v57, off, s[0:3], 0 offset:44
.LBB23_116:
	s_or_b64 exec, exec, s[10:11]
	buffer_load_dword v57, off, s[0:3], 0 offset:40
	v_cmp_lt_u32_e64 s[4:5], 10, v0
	s_waitcnt vmcnt(0)
	ds_write_b32 v50, v57
	s_waitcnt lgkmcnt(0)
	; wave barrier
	s_waitcnt lgkmcnt(0)
	s_and_saveexec_b64 s[10:11], s[4:5]
	s_cbranch_execz .LBB23_126
; %bb.117:
	s_andn2_b64 vcc, exec, s[8:9]
	s_cbranch_vccnz .LBB23_119
; %bb.118:
	buffer_load_dword v57, v51, s[0:3], 0 offen
	ds_read_b32 v58, v50
	s_waitcnt vmcnt(0) lgkmcnt(0)
	v_mul_f32_e32 v57, v57, v58
	s_cbranch_execz .LBB23_120
	s_branch .LBB23_121
.LBB23_119:
                                        ; implicit-def: $vgpr57
.LBB23_120:
	ds_read_b32 v57, v50
.LBB23_121:
	s_and_saveexec_b64 s[12:13], s[6:7]
	s_cbranch_execz .LBB23_125
; %bb.122:
	v_mov_b32_e32 v58, 0
	v_add_u32_e32 v58, 44, v58
	v_add_u32_e32 v59, -11, v0
	s_movk_i32 s14, 0x8c
	s_mov_b64 s[6:7], 0
.LBB23_123:                             ; =>This Inner Loop Header: Depth=1
	buffer_load_dword v60, v58, s[0:3], 0 offen
	v_mov_b32_e32 v61, s14
	ds_read_b32 v61, v61
	v_add_u32_e32 v59, -1, v59
	s_add_i32 s14, s14, 4
	v_cmp_eq_u32_e32 vcc, 0, v59
	v_add_u32_e32 v58, 4, v58
	s_or_b64 s[6:7], vcc, s[6:7]
	s_waitcnt vmcnt(0) lgkmcnt(0)
	v_fmac_f32_e32 v57, v60, v61
	s_andn2_b64 exec, exec, s[6:7]
	s_cbranch_execnz .LBB23_123
; %bb.124:
	s_or_b64 exec, exec, s[6:7]
.LBB23_125:
	s_or_b64 exec, exec, s[12:13]
	v_mov_b32_e32 v58, 0
	ds_read_b32 v58, v58 offset:40
	s_waitcnt lgkmcnt(0)
	v_mul_f32_e32 v57, v57, v58
	buffer_store_dword v57, off, s[0:3], 0 offset:40
.LBB23_126:
	s_or_b64 exec, exec, s[10:11]
	buffer_load_dword v57, off, s[0:3], 0 offset:36
	v_cmp_lt_u32_e64 s[6:7], 9, v0
	s_waitcnt vmcnt(0)
	ds_write_b32 v50, v57
	s_waitcnt lgkmcnt(0)
	; wave barrier
	s_waitcnt lgkmcnt(0)
	s_and_saveexec_b64 s[10:11], s[6:7]
	s_cbranch_execz .LBB23_136
; %bb.127:
	s_andn2_b64 vcc, exec, s[8:9]
	s_cbranch_vccnz .LBB23_129
; %bb.128:
	buffer_load_dword v57, v51, s[0:3], 0 offen
	ds_read_b32 v58, v50
	s_waitcnt vmcnt(0) lgkmcnt(0)
	v_mul_f32_e32 v57, v57, v58
	s_cbranch_execz .LBB23_130
	s_branch .LBB23_131
.LBB23_129:
                                        ; implicit-def: $vgpr57
.LBB23_130:
	ds_read_b32 v57, v50
.LBB23_131:
	s_and_saveexec_b64 s[12:13], s[4:5]
	s_cbranch_execz .LBB23_135
; %bb.132:
	v_add_u32_e32 v58, -10, v0
	s_movk_i32 s14, 0x88
	s_mov_b64 s[4:5], 0
.LBB23_133:                             ; =>This Inner Loop Header: Depth=1
	buffer_load_dword v59, v56, s[0:3], 0 offen
	v_mov_b32_e32 v60, s14
	ds_read_b32 v60, v60
	v_add_u32_e32 v58, -1, v58
	s_add_i32 s14, s14, 4
	v_cmp_eq_u32_e32 vcc, 0, v58
	v_add_u32_e32 v56, 4, v56
	s_or_b64 s[4:5], vcc, s[4:5]
	s_waitcnt vmcnt(0) lgkmcnt(0)
	v_fmac_f32_e32 v57, v59, v60
	s_andn2_b64 exec, exec, s[4:5]
	s_cbranch_execnz .LBB23_133
; %bb.134:
	s_or_b64 exec, exec, s[4:5]
.LBB23_135:
	s_or_b64 exec, exec, s[12:13]
	v_mov_b32_e32 v56, 0
	ds_read_b32 v56, v56 offset:36
	s_waitcnt lgkmcnt(0)
	v_mul_f32_e32 v56, v57, v56
	buffer_store_dword v56, off, s[0:3], 0 offset:36
.LBB23_136:
	s_or_b64 exec, exec, s[10:11]
	buffer_load_dword v56, off, s[0:3], 0 offset:32
	v_cmp_lt_u32_e64 s[4:5], 8, v0
	s_waitcnt vmcnt(0)
	ds_write_b32 v50, v56
	s_waitcnt lgkmcnt(0)
	; wave barrier
	s_waitcnt lgkmcnt(0)
	s_and_saveexec_b64 s[10:11], s[4:5]
	s_cbranch_execz .LBB23_146
; %bb.137:
	s_andn2_b64 vcc, exec, s[8:9]
	s_cbranch_vccnz .LBB23_139
; %bb.138:
	buffer_load_dword v56, v51, s[0:3], 0 offen
	ds_read_b32 v57, v50
	s_waitcnt vmcnt(0) lgkmcnt(0)
	v_mul_f32_e32 v56, v56, v57
	s_cbranch_execz .LBB23_140
	s_branch .LBB23_141
.LBB23_139:
                                        ; implicit-def: $vgpr56
.LBB23_140:
	ds_read_b32 v56, v50
.LBB23_141:
	s_and_saveexec_b64 s[12:13], s[6:7]
	s_cbranch_execz .LBB23_145
; %bb.142:
	v_mov_b32_e32 v57, 0
	v_add_u32_e32 v57, 36, v57
	v_add_u32_e32 v58, -9, v0
	s_movk_i32 s14, 0x84
	s_mov_b64 s[6:7], 0
.LBB23_143:                             ; =>This Inner Loop Header: Depth=1
	buffer_load_dword v59, v57, s[0:3], 0 offen
	v_mov_b32_e32 v60, s14
	ds_read_b32 v60, v60
	v_add_u32_e32 v58, -1, v58
	s_add_i32 s14, s14, 4
	v_cmp_eq_u32_e32 vcc, 0, v58
	v_add_u32_e32 v57, 4, v57
	s_or_b64 s[6:7], vcc, s[6:7]
	s_waitcnt vmcnt(0) lgkmcnt(0)
	v_fmac_f32_e32 v56, v59, v60
	s_andn2_b64 exec, exec, s[6:7]
	s_cbranch_execnz .LBB23_143
; %bb.144:
	s_or_b64 exec, exec, s[6:7]
.LBB23_145:
	s_or_b64 exec, exec, s[12:13]
	v_mov_b32_e32 v57, 0
	ds_read_b32 v57, v57 offset:32
	s_waitcnt lgkmcnt(0)
	v_mul_f32_e32 v56, v56, v57
	buffer_store_dword v56, off, s[0:3], 0 offset:32
.LBB23_146:
	s_or_b64 exec, exec, s[10:11]
	buffer_load_dword v56, off, s[0:3], 0 offset:28
	v_cmp_lt_u32_e64 s[6:7], 7, v0
	s_waitcnt vmcnt(0)
	ds_write_b32 v50, v56
	s_waitcnt lgkmcnt(0)
	; wave barrier
	s_waitcnt lgkmcnt(0)
	s_and_saveexec_b64 s[10:11], s[6:7]
	s_cbranch_execz .LBB23_156
; %bb.147:
	s_andn2_b64 vcc, exec, s[8:9]
	s_cbranch_vccnz .LBB23_149
; %bb.148:
	buffer_load_dword v56, v51, s[0:3], 0 offen
	ds_read_b32 v57, v50
	s_waitcnt vmcnt(0) lgkmcnt(0)
	v_mul_f32_e32 v56, v56, v57
	s_cbranch_execz .LBB23_150
	s_branch .LBB23_151
.LBB23_149:
                                        ; implicit-def: $vgpr56
.LBB23_150:
	ds_read_b32 v56, v50
.LBB23_151:
	s_and_saveexec_b64 s[12:13], s[4:5]
	s_cbranch_execz .LBB23_155
; %bb.152:
	v_add_u32_e32 v57, -8, v0
	s_movk_i32 s14, 0x80
	s_mov_b64 s[4:5], 0
.LBB23_153:                             ; =>This Inner Loop Header: Depth=1
	buffer_load_dword v58, v55, s[0:3], 0 offen
	v_mov_b32_e32 v59, s14
	ds_read_b32 v59, v59
	v_add_u32_e32 v57, -1, v57
	s_add_i32 s14, s14, 4
	v_cmp_eq_u32_e32 vcc, 0, v57
	v_add_u32_e32 v55, 4, v55
	s_or_b64 s[4:5], vcc, s[4:5]
	s_waitcnt vmcnt(0) lgkmcnt(0)
	v_fmac_f32_e32 v56, v58, v59
	s_andn2_b64 exec, exec, s[4:5]
	s_cbranch_execnz .LBB23_153
; %bb.154:
	s_or_b64 exec, exec, s[4:5]
.LBB23_155:
	s_or_b64 exec, exec, s[12:13]
	v_mov_b32_e32 v55, 0
	ds_read_b32 v55, v55 offset:28
	s_waitcnt lgkmcnt(0)
	v_mul_f32_e32 v55, v56, v55
	buffer_store_dword v55, off, s[0:3], 0 offset:28
.LBB23_156:
	s_or_b64 exec, exec, s[10:11]
	buffer_load_dword v55, off, s[0:3], 0 offset:24
	v_cmp_lt_u32_e64 s[4:5], 6, v0
	s_waitcnt vmcnt(0)
	ds_write_b32 v50, v55
	s_waitcnt lgkmcnt(0)
	; wave barrier
	s_waitcnt lgkmcnt(0)
	s_and_saveexec_b64 s[10:11], s[4:5]
	s_cbranch_execz .LBB23_166
; %bb.157:
	s_andn2_b64 vcc, exec, s[8:9]
	s_cbranch_vccnz .LBB23_159
; %bb.158:
	buffer_load_dword v55, v51, s[0:3], 0 offen
	ds_read_b32 v56, v50
	s_waitcnt vmcnt(0) lgkmcnt(0)
	v_mul_f32_e32 v55, v55, v56
	s_cbranch_execz .LBB23_160
	s_branch .LBB23_161
.LBB23_159:
                                        ; implicit-def: $vgpr55
.LBB23_160:
	ds_read_b32 v55, v50
.LBB23_161:
	s_and_saveexec_b64 s[12:13], s[6:7]
	s_cbranch_execz .LBB23_165
; %bb.162:
	v_mov_b32_e32 v56, 0
	v_add_u32_e32 v56, 28, v56
	v_add_u32_e32 v57, -7, v0
	s_movk_i32 s14, 0x7c
	s_mov_b64 s[6:7], 0
.LBB23_163:                             ; =>This Inner Loop Header: Depth=1
	buffer_load_dword v58, v56, s[0:3], 0 offen
	v_mov_b32_e32 v59, s14
	ds_read_b32 v59, v59
	v_add_u32_e32 v57, -1, v57
	s_add_i32 s14, s14, 4
	v_cmp_eq_u32_e32 vcc, 0, v57
	v_add_u32_e32 v56, 4, v56
	s_or_b64 s[6:7], vcc, s[6:7]
	s_waitcnt vmcnt(0) lgkmcnt(0)
	v_fmac_f32_e32 v55, v58, v59
	s_andn2_b64 exec, exec, s[6:7]
	s_cbranch_execnz .LBB23_163
; %bb.164:
	s_or_b64 exec, exec, s[6:7]
.LBB23_165:
	s_or_b64 exec, exec, s[12:13]
	v_mov_b32_e32 v56, 0
	ds_read_b32 v56, v56 offset:24
	s_waitcnt lgkmcnt(0)
	v_mul_f32_e32 v55, v55, v56
	buffer_store_dword v55, off, s[0:3], 0 offset:24
.LBB23_166:
	s_or_b64 exec, exec, s[10:11]
	buffer_load_dword v55, off, s[0:3], 0 offset:20
	v_cmp_lt_u32_e64 s[6:7], 5, v0
	s_waitcnt vmcnt(0)
	ds_write_b32 v50, v55
	s_waitcnt lgkmcnt(0)
	; wave barrier
	s_waitcnt lgkmcnt(0)
	s_and_saveexec_b64 s[10:11], s[6:7]
	s_cbranch_execz .LBB23_176
; %bb.167:
	s_andn2_b64 vcc, exec, s[8:9]
	s_cbranch_vccnz .LBB23_169
; %bb.168:
	buffer_load_dword v55, v51, s[0:3], 0 offen
	ds_read_b32 v56, v50
	s_waitcnt vmcnt(0) lgkmcnt(0)
	v_mul_f32_e32 v55, v55, v56
	s_cbranch_execz .LBB23_170
	s_branch .LBB23_171
.LBB23_169:
                                        ; implicit-def: $vgpr55
.LBB23_170:
	ds_read_b32 v55, v50
.LBB23_171:
	s_and_saveexec_b64 s[12:13], s[4:5]
	s_cbranch_execz .LBB23_175
; %bb.172:
	v_add_u32_e32 v56, -6, v0
	s_movk_i32 s14, 0x78
	s_mov_b64 s[4:5], 0
.LBB23_173:                             ; =>This Inner Loop Header: Depth=1
	buffer_load_dword v57, v54, s[0:3], 0 offen
	v_mov_b32_e32 v58, s14
	ds_read_b32 v58, v58
	v_add_u32_e32 v56, -1, v56
	s_add_i32 s14, s14, 4
	v_cmp_eq_u32_e32 vcc, 0, v56
	v_add_u32_e32 v54, 4, v54
	s_or_b64 s[4:5], vcc, s[4:5]
	s_waitcnt vmcnt(0) lgkmcnt(0)
	v_fmac_f32_e32 v55, v57, v58
	s_andn2_b64 exec, exec, s[4:5]
	s_cbranch_execnz .LBB23_173
; %bb.174:
	s_or_b64 exec, exec, s[4:5]
.LBB23_175:
	s_or_b64 exec, exec, s[12:13]
	v_mov_b32_e32 v54, 0
	ds_read_b32 v54, v54 offset:20
	s_waitcnt lgkmcnt(0)
	v_mul_f32_e32 v54, v55, v54
	buffer_store_dword v54, off, s[0:3], 0 offset:20
.LBB23_176:
	s_or_b64 exec, exec, s[10:11]
	buffer_load_dword v54, off, s[0:3], 0 offset:16
	v_cmp_lt_u32_e64 s[4:5], 4, v0
	s_waitcnt vmcnt(0)
	ds_write_b32 v50, v54
	s_waitcnt lgkmcnt(0)
	; wave barrier
	s_waitcnt lgkmcnt(0)
	s_and_saveexec_b64 s[10:11], s[4:5]
	s_cbranch_execz .LBB23_186
; %bb.177:
	s_andn2_b64 vcc, exec, s[8:9]
	s_cbranch_vccnz .LBB23_179
; %bb.178:
	buffer_load_dword v54, v51, s[0:3], 0 offen
	ds_read_b32 v55, v50
	s_waitcnt vmcnt(0) lgkmcnt(0)
	v_mul_f32_e32 v54, v54, v55
	s_cbranch_execz .LBB23_180
	s_branch .LBB23_181
.LBB23_179:
                                        ; implicit-def: $vgpr54
.LBB23_180:
	ds_read_b32 v54, v50
.LBB23_181:
	s_and_saveexec_b64 s[12:13], s[6:7]
	s_cbranch_execz .LBB23_185
; %bb.182:
	v_mov_b32_e32 v55, 0
	v_add_u32_e32 v55, 20, v55
	v_add_u32_e32 v56, -5, v0
	s_movk_i32 s14, 0x74
	s_mov_b64 s[6:7], 0
.LBB23_183:                             ; =>This Inner Loop Header: Depth=1
	buffer_load_dword v57, v55, s[0:3], 0 offen
	v_mov_b32_e32 v58, s14
	ds_read_b32 v58, v58
	v_add_u32_e32 v56, -1, v56
	s_add_i32 s14, s14, 4
	v_cmp_eq_u32_e32 vcc, 0, v56
	v_add_u32_e32 v55, 4, v55
	s_or_b64 s[6:7], vcc, s[6:7]
	s_waitcnt vmcnt(0) lgkmcnt(0)
	v_fmac_f32_e32 v54, v57, v58
	s_andn2_b64 exec, exec, s[6:7]
	s_cbranch_execnz .LBB23_183
; %bb.184:
	s_or_b64 exec, exec, s[6:7]
.LBB23_185:
	s_or_b64 exec, exec, s[12:13]
	v_mov_b32_e32 v55, 0
	ds_read_b32 v55, v55 offset:16
	s_waitcnt lgkmcnt(0)
	v_mul_f32_e32 v54, v54, v55
	buffer_store_dword v54, off, s[0:3], 0 offset:16
.LBB23_186:
	s_or_b64 exec, exec, s[10:11]
	buffer_load_dword v54, off, s[0:3], 0 offset:12
	v_cmp_lt_u32_e64 s[6:7], 3, v0
	s_waitcnt vmcnt(0)
	ds_write_b32 v50, v54
	s_waitcnt lgkmcnt(0)
	; wave barrier
	s_waitcnt lgkmcnt(0)
	s_and_saveexec_b64 s[10:11], s[6:7]
	s_cbranch_execz .LBB23_196
; %bb.187:
	s_andn2_b64 vcc, exec, s[8:9]
	s_cbranch_vccnz .LBB23_189
; %bb.188:
	buffer_load_dword v54, v51, s[0:3], 0 offen
	ds_read_b32 v55, v50
	s_waitcnt vmcnt(0) lgkmcnt(0)
	v_mul_f32_e32 v54, v54, v55
	s_cbranch_execz .LBB23_190
	s_branch .LBB23_191
.LBB23_189:
                                        ; implicit-def: $vgpr54
.LBB23_190:
	ds_read_b32 v54, v50
.LBB23_191:
	s_and_saveexec_b64 s[12:13], s[4:5]
	s_cbranch_execz .LBB23_195
; %bb.192:
	v_add_u32_e32 v55, -4, v0
	s_movk_i32 s14, 0x70
	s_mov_b64 s[4:5], 0
.LBB23_193:                             ; =>This Inner Loop Header: Depth=1
	buffer_load_dword v56, v53, s[0:3], 0 offen
	v_mov_b32_e32 v57, s14
	ds_read_b32 v57, v57
	v_add_u32_e32 v55, -1, v55
	s_add_i32 s14, s14, 4
	v_cmp_eq_u32_e32 vcc, 0, v55
	v_add_u32_e32 v53, 4, v53
	s_or_b64 s[4:5], vcc, s[4:5]
	s_waitcnt vmcnt(0) lgkmcnt(0)
	v_fmac_f32_e32 v54, v56, v57
	s_andn2_b64 exec, exec, s[4:5]
	s_cbranch_execnz .LBB23_193
; %bb.194:
	s_or_b64 exec, exec, s[4:5]
.LBB23_195:
	s_or_b64 exec, exec, s[12:13]
	v_mov_b32_e32 v53, 0
	ds_read_b32 v53, v53 offset:12
	s_waitcnt lgkmcnt(0)
	v_mul_f32_e32 v53, v54, v53
	buffer_store_dword v53, off, s[0:3], 0 offset:12
.LBB23_196:
	s_or_b64 exec, exec, s[10:11]
	buffer_load_dword v53, off, s[0:3], 0 offset:8
	v_cmp_lt_u32_e64 s[4:5], 2, v0
	s_waitcnt vmcnt(0)
	ds_write_b32 v50, v53
	s_waitcnt lgkmcnt(0)
	; wave barrier
	s_waitcnt lgkmcnt(0)
	s_and_saveexec_b64 s[10:11], s[4:5]
	s_cbranch_execz .LBB23_206
; %bb.197:
	s_andn2_b64 vcc, exec, s[8:9]
	s_cbranch_vccnz .LBB23_199
; %bb.198:
	buffer_load_dword v53, v51, s[0:3], 0 offen
	ds_read_b32 v54, v50
	s_waitcnt vmcnt(0) lgkmcnt(0)
	v_mul_f32_e32 v53, v53, v54
	s_cbranch_execz .LBB23_200
	s_branch .LBB23_201
.LBB23_199:
                                        ; implicit-def: $vgpr53
.LBB23_200:
	ds_read_b32 v53, v50
.LBB23_201:
	s_and_saveexec_b64 s[12:13], s[6:7]
	s_cbranch_execz .LBB23_205
; %bb.202:
	v_mov_b32_e32 v54, 0
	v_or_b32_e32 v54, 12, v54
	v_add_u32_e32 v55, -3, v0
	s_movk_i32 s14, 0x6c
	s_mov_b64 s[6:7], 0
.LBB23_203:                             ; =>This Inner Loop Header: Depth=1
	buffer_load_dword v56, v54, s[0:3], 0 offen
	v_mov_b32_e32 v57, s14
	ds_read_b32 v57, v57
	v_add_u32_e32 v55, -1, v55
	s_add_i32 s14, s14, 4
	v_cmp_eq_u32_e32 vcc, 0, v55
	v_add_u32_e32 v54, 4, v54
	s_or_b64 s[6:7], vcc, s[6:7]
	s_waitcnt vmcnt(0) lgkmcnt(0)
	v_fmac_f32_e32 v53, v56, v57
	s_andn2_b64 exec, exec, s[6:7]
	s_cbranch_execnz .LBB23_203
; %bb.204:
	s_or_b64 exec, exec, s[6:7]
.LBB23_205:
	s_or_b64 exec, exec, s[12:13]
	v_mov_b32_e32 v54, 0
	ds_read_b32 v54, v54 offset:8
	s_waitcnt lgkmcnt(0)
	v_mul_f32_e32 v53, v53, v54
	buffer_store_dword v53, off, s[0:3], 0 offset:8
.LBB23_206:
	s_or_b64 exec, exec, s[10:11]
	buffer_load_dword v53, off, s[0:3], 0 offset:4
	v_cmp_lt_u32_e64 s[6:7], 1, v0
	s_waitcnt vmcnt(0)
	ds_write_b32 v50, v53
	s_waitcnt lgkmcnt(0)
	; wave barrier
	s_waitcnt lgkmcnt(0)
	s_and_saveexec_b64 s[10:11], s[6:7]
	s_cbranch_execz .LBB23_216
; %bb.207:
	s_andn2_b64 vcc, exec, s[8:9]
	s_cbranch_vccnz .LBB23_209
; %bb.208:
	buffer_load_dword v53, v51, s[0:3], 0 offen
	ds_read_b32 v54, v50
	s_waitcnt vmcnt(0) lgkmcnt(0)
	v_mul_f32_e32 v53, v53, v54
	s_cbranch_execz .LBB23_210
	s_branch .LBB23_211
.LBB23_209:
                                        ; implicit-def: $vgpr53
.LBB23_210:
	ds_read_b32 v53, v50
.LBB23_211:
	s_and_saveexec_b64 s[12:13], s[4:5]
	s_cbranch_execz .LBB23_215
; %bb.212:
	v_add_u32_e32 v54, -2, v0
	s_movk_i32 s14, 0x68
	s_mov_b64 s[4:5], 0
.LBB23_213:                             ; =>This Inner Loop Header: Depth=1
	buffer_load_dword v55, v52, s[0:3], 0 offen
	v_mov_b32_e32 v56, s14
	ds_read_b32 v56, v56
	v_add_u32_e32 v54, -1, v54
	s_add_i32 s14, s14, 4
	v_cmp_eq_u32_e32 vcc, 0, v54
	v_add_u32_e32 v52, 4, v52
	s_or_b64 s[4:5], vcc, s[4:5]
	s_waitcnt vmcnt(0) lgkmcnt(0)
	v_fmac_f32_e32 v53, v55, v56
	s_andn2_b64 exec, exec, s[4:5]
	s_cbranch_execnz .LBB23_213
; %bb.214:
	s_or_b64 exec, exec, s[4:5]
.LBB23_215:
	s_or_b64 exec, exec, s[12:13]
	v_mov_b32_e32 v52, 0
	ds_read_b32 v52, v52 offset:4
	s_waitcnt lgkmcnt(0)
	v_mul_f32_e32 v52, v53, v52
	buffer_store_dword v52, off, s[0:3], 0 offset:4
.LBB23_216:
	s_or_b64 exec, exec, s[10:11]
	buffer_load_dword v52, off, s[0:3], 0
	v_cmp_ne_u32_e32 vcc, 0, v0
	s_waitcnt vmcnt(0)
	ds_write_b32 v50, v52
	s_waitcnt lgkmcnt(0)
	; wave barrier
	s_waitcnt lgkmcnt(0)
	s_and_saveexec_b64 s[4:5], vcc
	s_cbranch_execz .LBB23_226
; %bb.217:
	s_andn2_b64 vcc, exec, s[8:9]
	s_cbranch_vccnz .LBB23_219
; %bb.218:
	buffer_load_dword v52, v51, s[0:3], 0 offen
	ds_read_b32 v53, v50
	s_waitcnt vmcnt(0) lgkmcnt(0)
	v_mul_f32_e32 v52, v52, v53
	s_cbranch_execz .LBB23_220
	s_branch .LBB23_221
.LBB23_219:
                                        ; implicit-def: $vgpr52
.LBB23_220:
	ds_read_b32 v52, v50
.LBB23_221:
	s_and_saveexec_b64 s[10:11], s[6:7]
	s_cbranch_execz .LBB23_225
; %bb.222:
	v_mov_b32_e32 v53, 0
	v_or_b32_e32 v53, 4, v53
	v_add_u32_e32 v54, -1, v0
	s_movk_i32 s12, 0x64
	s_mov_b64 s[6:7], 0
.LBB23_223:                             ; =>This Inner Loop Header: Depth=1
	buffer_load_dword v55, v53, s[0:3], 0 offen
	v_mov_b32_e32 v56, s12
	ds_read_b32 v56, v56
	v_add_u32_e32 v54, -1, v54
	s_add_i32 s12, s12, 4
	v_cmp_eq_u32_e32 vcc, 0, v54
	v_add_u32_e32 v53, 4, v53
	s_or_b64 s[6:7], vcc, s[6:7]
	s_waitcnt vmcnt(0) lgkmcnt(0)
	v_fmac_f32_e32 v52, v55, v56
	s_andn2_b64 exec, exec, s[6:7]
	s_cbranch_execnz .LBB23_223
; %bb.224:
	s_or_b64 exec, exec, s[6:7]
.LBB23_225:
	s_or_b64 exec, exec, s[10:11]
	v_mov_b32_e32 v53, 0
	ds_read_b32 v53, v53
	s_waitcnt lgkmcnt(0)
	v_mul_f32_e32 v52, v52, v53
	buffer_store_dword v52, off, s[0:3], 0
.LBB23_226:
	s_or_b64 exec, exec, s[4:5]
	s_mov_b64 s[4:5], 0
.LBB23_227:
	s_and_b64 vcc, exec, s[4:5]
	s_cbranch_vccz .LBB23_451
; %bb.228:
	buffer_load_dword v52, off, s[0:3], 0 offset:4
	v_cmp_eq_u32_e64 s[6:7], 0, v0
	s_waitcnt vmcnt(0)
	ds_write_b32 v50, v52
	s_waitcnt lgkmcnt(0)
	; wave barrier
	s_waitcnt lgkmcnt(0)
	s_and_saveexec_b64 s[4:5], s[6:7]
	s_cbranch_execz .LBB23_234
; %bb.229:
	s_and_b64 vcc, exec, s[8:9]
	s_cbranch_vccz .LBB23_231
; %bb.230:
	buffer_load_dword v52, v51, s[0:3], 0 offen
	ds_read_b32 v53, v50
	s_waitcnt vmcnt(0) lgkmcnt(0)
	v_mul_f32_e32 v52, v52, v53
	s_cbranch_execz .LBB23_232
	s_branch .LBB23_233
.LBB23_231:
                                        ; implicit-def: $vgpr52
.LBB23_232:
	ds_read_b32 v52, v50
.LBB23_233:
	v_mov_b32_e32 v53, 0
	ds_read_b32 v53, v53 offset:4
	s_waitcnt lgkmcnt(0)
	v_mul_f32_e32 v52, v52, v53
	buffer_store_dword v52, off, s[0:3], 0 offset:4
.LBB23_234:
	s_or_b64 exec, exec, s[4:5]
	buffer_load_dword v52, off, s[0:3], 0 offset:8
	v_cndmask_b32_e64 v53, 0, 1, s[8:9]
	v_cmp_gt_u32_e32 vcc, 2, v0
	v_cmp_ne_u32_e64 s[4:5], 1, v53
	s_waitcnt vmcnt(0)
	ds_write_b32 v50, v52
	s_waitcnt lgkmcnt(0)
	; wave barrier
	s_waitcnt lgkmcnt(0)
	s_and_saveexec_b64 s[8:9], vcc
	s_cbranch_execz .LBB23_242
; %bb.235:
	s_and_b64 vcc, exec, s[4:5]
	s_cbranch_vccnz .LBB23_237
; %bb.236:
	buffer_load_dword v52, v51, s[0:3], 0 offen
	ds_read_b32 v53, v50
	s_waitcnt vmcnt(0) lgkmcnt(0)
	v_mul_f32_e32 v52, v52, v53
	s_cbranch_execz .LBB23_238
	s_branch .LBB23_239
.LBB23_237:
                                        ; implicit-def: $vgpr52
.LBB23_238:
	ds_read_b32 v52, v50
.LBB23_239:
	s_and_saveexec_b64 s[10:11], s[6:7]
	s_cbranch_execz .LBB23_241
; %bb.240:
	buffer_load_dword v53, v51, s[0:3], 0 offen offset:4
	ds_read_b32 v54, v50 offset:4
	s_waitcnt vmcnt(0) lgkmcnt(0)
	v_fmac_f32_e32 v52, v53, v54
.LBB23_241:
	s_or_b64 exec, exec, s[10:11]
	v_mov_b32_e32 v53, 0
	ds_read_b32 v53, v53 offset:8
	s_waitcnt lgkmcnt(0)
	v_mul_f32_e32 v52, v52, v53
	buffer_store_dword v52, off, s[0:3], 0 offset:8
.LBB23_242:
	s_or_b64 exec, exec, s[8:9]
	buffer_load_dword v52, off, s[0:3], 0 offset:12
	v_cmp_gt_u32_e32 vcc, 3, v0
	s_waitcnt vmcnt(0)
	ds_write_b32 v50, v52
	s_waitcnt lgkmcnt(0)
	; wave barrier
	s_waitcnt lgkmcnt(0)
	s_and_saveexec_b64 s[8:9], vcc
	s_cbranch_execz .LBB23_250
; %bb.243:
	s_and_b64 vcc, exec, s[4:5]
	s_cbranch_vccnz .LBB23_245
; %bb.244:
	buffer_load_dword v52, v51, s[0:3], 0 offen
	ds_read_b32 v53, v50
	s_waitcnt vmcnt(0) lgkmcnt(0)
	v_mul_f32_e32 v52, v52, v53
	s_cbranch_execz .LBB23_246
	s_branch .LBB23_247
.LBB23_245:
                                        ; implicit-def: $vgpr52
.LBB23_246:
	ds_read_b32 v52, v50
.LBB23_247:
	v_cmp_ne_u32_e32 vcc, 2, v0
	s_and_saveexec_b64 s[10:11], vcc
	s_cbranch_execz .LBB23_249
; %bb.248:
	buffer_load_dword v53, v51, s[0:3], 0 offen offset:4
	buffer_load_dword v54, off, s[0:3], 0 offset:8
	v_mov_b32_e32 v55, 0
	ds_read_b32 v56, v50 offset:4
	ds_read_b32 v55, v55 offset:104
	s_waitcnt vmcnt(1) lgkmcnt(1)
	v_fmac_f32_e32 v52, v53, v56
	s_waitcnt vmcnt(0) lgkmcnt(0)
	v_fma_f32 v53, v54, v55, v52
	v_cndmask_b32_e64 v52, v52, v53, s[6:7]
.LBB23_249:
	s_or_b64 exec, exec, s[10:11]
	v_mov_b32_e32 v53, 0
	ds_read_b32 v53, v53 offset:12
	s_waitcnt lgkmcnt(0)
	v_mul_f32_e32 v52, v52, v53
	buffer_store_dword v52, off, s[0:3], 0 offset:12
.LBB23_250:
	s_or_b64 exec, exec, s[8:9]
	buffer_load_dword v52, off, s[0:3], 0 offset:16
	v_cmp_gt_u32_e32 vcc, 4, v0
	s_waitcnt vmcnt(0)
	ds_write_b32 v50, v52
	s_waitcnt lgkmcnt(0)
	; wave barrier
	s_waitcnt lgkmcnt(0)
	s_and_saveexec_b64 s[6:7], vcc
	s_cbranch_execz .LBB23_260
; %bb.251:
	s_and_b64 vcc, exec, s[4:5]
	s_cbranch_vccnz .LBB23_253
; %bb.252:
	buffer_load_dword v52, v51, s[0:3], 0 offen
	ds_read_b32 v53, v50
	s_waitcnt vmcnt(0) lgkmcnt(0)
	v_mul_f32_e32 v52, v52, v53
	s_cbranch_execz .LBB23_254
	s_branch .LBB23_255
.LBB23_253:
                                        ; implicit-def: $vgpr52
.LBB23_254:
	ds_read_b32 v52, v50
.LBB23_255:
	v_cmp_ne_u32_e32 vcc, 3, v0
	s_and_saveexec_b64 s[8:9], vcc
	s_cbranch_execz .LBB23_259
; %bb.256:
	v_mov_b32_e32 v54, 0
	v_add_u32_e32 v53, 0x64, v1
	v_add3_u32 v54, v1, v54, 4
	s_mov_b64 s[10:11], 0
	v_mov_b32_e32 v55, v0
.LBB23_257:                             ; =>This Inner Loop Header: Depth=1
	buffer_load_dword v56, v54, s[0:3], 0 offen
	ds_read_b32 v57, v53
	v_add_u32_e32 v55, 1, v55
	v_cmp_lt_u32_e32 vcc, 2, v55
	v_add_u32_e32 v53, 4, v53
	v_add_u32_e32 v54, 4, v54
	s_or_b64 s[10:11], vcc, s[10:11]
	s_waitcnt vmcnt(0) lgkmcnt(0)
	v_fmac_f32_e32 v52, v56, v57
	s_andn2_b64 exec, exec, s[10:11]
	s_cbranch_execnz .LBB23_257
; %bb.258:
	s_or_b64 exec, exec, s[10:11]
.LBB23_259:
	s_or_b64 exec, exec, s[8:9]
	v_mov_b32_e32 v53, 0
	ds_read_b32 v53, v53 offset:16
	s_waitcnt lgkmcnt(0)
	v_mul_f32_e32 v52, v52, v53
	buffer_store_dword v52, off, s[0:3], 0 offset:16
.LBB23_260:
	s_or_b64 exec, exec, s[6:7]
	buffer_load_dword v52, off, s[0:3], 0 offset:20
	v_cmp_gt_u32_e32 vcc, 5, v0
	s_waitcnt vmcnt(0)
	ds_write_b32 v50, v52
	s_waitcnt lgkmcnt(0)
	; wave barrier
	s_waitcnt lgkmcnt(0)
	s_and_saveexec_b64 s[6:7], vcc
	s_cbranch_execz .LBB23_270
; %bb.261:
	s_and_b64 vcc, exec, s[4:5]
	s_cbranch_vccnz .LBB23_263
; %bb.262:
	buffer_load_dword v52, v51, s[0:3], 0 offen
	ds_read_b32 v53, v50
	s_waitcnt vmcnt(0) lgkmcnt(0)
	v_mul_f32_e32 v52, v52, v53
	s_cbranch_execz .LBB23_264
	s_branch .LBB23_265
.LBB23_263:
                                        ; implicit-def: $vgpr52
.LBB23_264:
	ds_read_b32 v52, v50
.LBB23_265:
	v_cmp_ne_u32_e32 vcc, 4, v0
	s_and_saveexec_b64 s[8:9], vcc
	s_cbranch_execz .LBB23_269
; %bb.266:
	v_mov_b32_e32 v54, 0
	v_add_u32_e32 v53, 0x64, v1
	v_add3_u32 v54, v1, v54, 4
	s_mov_b64 s[10:11], 0
	v_mov_b32_e32 v55, v0
.LBB23_267:                             ; =>This Inner Loop Header: Depth=1
	buffer_load_dword v56, v54, s[0:3], 0 offen
	ds_read_b32 v57, v53
	v_add_u32_e32 v55, 1, v55
	v_cmp_lt_u32_e32 vcc, 3, v55
	v_add_u32_e32 v53, 4, v53
	v_add_u32_e32 v54, 4, v54
	s_or_b64 s[10:11], vcc, s[10:11]
	s_waitcnt vmcnt(0) lgkmcnt(0)
	v_fmac_f32_e32 v52, v56, v57
	s_andn2_b64 exec, exec, s[10:11]
	s_cbranch_execnz .LBB23_267
; %bb.268:
	s_or_b64 exec, exec, s[10:11]
.LBB23_269:
	s_or_b64 exec, exec, s[8:9]
	v_mov_b32_e32 v53, 0
	ds_read_b32 v53, v53 offset:20
	s_waitcnt lgkmcnt(0)
	v_mul_f32_e32 v52, v52, v53
	buffer_store_dword v52, off, s[0:3], 0 offset:20
.LBB23_270:
	;; [unrolled: 56-line block ×18, first 2 shown]
	s_or_b64 exec, exec, s[6:7]
	buffer_load_dword v52, off, s[0:3], 0 offset:88
	v_cmp_gt_u32_e64 s[6:7], 22, v0
	s_waitcnt vmcnt(0)
	ds_write_b32 v50, v52
	s_waitcnt lgkmcnt(0)
	; wave barrier
	s_waitcnt lgkmcnt(0)
	s_and_saveexec_b64 s[8:9], s[6:7]
	s_cbranch_execz .LBB23_440
; %bb.431:
	s_and_b64 vcc, exec, s[4:5]
	s_cbranch_vccnz .LBB23_433
; %bb.432:
	buffer_load_dword v52, v51, s[0:3], 0 offen
	ds_read_b32 v53, v50
	s_waitcnt vmcnt(0) lgkmcnt(0)
	v_mul_f32_e32 v52, v52, v53
	s_cbranch_execz .LBB23_434
	s_branch .LBB23_435
.LBB23_433:
                                        ; implicit-def: $vgpr52
.LBB23_434:
	ds_read_b32 v52, v50
.LBB23_435:
	v_cmp_ne_u32_e32 vcc, 21, v0
	s_and_saveexec_b64 s[10:11], vcc
	s_cbranch_execz .LBB23_439
; %bb.436:
	v_mov_b32_e32 v54, 0
	v_add_u32_e32 v53, 0x64, v1
	v_add3_u32 v54, v1, v54, 4
	s_mov_b64 s[12:13], 0
	v_mov_b32_e32 v55, v0
.LBB23_437:                             ; =>This Inner Loop Header: Depth=1
	buffer_load_dword v56, v54, s[0:3], 0 offen
	ds_read_b32 v57, v53
	v_add_u32_e32 v55, 1, v55
	v_cmp_lt_u32_e32 vcc, 20, v55
	v_add_u32_e32 v53, 4, v53
	v_add_u32_e32 v54, 4, v54
	s_or_b64 s[12:13], vcc, s[12:13]
	s_waitcnt vmcnt(0) lgkmcnt(0)
	v_fmac_f32_e32 v52, v56, v57
	s_andn2_b64 exec, exec, s[12:13]
	s_cbranch_execnz .LBB23_437
; %bb.438:
	s_or_b64 exec, exec, s[12:13]
.LBB23_439:
	s_or_b64 exec, exec, s[10:11]
	v_mov_b32_e32 v53, 0
	ds_read_b32 v53, v53 offset:88
	s_waitcnt lgkmcnt(0)
	v_mul_f32_e32 v52, v52, v53
	buffer_store_dword v52, off, s[0:3], 0 offset:88
.LBB23_440:
	s_or_b64 exec, exec, s[8:9]
	buffer_load_dword v52, off, s[0:3], 0 offset:92
	v_cmp_ne_u32_e32 vcc, 23, v0
	s_waitcnt vmcnt(0)
	ds_write_b32 v50, v52
	s_waitcnt lgkmcnt(0)
	; wave barrier
	s_waitcnt lgkmcnt(0)
	s_and_saveexec_b64 s[8:9], vcc
	s_cbranch_execz .LBB23_450
; %bb.441:
	s_and_b64 vcc, exec, s[4:5]
	s_cbranch_vccnz .LBB23_443
; %bb.442:
	buffer_load_dword v51, v51, s[0:3], 0 offen
	ds_read_b32 v52, v50
	s_waitcnt vmcnt(0) lgkmcnt(0)
	v_mul_f32_e32 v51, v51, v52
	s_cbranch_execz .LBB23_444
	s_branch .LBB23_445
.LBB23_443:
                                        ; implicit-def: $vgpr51
.LBB23_444:
	ds_read_b32 v51, v50
.LBB23_445:
	s_and_saveexec_b64 s[4:5], s[6:7]
	s_cbranch_execz .LBB23_449
; %bb.446:
	v_mov_b32_e32 v52, 0
	v_add_u32_e32 v50, 0x64, v1
	v_add3_u32 v1, v1, v52, 4
	s_mov_b64 s[6:7], 0
.LBB23_447:                             ; =>This Inner Loop Header: Depth=1
	buffer_load_dword v52, v1, s[0:3], 0 offen
	ds_read_b32 v53, v50
	v_add_u32_e32 v0, 1, v0
	v_cmp_lt_u32_e32 vcc, 21, v0
	v_add_u32_e32 v50, 4, v50
	v_add_u32_e32 v1, 4, v1
	s_or_b64 s[6:7], vcc, s[6:7]
	s_waitcnt vmcnt(0) lgkmcnt(0)
	v_fmac_f32_e32 v51, v52, v53
	s_andn2_b64 exec, exec, s[6:7]
	s_cbranch_execnz .LBB23_447
; %bb.448:
	s_or_b64 exec, exec, s[6:7]
.LBB23_449:
	s_or_b64 exec, exec, s[4:5]
	v_mov_b32_e32 v0, 0
	ds_read_b32 v0, v0 offset:92
	s_waitcnt lgkmcnt(0)
	v_mul_f32_e32 v0, v51, v0
	buffer_store_dword v0, off, s[0:3], 0 offset:92
.LBB23_450:
	s_or_b64 exec, exec, s[8:9]
.LBB23_451:
	buffer_load_dword v0, off, s[0:3], 0
	buffer_load_dword v1, off, s[0:3], 0 offset:4
	buffer_load_dword v50, off, s[0:3], 0 offset:8
	;; [unrolled: 1-line block ×15, first 2 shown]
	s_waitcnt vmcnt(15)
	global_store_dword v[2:3], v0, off
	s_waitcnt vmcnt(15)
	global_store_dword v[4:5], v1, off
	buffer_load_dword v0, off, s[0:3], 0 offset:64
	s_nop 0
	buffer_load_dword v1, off, s[0:3], 0 offset:68
	buffer_load_dword v2, off, s[0:3], 0 offset:72
	;; [unrolled: 1-line block ×7, first 2 shown]
	s_waitcnt vmcnt(23)
	global_store_dword v[8:9], v50, off
	s_waitcnt vmcnt(23)
	global_store_dword v[6:7], v51, off
	;; [unrolled: 2-line block ×22, first 2 shown]
.LBB23_452:
	s_endpgm
	.section	.rodata,"a",@progbits
	.p2align	6, 0x0
	.amdhsa_kernel _ZN9rocsolver6v33100L18trti2_kernel_smallILi24EfPfEEv13rocblas_fill_17rocblas_diagonal_T1_iil
		.amdhsa_group_segment_fixed_size 192
		.amdhsa_private_segment_fixed_size 112
		.amdhsa_kernarg_size 32
		.amdhsa_user_sgpr_count 8
		.amdhsa_user_sgpr_private_segment_buffer 1
		.amdhsa_user_sgpr_dispatch_ptr 0
		.amdhsa_user_sgpr_queue_ptr 0
		.amdhsa_user_sgpr_kernarg_segment_ptr 1
		.amdhsa_user_sgpr_dispatch_id 0
		.amdhsa_user_sgpr_flat_scratch_init 1
		.amdhsa_user_sgpr_kernarg_preload_length 0
		.amdhsa_user_sgpr_kernarg_preload_offset 0
		.amdhsa_user_sgpr_private_segment_size 0
		.amdhsa_uses_dynamic_stack 0
		.amdhsa_system_sgpr_private_segment_wavefront_offset 1
		.amdhsa_system_sgpr_workgroup_id_x 1
		.amdhsa_system_sgpr_workgroup_id_y 0
		.amdhsa_system_sgpr_workgroup_id_z 0
		.amdhsa_system_sgpr_workgroup_info 0
		.amdhsa_system_vgpr_workitem_id 0
		.amdhsa_next_free_vgpr 69
		.amdhsa_next_free_sgpr 20
		.amdhsa_accum_offset 72
		.amdhsa_reserve_vcc 1
		.amdhsa_reserve_flat_scratch 0
		.amdhsa_float_round_mode_32 0
		.amdhsa_float_round_mode_16_64 0
		.amdhsa_float_denorm_mode_32 3
		.amdhsa_float_denorm_mode_16_64 3
		.amdhsa_dx10_clamp 1
		.amdhsa_ieee_mode 1
		.amdhsa_fp16_overflow 0
		.amdhsa_tg_split 0
		.amdhsa_exception_fp_ieee_invalid_op 0
		.amdhsa_exception_fp_denorm_src 0
		.amdhsa_exception_fp_ieee_div_zero 0
		.amdhsa_exception_fp_ieee_overflow 0
		.amdhsa_exception_fp_ieee_underflow 0
		.amdhsa_exception_fp_ieee_inexact 0
		.amdhsa_exception_int_div_zero 0
	.end_amdhsa_kernel
	.section	.text._ZN9rocsolver6v33100L18trti2_kernel_smallILi24EfPfEEv13rocblas_fill_17rocblas_diagonal_T1_iil,"axG",@progbits,_ZN9rocsolver6v33100L18trti2_kernel_smallILi24EfPfEEv13rocblas_fill_17rocblas_diagonal_T1_iil,comdat
.Lfunc_end23:
	.size	_ZN9rocsolver6v33100L18trti2_kernel_smallILi24EfPfEEv13rocblas_fill_17rocblas_diagonal_T1_iil, .Lfunc_end23-_ZN9rocsolver6v33100L18trti2_kernel_smallILi24EfPfEEv13rocblas_fill_17rocblas_diagonal_T1_iil
                                        ; -- End function
	.section	.AMDGPU.csdata,"",@progbits
; Kernel info:
; codeLenInByte = 11528
; NumSgprs: 24
; NumVgprs: 69
; NumAgprs: 0
; TotalNumVgprs: 69
; ScratchSize: 112
; MemoryBound: 0
; FloatMode: 240
; IeeeMode: 1
; LDSByteSize: 192 bytes/workgroup (compile time only)
; SGPRBlocks: 2
; VGPRBlocks: 8
; NumSGPRsForWavesPerEU: 24
; NumVGPRsForWavesPerEU: 69
; AccumOffset: 72
; Occupancy: 7
; WaveLimiterHint : 0
; COMPUTE_PGM_RSRC2:SCRATCH_EN: 1
; COMPUTE_PGM_RSRC2:USER_SGPR: 8
; COMPUTE_PGM_RSRC2:TRAP_HANDLER: 0
; COMPUTE_PGM_RSRC2:TGID_X_EN: 1
; COMPUTE_PGM_RSRC2:TGID_Y_EN: 0
; COMPUTE_PGM_RSRC2:TGID_Z_EN: 0
; COMPUTE_PGM_RSRC2:TIDIG_COMP_CNT: 0
; COMPUTE_PGM_RSRC3_GFX90A:ACCUM_OFFSET: 17
; COMPUTE_PGM_RSRC3_GFX90A:TG_SPLIT: 0
	.section	.text._ZN9rocsolver6v33100L18trti2_kernel_smallILi25EfPfEEv13rocblas_fill_17rocblas_diagonal_T1_iil,"axG",@progbits,_ZN9rocsolver6v33100L18trti2_kernel_smallILi25EfPfEEv13rocblas_fill_17rocblas_diagonal_T1_iil,comdat
	.globl	_ZN9rocsolver6v33100L18trti2_kernel_smallILi25EfPfEEv13rocblas_fill_17rocblas_diagonal_T1_iil ; -- Begin function _ZN9rocsolver6v33100L18trti2_kernel_smallILi25EfPfEEv13rocblas_fill_17rocblas_diagonal_T1_iil
	.p2align	8
	.type	_ZN9rocsolver6v33100L18trti2_kernel_smallILi25EfPfEEv13rocblas_fill_17rocblas_diagonal_T1_iil,@function
_ZN9rocsolver6v33100L18trti2_kernel_smallILi25EfPfEEv13rocblas_fill_17rocblas_diagonal_T1_iil: ; @_ZN9rocsolver6v33100L18trti2_kernel_smallILi25EfPfEEv13rocblas_fill_17rocblas_diagonal_T1_iil
; %bb.0:
	s_add_u32 s0, s0, s9
	s_addc_u32 s1, s1, 0
	v_cmp_gt_u32_e32 vcc, 25, v0
	s_and_saveexec_b64 s[6:7], vcc
	s_cbranch_execz .LBB24_472
; %bb.1:
	s_load_dwordx8 s[12:19], s[4:5], 0x0
	s_ashr_i32 s6, s8, 31
	v_lshlrev_b32_e32 v1, 2, v0
	v_mov_b32_e32 v64, 0
	s_waitcnt lgkmcnt(0)
	s_mul_i32 s7, s8, s19
	s_mul_hi_u32 s9, s8, s18
	s_add_i32 s7, s9, s7
	s_mul_i32 s6, s6, s18
	s_add_i32 s7, s7, s6
	s_mul_i32 s6, s8, s18
	s_ashr_i32 s5, s16, 31
	s_lshl_b64 s[6:7], s[6:7], 2
	s_mov_b32 s4, s16
	s_add_u32 s6, s14, s6
	s_addc_u32 s7, s15, s7
	s_lshl_b64 s[4:5], s[4:5], 2
	s_add_u32 s4, s6, s4
	s_addc_u32 s5, s7, s5
	v_mov_b32_e32 v3, s5
	v_add_co_u32_e32 v2, vcc, s4, v1
	s_ashr_i32 s7, s17, 31
	s_mov_b32 s6, s17
	v_addc_co_u32_e32 v3, vcc, 0, v3, vcc
	s_lshl_b64 s[6:7], s[6:7], 2
	v_add_co_u32_e32 v6, vcc, s6, v2
	s_add_i32 s6, s17, s17
	v_add_u32_e32 v8, s6, v0
	v_mov_b32_e32 v4, s7
	v_ashrrev_i32_e32 v9, 31, v8
	v_addc_co_u32_e32 v7, vcc, v3, v4, vcc
	v_lshlrev_b64 v[4:5], 2, v[8:9]
	v_add_u32_e32 v10, s17, v8
	v_mov_b32_e32 v9, s5
	v_add_co_u32_e32 v4, vcc, s4, v4
	v_ashrrev_i32_e32 v11, 31, v10
	v_addc_co_u32_e32 v5, vcc, v9, v5, vcc
	v_lshlrev_b64 v[8:9], 2, v[10:11]
	v_add_u32_e32 v12, s17, v10
	v_mov_b32_e32 v11, s5
	v_add_co_u32_e32 v8, vcc, s4, v8
	v_ashrrev_i32_e32 v13, 31, v12
	v_addc_co_u32_e32 v9, vcc, v11, v9, vcc
	v_lshlrev_b64 v[10:11], 2, v[12:13]
	v_add_u32_e32 v14, s17, v12
	v_mov_b32_e32 v13, s5
	v_add_co_u32_e32 v10, vcc, s4, v10
	v_ashrrev_i32_e32 v15, 31, v14
	v_addc_co_u32_e32 v11, vcc, v13, v11, vcc
	v_lshlrev_b64 v[12:13], 2, v[14:15]
	v_add_u32_e32 v16, s17, v14
	v_mov_b32_e32 v15, s5
	v_add_co_u32_e32 v12, vcc, s4, v12
	v_ashrrev_i32_e32 v17, 31, v16
	v_addc_co_u32_e32 v13, vcc, v15, v13, vcc
	v_lshlrev_b64 v[14:15], 2, v[16:17]
	v_add_u32_e32 v18, s17, v16
	v_mov_b32_e32 v17, s5
	v_add_co_u32_e32 v14, vcc, s4, v14
	v_ashrrev_i32_e32 v19, 31, v18
	v_addc_co_u32_e32 v15, vcc, v17, v15, vcc
	v_lshlrev_b64 v[16:17], 2, v[18:19]
	v_mov_b32_e32 v19, s5
	v_add_co_u32_e32 v16, vcc, s4, v16
	global_load_dword v36, v1, s[4:5]
	global_load_dword v37, v[6:7], off
	global_load_dword v38, v[4:5], off
	;; [unrolled: 1-line block ×3, first 2 shown]
	v_addc_co_u32_e32 v17, vcc, v19, v17, vcc
	global_load_dword v40, v[10:11], off
	global_load_dword v41, v[12:13], off
	;; [unrolled: 1-line block ×4, first 2 shown]
	v_add_u32_e32 v20, s17, v18
	v_ashrrev_i32_e32 v21, 31, v20
	v_lshlrev_b64 v[18:19], 2, v[20:21]
	v_mov_b32_e32 v21, s5
	v_add_co_u32_e32 v18, vcc, s4, v18
	v_addc_co_u32_e32 v19, vcc, v21, v19, vcc
	global_load_dword v52, v[18:19], off
	v_add_u32_e32 v22, s17, v20
	v_ashrrev_i32_e32 v23, 31, v22
	v_lshlrev_b64 v[20:21], 2, v[22:23]
	v_add_u32_e32 v24, s17, v22
	v_mov_b32_e32 v23, s5
	v_add_co_u32_e32 v20, vcc, s4, v20
	v_ashrrev_i32_e32 v25, 31, v24
	v_addc_co_u32_e32 v21, vcc, v23, v21, vcc
	v_lshlrev_b64 v[22:23], 2, v[24:25]
	v_add_u32_e32 v26, s17, v24
	v_mov_b32_e32 v25, s5
	v_add_co_u32_e32 v22, vcc, s4, v22
	v_ashrrev_i32_e32 v27, 31, v26
	v_addc_co_u32_e32 v23, vcc, v25, v23, vcc
	;; [unrolled: 6-line block ×6, first 2 shown]
	v_lshlrev_b64 v[32:33], 2, v[34:35]
	s_waitcnt vmcnt(8)
	buffer_store_dword v36, off, s[0:3], 0
	s_waitcnt vmcnt(8)
	buffer_store_dword v37, off, s[0:3], 0 offset:4
	s_waitcnt vmcnt(7)
	buffer_store_dword v39, off, s[0:3], 0 offset:12
	buffer_store_dword v38, off, s[0:3], 0 offset:8
	s_waitcnt vmcnt(8)
	buffer_store_dword v40, off, s[0:3], 0 offset:16
	s_waitcnt vmcnt(8)
	;; [unrolled: 2-line block ×4, first 2 shown]
	buffer_store_dword v43, off, s[0:3], 0 offset:28
	v_add_u32_e32 v36, s17, v34
	v_mov_b32_e32 v35, s5
	v_add_co_u32_e32 v32, vcc, s4, v32
	v_ashrrev_i32_e32 v37, 31, v36
	v_addc_co_u32_e32 v33, vcc, v35, v33, vcc
	v_lshlrev_b64 v[34:35], 2, v[36:37]
	v_add_u32_e32 v38, s17, v36
	v_mov_b32_e32 v37, s5
	v_add_co_u32_e32 v34, vcc, s4, v34
	v_ashrrev_i32_e32 v39, 31, v38
	v_addc_co_u32_e32 v35, vcc, v37, v35, vcc
	v_lshlrev_b64 v[36:37], 2, v[38:39]
	;; [unrolled: 6-line block ×8, first 2 shown]
	v_mov_b32_e32 v51, s5
	v_add_co_u32_e32 v48, vcc, s4, v48
	v_add_u32_e32 v50, s17, v50
	v_addc_co_u32_e32 v49, vcc, v51, v49, vcc
	v_ashrrev_i32_e32 v51, 31, v50
	v_lshlrev_b64 v[50:51], 2, v[50:51]
	v_mov_b32_e32 v61, s5
	v_add_co_u32_e32 v50, vcc, s4, v50
	global_load_dword v53, v[20:21], off
	global_load_dword v54, v[22:23], off
	;; [unrolled: 1-line block ×8, first 2 shown]
	v_addc_co_u32_e32 v51, vcc, v61, v51, vcc
	global_load_dword v61, v[36:37], off
	global_load_dword v62, v[38:39], off
	;; [unrolled: 1-line block ×7, first 2 shown]
	s_cmpk_lg_i32 s13, 0x84
	s_waitcnt vmcnt(23)
	buffer_store_dword v52, off, s[0:3], 0 offset:32
	global_load_dword v52, v[50:51], off
	s_waitcnt vmcnt(16)
	buffer_store_dword v53, off, s[0:3], 0 offset:36
	s_waitcnt vmcnt(15)
	buffer_store_dword v55, off, s[0:3], 0 offset:44
	buffer_store_dword v54, off, s[0:3], 0 offset:40
	s_waitcnt vmcnt(16)
	buffer_store_dword v56, off, s[0:3], 0 offset:48
	s_waitcnt vmcnt(16)
	;; [unrolled: 2-line block ×9, first 2 shown]
	buffer_store_dword v66, off, s[0:3], 0 offset:84
	buffer_store_dword v65, off, s[0:3], 0 offset:80
	s_waitcnt vmcnt(15)
	buffer_store_dword v68, off, s[0:3], 0 offset:92
	buffer_store_dword v67, off, s[0:3], 0 offset:88
	s_waitcnt vmcnt(15)
	buffer_store_dword v52, off, s[0:3], 0 offset:96
	s_cselect_b64 s[10:11], -1, 0
	s_cmpk_eq_i32 s13, 0x84
	v_mov_b32_e32 v52, -1.0
	s_cbranch_scc1 .LBB24_3
; %bb.2:
	v_lshl_add_u32 v52, v0, 2, v64
	buffer_load_dword v53, v52, s[0:3], 0 offen
	s_waitcnt vmcnt(0)
	v_div_scale_f32 v54, s[4:5], v53, v53, 1.0
	v_rcp_f32_e32 v55, v54
	v_div_scale_f32 v56, vcc, 1.0, v53, 1.0
	v_fma_f32 v57, -v54, v55, 1.0
	v_fmac_f32_e32 v55, v57, v55
	v_mul_f32_e32 v57, v56, v55
	v_fma_f32 v58, -v54, v57, v56
	v_fmac_f32_e32 v57, v58, v55
	v_fma_f32 v54, -v54, v57, v56
	v_div_fmas_f32 v54, v54, v55, v57
	v_div_fixup_f32 v53, v54, v53, 1.0
	buffer_store_dword v53, v52, s[0:3], 0 offen
	v_xor_b32_e32 v52, 0x80000000, v53
.LBB24_3:
	ds_write_b32 v1, v52
	s_cmpk_eq_i32 s12, 0x79
	v_add_u32_e32 v52, 0x70, v1
	v_add_u32_e32 v53, 0, v1
	s_mov_b64 s[4:5], -1
	s_cbranch_scc1 .LBB24_237
; %bb.4:
	buffer_load_dword v54, off, s[0:3], 0 offset:92
	v_cmp_eq_u32_e64 s[4:5], 24, v0
	s_waitcnt vmcnt(0)
	ds_write_b32 v52, v54
	s_waitcnt lgkmcnt(0)
	; wave barrier
	s_waitcnt lgkmcnt(0)
	s_and_saveexec_b64 s[6:7], s[4:5]
	s_cbranch_execz .LBB24_10
; %bb.5:
	s_and_b64 vcc, exec, s[10:11]
	s_cbranch_vccz .LBB24_7
; %bb.6:
	buffer_load_dword v54, v53, s[0:3], 0 offen
	ds_read_b32 v55, v52
	s_waitcnt vmcnt(0) lgkmcnt(0)
	v_mul_f32_e32 v54, v54, v55
	s_cbranch_execz .LBB24_8
	s_branch .LBB24_9
.LBB24_7:
                                        ; implicit-def: $vgpr54
.LBB24_8:
	ds_read_b32 v54, v52
.LBB24_9:
	v_mov_b32_e32 v55, 0
	ds_read_b32 v55, v55 offset:92
	s_waitcnt lgkmcnt(0)
	v_mul_f32_e32 v54, v54, v55
	buffer_store_dword v54, off, s[0:3], 0 offset:92
.LBB24_10:
	s_or_b64 exec, exec, s[6:7]
	buffer_load_dword v65, off, s[0:3], 0 offset:88
	v_or_b32_e32 v54, 8, v64
	v_add_u32_e32 v55, 16, v64
	v_add_u32_e32 v56, 24, v64
	;; [unrolled: 1-line block ×10, first 2 shown]
	v_cmp_lt_u32_e64 s[8:9], 22, v0
	s_waitcnt vmcnt(0)
	ds_write_b32 v52, v65
	s_waitcnt lgkmcnt(0)
	; wave barrier
	s_waitcnt lgkmcnt(0)
	s_and_saveexec_b64 s[6:7], s[8:9]
	s_cbranch_execz .LBB24_16
; %bb.11:
	s_andn2_b64 vcc, exec, s[10:11]
	s_cbranch_vccnz .LBB24_13
; %bb.12:
	buffer_load_dword v65, v53, s[0:3], 0 offen
	ds_read_b32 v66, v52
	s_waitcnt vmcnt(0) lgkmcnt(0)
	v_mul_f32_e32 v65, v65, v66
	s_cbranch_execz .LBB24_14
	s_branch .LBB24_15
.LBB24_13:
                                        ; implicit-def: $vgpr65
.LBB24_14:
	ds_read_b32 v65, v52
.LBB24_15:
	buffer_load_dword v68, off, s[0:3], 0 offset:92
	v_mov_b32_e32 v66, 0
	ds_read2_b32 v[66:67], v66 offset0:22 offset1:51
	s_waitcnt vmcnt(0) lgkmcnt(0)
	v_fma_f32 v67, v68, v67, v65
	v_cndmask_b32_e64 v65, v65, v67, s[4:5]
	v_mul_f32_e32 v65, v65, v66
	buffer_store_dword v65, off, s[0:3], 0 offset:88
.LBB24_16:
	s_or_b64 exec, exec, s[6:7]
	buffer_load_dword v65, off, s[0:3], 0 offset:84
	v_cmp_lt_u32_e64 s[6:7], 21, v0
	s_waitcnt vmcnt(0)
	ds_write_b32 v52, v65
	s_waitcnt lgkmcnt(0)
	; wave barrier
	s_waitcnt lgkmcnt(0)
	s_and_saveexec_b64 s[4:5], s[6:7]
	s_cbranch_execz .LBB24_26
; %bb.17:
	s_andn2_b64 vcc, exec, s[10:11]
	s_cbranch_vccnz .LBB24_19
; %bb.18:
	buffer_load_dword v65, v53, s[0:3], 0 offen
	ds_read_b32 v66, v52
	s_waitcnt vmcnt(0) lgkmcnt(0)
	v_mul_f32_e32 v65, v65, v66
	s_cbranch_execz .LBB24_20
	s_branch .LBB24_21
.LBB24_19:
                                        ; implicit-def: $vgpr65
.LBB24_20:
	ds_read_b32 v65, v52
.LBB24_21:
	s_and_saveexec_b64 s[12:13], s[8:9]
	s_cbranch_execz .LBB24_25
; %bb.22:
	v_subrev_u32_e32 v66, 22, v0
	s_movk_i32 s14, 0xc8
	s_mov_b64 s[8:9], 0
.LBB24_23:                              ; =>This Inner Loop Header: Depth=1
	buffer_load_dword v67, v64, s[0:3], 0 offen
	v_mov_b32_e32 v68, s14
	ds_read_b32 v68, v68
	v_add_u32_e32 v66, -1, v66
	s_add_i32 s14, s14, 4
	v_cmp_eq_u32_e32 vcc, 0, v66
	v_add_u32_e32 v64, 4, v64
	s_or_b64 s[8:9], vcc, s[8:9]
	s_waitcnt vmcnt(0) lgkmcnt(0)
	v_fmac_f32_e32 v65, v67, v68
	s_andn2_b64 exec, exec, s[8:9]
	s_cbranch_execnz .LBB24_23
; %bb.24:
	s_or_b64 exec, exec, s[8:9]
.LBB24_25:
	s_or_b64 exec, exec, s[12:13]
	v_mov_b32_e32 v64, 0
	ds_read_b32 v64, v64 offset:84
	s_waitcnt lgkmcnt(0)
	v_mul_f32_e32 v64, v65, v64
	buffer_store_dword v64, off, s[0:3], 0 offset:84
.LBB24_26:
	s_or_b64 exec, exec, s[4:5]
	buffer_load_dword v64, off, s[0:3], 0 offset:80
	v_cmp_lt_u32_e64 s[4:5], 20, v0
	s_waitcnt vmcnt(0)
	ds_write_b32 v52, v64
	s_waitcnt lgkmcnt(0)
	; wave barrier
	s_waitcnt lgkmcnt(0)
	s_and_saveexec_b64 s[8:9], s[4:5]
	s_cbranch_execz .LBB24_36
; %bb.27:
	s_andn2_b64 vcc, exec, s[10:11]
	s_cbranch_vccnz .LBB24_29
; %bb.28:
	buffer_load_dword v64, v53, s[0:3], 0 offen
	ds_read_b32 v65, v52
	s_waitcnt vmcnt(0) lgkmcnt(0)
	v_mul_f32_e32 v64, v64, v65
	s_cbranch_execz .LBB24_30
	s_branch .LBB24_31
.LBB24_29:
                                        ; implicit-def: $vgpr64
.LBB24_30:
	ds_read_b32 v64, v52
.LBB24_31:
	s_and_saveexec_b64 s[12:13], s[6:7]
	s_cbranch_execz .LBB24_35
; %bb.32:
	v_mov_b32_e32 v65, 0
	v_add_u32_e32 v65, 0x54, v65
	v_subrev_u32_e32 v66, 21, v0
	s_movk_i32 s14, 0xc4
	s_mov_b64 s[6:7], 0
.LBB24_33:                              ; =>This Inner Loop Header: Depth=1
	buffer_load_dword v67, v65, s[0:3], 0 offen
	v_mov_b32_e32 v68, s14
	ds_read_b32 v68, v68
	v_add_u32_e32 v66, -1, v66
	s_add_i32 s14, s14, 4
	v_cmp_eq_u32_e32 vcc, 0, v66
	v_add_u32_e32 v65, 4, v65
	s_or_b64 s[6:7], vcc, s[6:7]
	s_waitcnt vmcnt(0) lgkmcnt(0)
	v_fmac_f32_e32 v64, v67, v68
	s_andn2_b64 exec, exec, s[6:7]
	s_cbranch_execnz .LBB24_33
; %bb.34:
	s_or_b64 exec, exec, s[6:7]
.LBB24_35:
	s_or_b64 exec, exec, s[12:13]
	v_mov_b32_e32 v65, 0
	ds_read_b32 v65, v65 offset:80
	s_waitcnt lgkmcnt(0)
	v_mul_f32_e32 v64, v64, v65
	buffer_store_dword v64, off, s[0:3], 0 offset:80
.LBB24_36:
	s_or_b64 exec, exec, s[8:9]
	buffer_load_dword v64, off, s[0:3], 0 offset:76
	v_cmp_lt_u32_e64 s[6:7], 19, v0
	s_waitcnt vmcnt(0)
	ds_write_b32 v52, v64
	s_waitcnt lgkmcnt(0)
	; wave barrier
	s_waitcnt lgkmcnt(0)
	s_and_saveexec_b64 s[8:9], s[6:7]
	s_cbranch_execz .LBB24_46
; %bb.37:
	s_andn2_b64 vcc, exec, s[10:11]
	s_cbranch_vccnz .LBB24_39
; %bb.38:
	buffer_load_dword v64, v53, s[0:3], 0 offen
	ds_read_b32 v65, v52
	s_waitcnt vmcnt(0) lgkmcnt(0)
	v_mul_f32_e32 v64, v64, v65
	s_cbranch_execz .LBB24_40
	s_branch .LBB24_41
.LBB24_39:
                                        ; implicit-def: $vgpr64
.LBB24_40:
	ds_read_b32 v64, v52
.LBB24_41:
	s_and_saveexec_b64 s[12:13], s[4:5]
	s_cbranch_execz .LBB24_45
; %bb.42:
	v_subrev_u32_e32 v65, 20, v0
	s_movk_i32 s14, 0xc0
	s_mov_b64 s[4:5], 0
.LBB24_43:                              ; =>This Inner Loop Header: Depth=1
	buffer_load_dword v66, v63, s[0:3], 0 offen
	v_mov_b32_e32 v67, s14
	ds_read_b32 v67, v67
	v_add_u32_e32 v65, -1, v65
	s_add_i32 s14, s14, 4
	v_cmp_eq_u32_e32 vcc, 0, v65
	v_add_u32_e32 v63, 4, v63
	s_or_b64 s[4:5], vcc, s[4:5]
	s_waitcnt vmcnt(0) lgkmcnt(0)
	v_fmac_f32_e32 v64, v66, v67
	s_andn2_b64 exec, exec, s[4:5]
	s_cbranch_execnz .LBB24_43
; %bb.44:
	s_or_b64 exec, exec, s[4:5]
.LBB24_45:
	s_or_b64 exec, exec, s[12:13]
	v_mov_b32_e32 v63, 0
	ds_read_b32 v63, v63 offset:76
	s_waitcnt lgkmcnt(0)
	v_mul_f32_e32 v63, v64, v63
	buffer_store_dword v63, off, s[0:3], 0 offset:76
.LBB24_46:
	s_or_b64 exec, exec, s[8:9]
	buffer_load_dword v63, off, s[0:3], 0 offset:72
	v_cmp_lt_u32_e64 s[4:5], 18, v0
	s_waitcnt vmcnt(0)
	ds_write_b32 v52, v63
	s_waitcnt lgkmcnt(0)
	; wave barrier
	s_waitcnt lgkmcnt(0)
	s_and_saveexec_b64 s[8:9], s[4:5]
	s_cbranch_execz .LBB24_56
; %bb.47:
	s_andn2_b64 vcc, exec, s[10:11]
	s_cbranch_vccnz .LBB24_49
; %bb.48:
	buffer_load_dword v63, v53, s[0:3], 0 offen
	ds_read_b32 v64, v52
	s_waitcnt vmcnt(0) lgkmcnt(0)
	v_mul_f32_e32 v63, v63, v64
	s_cbranch_execz .LBB24_50
	s_branch .LBB24_51
.LBB24_49:
                                        ; implicit-def: $vgpr63
.LBB24_50:
	ds_read_b32 v63, v52
.LBB24_51:
	s_and_saveexec_b64 s[12:13], s[6:7]
	s_cbranch_execz .LBB24_55
; %bb.52:
	v_mov_b32_e32 v64, 0
	v_add_u32_e32 v64, 0x4c, v64
	v_subrev_u32_e32 v65, 19, v0
	s_movk_i32 s14, 0xbc
	s_mov_b64 s[6:7], 0
.LBB24_53:                              ; =>This Inner Loop Header: Depth=1
	buffer_load_dword v66, v64, s[0:3], 0 offen
	v_mov_b32_e32 v67, s14
	ds_read_b32 v67, v67
	v_add_u32_e32 v65, -1, v65
	s_add_i32 s14, s14, 4
	v_cmp_eq_u32_e32 vcc, 0, v65
	v_add_u32_e32 v64, 4, v64
	s_or_b64 s[6:7], vcc, s[6:7]
	s_waitcnt vmcnt(0) lgkmcnt(0)
	v_fmac_f32_e32 v63, v66, v67
	s_andn2_b64 exec, exec, s[6:7]
	s_cbranch_execnz .LBB24_53
; %bb.54:
	s_or_b64 exec, exec, s[6:7]
.LBB24_55:
	s_or_b64 exec, exec, s[12:13]
	v_mov_b32_e32 v64, 0
	ds_read_b32 v64, v64 offset:72
	s_waitcnt lgkmcnt(0)
	v_mul_f32_e32 v63, v63, v64
	buffer_store_dword v63, off, s[0:3], 0 offset:72
.LBB24_56:
	s_or_b64 exec, exec, s[8:9]
	buffer_load_dword v63, off, s[0:3], 0 offset:68
	v_cmp_lt_u32_e64 s[6:7], 17, v0
	s_waitcnt vmcnt(0)
	ds_write_b32 v52, v63
	s_waitcnt lgkmcnt(0)
	; wave barrier
	s_waitcnt lgkmcnt(0)
	s_and_saveexec_b64 s[8:9], s[6:7]
	s_cbranch_execz .LBB24_66
; %bb.57:
	s_andn2_b64 vcc, exec, s[10:11]
	s_cbranch_vccnz .LBB24_59
; %bb.58:
	buffer_load_dword v63, v53, s[0:3], 0 offen
	ds_read_b32 v64, v52
	s_waitcnt vmcnt(0) lgkmcnt(0)
	v_mul_f32_e32 v63, v63, v64
	s_cbranch_execz .LBB24_60
	s_branch .LBB24_61
.LBB24_59:
                                        ; implicit-def: $vgpr63
.LBB24_60:
	ds_read_b32 v63, v52
.LBB24_61:
	s_and_saveexec_b64 s[12:13], s[4:5]
	s_cbranch_execz .LBB24_65
; %bb.62:
	v_subrev_u32_e32 v64, 18, v0
	s_movk_i32 s14, 0xb8
	s_mov_b64 s[4:5], 0
.LBB24_63:                              ; =>This Inner Loop Header: Depth=1
	buffer_load_dword v65, v62, s[0:3], 0 offen
	v_mov_b32_e32 v66, s14
	ds_read_b32 v66, v66
	v_add_u32_e32 v64, -1, v64
	s_add_i32 s14, s14, 4
	v_cmp_eq_u32_e32 vcc, 0, v64
	v_add_u32_e32 v62, 4, v62
	s_or_b64 s[4:5], vcc, s[4:5]
	s_waitcnt vmcnt(0) lgkmcnt(0)
	v_fmac_f32_e32 v63, v65, v66
	s_andn2_b64 exec, exec, s[4:5]
	s_cbranch_execnz .LBB24_63
; %bb.64:
	s_or_b64 exec, exec, s[4:5]
.LBB24_65:
	s_or_b64 exec, exec, s[12:13]
	v_mov_b32_e32 v62, 0
	ds_read_b32 v62, v62 offset:68
	s_waitcnt lgkmcnt(0)
	v_mul_f32_e32 v62, v63, v62
	buffer_store_dword v62, off, s[0:3], 0 offset:68
.LBB24_66:
	s_or_b64 exec, exec, s[8:9]
	buffer_load_dword v62, off, s[0:3], 0 offset:64
	v_cmp_lt_u32_e64 s[4:5], 16, v0
	s_waitcnt vmcnt(0)
	ds_write_b32 v52, v62
	s_waitcnt lgkmcnt(0)
	; wave barrier
	s_waitcnt lgkmcnt(0)
	s_and_saveexec_b64 s[8:9], s[4:5]
	s_cbranch_execz .LBB24_76
; %bb.67:
	s_andn2_b64 vcc, exec, s[10:11]
	s_cbranch_vccnz .LBB24_69
; %bb.68:
	buffer_load_dword v62, v53, s[0:3], 0 offen
	ds_read_b32 v63, v52
	s_waitcnt vmcnt(0) lgkmcnt(0)
	v_mul_f32_e32 v62, v62, v63
	s_cbranch_execz .LBB24_70
	s_branch .LBB24_71
.LBB24_69:
                                        ; implicit-def: $vgpr62
.LBB24_70:
	ds_read_b32 v62, v52
.LBB24_71:
	s_and_saveexec_b64 s[12:13], s[6:7]
	s_cbranch_execz .LBB24_75
; %bb.72:
	v_mov_b32_e32 v63, 0
	v_add_u32_e32 v63, 0x44, v63
	v_subrev_u32_e32 v64, 17, v0
	s_movk_i32 s14, 0xb4
	s_mov_b64 s[6:7], 0
.LBB24_73:                              ; =>This Inner Loop Header: Depth=1
	buffer_load_dword v65, v63, s[0:3], 0 offen
	v_mov_b32_e32 v66, s14
	ds_read_b32 v66, v66
	v_add_u32_e32 v64, -1, v64
	s_add_i32 s14, s14, 4
	v_cmp_eq_u32_e32 vcc, 0, v64
	v_add_u32_e32 v63, 4, v63
	s_or_b64 s[6:7], vcc, s[6:7]
	s_waitcnt vmcnt(0) lgkmcnt(0)
	v_fmac_f32_e32 v62, v65, v66
	s_andn2_b64 exec, exec, s[6:7]
	s_cbranch_execnz .LBB24_73
; %bb.74:
	s_or_b64 exec, exec, s[6:7]
.LBB24_75:
	s_or_b64 exec, exec, s[12:13]
	v_mov_b32_e32 v63, 0
	ds_read_b32 v63, v63 offset:64
	s_waitcnt lgkmcnt(0)
	v_mul_f32_e32 v62, v62, v63
	buffer_store_dword v62, off, s[0:3], 0 offset:64
.LBB24_76:
	s_or_b64 exec, exec, s[8:9]
	buffer_load_dword v62, off, s[0:3], 0 offset:60
	v_cmp_lt_u32_e64 s[6:7], 15, v0
	s_waitcnt vmcnt(0)
	ds_write_b32 v52, v62
	s_waitcnt lgkmcnt(0)
	; wave barrier
	s_waitcnt lgkmcnt(0)
	s_and_saveexec_b64 s[8:9], s[6:7]
	s_cbranch_execz .LBB24_86
; %bb.77:
	s_andn2_b64 vcc, exec, s[10:11]
	s_cbranch_vccnz .LBB24_79
; %bb.78:
	buffer_load_dword v62, v53, s[0:3], 0 offen
	ds_read_b32 v63, v52
	s_waitcnt vmcnt(0) lgkmcnt(0)
	v_mul_f32_e32 v62, v62, v63
	s_cbranch_execz .LBB24_80
	s_branch .LBB24_81
.LBB24_79:
                                        ; implicit-def: $vgpr62
.LBB24_80:
	ds_read_b32 v62, v52
.LBB24_81:
	s_and_saveexec_b64 s[12:13], s[4:5]
	s_cbranch_execz .LBB24_85
; %bb.82:
	v_add_u32_e32 v63, -16, v0
	s_movk_i32 s14, 0xb0
	s_mov_b64 s[4:5], 0
.LBB24_83:                              ; =>This Inner Loop Header: Depth=1
	buffer_load_dword v64, v61, s[0:3], 0 offen
	v_mov_b32_e32 v65, s14
	ds_read_b32 v65, v65
	v_add_u32_e32 v63, -1, v63
	s_add_i32 s14, s14, 4
	v_cmp_eq_u32_e32 vcc, 0, v63
	v_add_u32_e32 v61, 4, v61
	s_or_b64 s[4:5], vcc, s[4:5]
	s_waitcnt vmcnt(0) lgkmcnt(0)
	v_fmac_f32_e32 v62, v64, v65
	s_andn2_b64 exec, exec, s[4:5]
	s_cbranch_execnz .LBB24_83
; %bb.84:
	s_or_b64 exec, exec, s[4:5]
.LBB24_85:
	s_or_b64 exec, exec, s[12:13]
	v_mov_b32_e32 v61, 0
	ds_read_b32 v61, v61 offset:60
	s_waitcnt lgkmcnt(0)
	v_mul_f32_e32 v61, v62, v61
	buffer_store_dword v61, off, s[0:3], 0 offset:60
.LBB24_86:
	s_or_b64 exec, exec, s[8:9]
	buffer_load_dword v61, off, s[0:3], 0 offset:56
	v_cmp_lt_u32_e64 s[4:5], 14, v0
	s_waitcnt vmcnt(0)
	ds_write_b32 v52, v61
	s_waitcnt lgkmcnt(0)
	; wave barrier
	s_waitcnt lgkmcnt(0)
	s_and_saveexec_b64 s[8:9], s[4:5]
	s_cbranch_execz .LBB24_96
; %bb.87:
	s_andn2_b64 vcc, exec, s[10:11]
	s_cbranch_vccnz .LBB24_89
; %bb.88:
	buffer_load_dword v61, v53, s[0:3], 0 offen
	ds_read_b32 v62, v52
	s_waitcnt vmcnt(0) lgkmcnt(0)
	v_mul_f32_e32 v61, v61, v62
	s_cbranch_execz .LBB24_90
	s_branch .LBB24_91
.LBB24_89:
                                        ; implicit-def: $vgpr61
.LBB24_90:
	ds_read_b32 v61, v52
.LBB24_91:
	s_and_saveexec_b64 s[12:13], s[6:7]
	s_cbranch_execz .LBB24_95
; %bb.92:
	v_mov_b32_e32 v62, 0
	v_add_u32_e32 v62, 60, v62
	v_add_u32_e32 v63, -15, v0
	s_movk_i32 s14, 0xac
	s_mov_b64 s[6:7], 0
.LBB24_93:                              ; =>This Inner Loop Header: Depth=1
	buffer_load_dword v64, v62, s[0:3], 0 offen
	v_mov_b32_e32 v65, s14
	ds_read_b32 v65, v65
	v_add_u32_e32 v63, -1, v63
	s_add_i32 s14, s14, 4
	v_cmp_eq_u32_e32 vcc, 0, v63
	v_add_u32_e32 v62, 4, v62
	s_or_b64 s[6:7], vcc, s[6:7]
	s_waitcnt vmcnt(0) lgkmcnt(0)
	v_fmac_f32_e32 v61, v64, v65
	s_andn2_b64 exec, exec, s[6:7]
	s_cbranch_execnz .LBB24_93
; %bb.94:
	s_or_b64 exec, exec, s[6:7]
.LBB24_95:
	s_or_b64 exec, exec, s[12:13]
	v_mov_b32_e32 v62, 0
	ds_read_b32 v62, v62 offset:56
	s_waitcnt lgkmcnt(0)
	v_mul_f32_e32 v61, v61, v62
	buffer_store_dword v61, off, s[0:3], 0 offset:56
.LBB24_96:
	s_or_b64 exec, exec, s[8:9]
	buffer_load_dword v61, off, s[0:3], 0 offset:52
	v_cmp_lt_u32_e64 s[6:7], 13, v0
	s_waitcnt vmcnt(0)
	ds_write_b32 v52, v61
	s_waitcnt lgkmcnt(0)
	; wave barrier
	s_waitcnt lgkmcnt(0)
	s_and_saveexec_b64 s[8:9], s[6:7]
	s_cbranch_execz .LBB24_106
; %bb.97:
	s_andn2_b64 vcc, exec, s[10:11]
	s_cbranch_vccnz .LBB24_99
; %bb.98:
	buffer_load_dword v61, v53, s[0:3], 0 offen
	ds_read_b32 v62, v52
	s_waitcnt vmcnt(0) lgkmcnt(0)
	v_mul_f32_e32 v61, v61, v62
	s_cbranch_execz .LBB24_100
	s_branch .LBB24_101
.LBB24_99:
                                        ; implicit-def: $vgpr61
.LBB24_100:
	ds_read_b32 v61, v52
.LBB24_101:
	s_and_saveexec_b64 s[12:13], s[4:5]
	s_cbranch_execz .LBB24_105
; %bb.102:
	v_add_u32_e32 v62, -14, v0
	s_movk_i32 s14, 0xa8
	s_mov_b64 s[4:5], 0
.LBB24_103:                             ; =>This Inner Loop Header: Depth=1
	buffer_load_dword v63, v60, s[0:3], 0 offen
	v_mov_b32_e32 v64, s14
	ds_read_b32 v64, v64
	v_add_u32_e32 v62, -1, v62
	s_add_i32 s14, s14, 4
	v_cmp_eq_u32_e32 vcc, 0, v62
	v_add_u32_e32 v60, 4, v60
	s_or_b64 s[4:5], vcc, s[4:5]
	s_waitcnt vmcnt(0) lgkmcnt(0)
	v_fmac_f32_e32 v61, v63, v64
	s_andn2_b64 exec, exec, s[4:5]
	s_cbranch_execnz .LBB24_103
; %bb.104:
	s_or_b64 exec, exec, s[4:5]
.LBB24_105:
	s_or_b64 exec, exec, s[12:13]
	v_mov_b32_e32 v60, 0
	ds_read_b32 v60, v60 offset:52
	s_waitcnt lgkmcnt(0)
	v_mul_f32_e32 v60, v61, v60
	buffer_store_dword v60, off, s[0:3], 0 offset:52
.LBB24_106:
	s_or_b64 exec, exec, s[8:9]
	buffer_load_dword v60, off, s[0:3], 0 offset:48
	v_cmp_lt_u32_e64 s[4:5], 12, v0
	s_waitcnt vmcnt(0)
	ds_write_b32 v52, v60
	s_waitcnt lgkmcnt(0)
	; wave barrier
	s_waitcnt lgkmcnt(0)
	s_and_saveexec_b64 s[8:9], s[4:5]
	s_cbranch_execz .LBB24_116
; %bb.107:
	s_andn2_b64 vcc, exec, s[10:11]
	s_cbranch_vccnz .LBB24_109
; %bb.108:
	buffer_load_dword v60, v53, s[0:3], 0 offen
	ds_read_b32 v61, v52
	s_waitcnt vmcnt(0) lgkmcnt(0)
	v_mul_f32_e32 v60, v60, v61
	s_cbranch_execz .LBB24_110
	s_branch .LBB24_111
.LBB24_109:
                                        ; implicit-def: $vgpr60
.LBB24_110:
	ds_read_b32 v60, v52
.LBB24_111:
	s_and_saveexec_b64 s[12:13], s[6:7]
	s_cbranch_execz .LBB24_115
; %bb.112:
	v_mov_b32_e32 v61, 0
	v_add_u32_e32 v61, 52, v61
	v_add_u32_e32 v62, -13, v0
	s_movk_i32 s14, 0xa4
	s_mov_b64 s[6:7], 0
.LBB24_113:                             ; =>This Inner Loop Header: Depth=1
	buffer_load_dword v63, v61, s[0:3], 0 offen
	v_mov_b32_e32 v64, s14
	ds_read_b32 v64, v64
	v_add_u32_e32 v62, -1, v62
	s_add_i32 s14, s14, 4
	v_cmp_eq_u32_e32 vcc, 0, v62
	v_add_u32_e32 v61, 4, v61
	s_or_b64 s[6:7], vcc, s[6:7]
	s_waitcnt vmcnt(0) lgkmcnt(0)
	v_fmac_f32_e32 v60, v63, v64
	s_andn2_b64 exec, exec, s[6:7]
	s_cbranch_execnz .LBB24_113
; %bb.114:
	s_or_b64 exec, exec, s[6:7]
.LBB24_115:
	s_or_b64 exec, exec, s[12:13]
	v_mov_b32_e32 v61, 0
	ds_read_b32 v61, v61 offset:48
	s_waitcnt lgkmcnt(0)
	v_mul_f32_e32 v60, v60, v61
	buffer_store_dword v60, off, s[0:3], 0 offset:48
.LBB24_116:
	s_or_b64 exec, exec, s[8:9]
	buffer_load_dword v60, off, s[0:3], 0 offset:44
	v_cmp_lt_u32_e64 s[6:7], 11, v0
	s_waitcnt vmcnt(0)
	ds_write_b32 v52, v60
	s_waitcnt lgkmcnt(0)
	; wave barrier
	s_waitcnt lgkmcnt(0)
	s_and_saveexec_b64 s[8:9], s[6:7]
	s_cbranch_execz .LBB24_126
; %bb.117:
	s_andn2_b64 vcc, exec, s[10:11]
	s_cbranch_vccnz .LBB24_119
; %bb.118:
	buffer_load_dword v60, v53, s[0:3], 0 offen
	ds_read_b32 v61, v52
	s_waitcnt vmcnt(0) lgkmcnt(0)
	v_mul_f32_e32 v60, v60, v61
	s_cbranch_execz .LBB24_120
	s_branch .LBB24_121
.LBB24_119:
                                        ; implicit-def: $vgpr60
.LBB24_120:
	ds_read_b32 v60, v52
.LBB24_121:
	s_and_saveexec_b64 s[12:13], s[4:5]
	s_cbranch_execz .LBB24_125
; %bb.122:
	v_add_u32_e32 v61, -12, v0
	s_movk_i32 s14, 0xa0
	s_mov_b64 s[4:5], 0
.LBB24_123:                             ; =>This Inner Loop Header: Depth=1
	buffer_load_dword v62, v59, s[0:3], 0 offen
	v_mov_b32_e32 v63, s14
	ds_read_b32 v63, v63
	v_add_u32_e32 v61, -1, v61
	s_add_i32 s14, s14, 4
	v_cmp_eq_u32_e32 vcc, 0, v61
	v_add_u32_e32 v59, 4, v59
	s_or_b64 s[4:5], vcc, s[4:5]
	s_waitcnt vmcnt(0) lgkmcnt(0)
	v_fmac_f32_e32 v60, v62, v63
	s_andn2_b64 exec, exec, s[4:5]
	s_cbranch_execnz .LBB24_123
; %bb.124:
	s_or_b64 exec, exec, s[4:5]
.LBB24_125:
	s_or_b64 exec, exec, s[12:13]
	v_mov_b32_e32 v59, 0
	ds_read_b32 v59, v59 offset:44
	s_waitcnt lgkmcnt(0)
	v_mul_f32_e32 v59, v60, v59
	buffer_store_dword v59, off, s[0:3], 0 offset:44
.LBB24_126:
	s_or_b64 exec, exec, s[8:9]
	buffer_load_dword v59, off, s[0:3], 0 offset:40
	v_cmp_lt_u32_e64 s[4:5], 10, v0
	s_waitcnt vmcnt(0)
	ds_write_b32 v52, v59
	s_waitcnt lgkmcnt(0)
	; wave barrier
	s_waitcnt lgkmcnt(0)
	s_and_saveexec_b64 s[8:9], s[4:5]
	s_cbranch_execz .LBB24_136
; %bb.127:
	s_andn2_b64 vcc, exec, s[10:11]
	s_cbranch_vccnz .LBB24_129
; %bb.128:
	buffer_load_dword v59, v53, s[0:3], 0 offen
	ds_read_b32 v60, v52
	s_waitcnt vmcnt(0) lgkmcnt(0)
	v_mul_f32_e32 v59, v59, v60
	s_cbranch_execz .LBB24_130
	s_branch .LBB24_131
.LBB24_129:
                                        ; implicit-def: $vgpr59
.LBB24_130:
	ds_read_b32 v59, v52
.LBB24_131:
	s_and_saveexec_b64 s[12:13], s[6:7]
	s_cbranch_execz .LBB24_135
; %bb.132:
	v_mov_b32_e32 v60, 0
	v_add_u32_e32 v60, 44, v60
	v_add_u32_e32 v61, -11, v0
	s_movk_i32 s14, 0x9c
	s_mov_b64 s[6:7], 0
.LBB24_133:                             ; =>This Inner Loop Header: Depth=1
	buffer_load_dword v62, v60, s[0:3], 0 offen
	v_mov_b32_e32 v63, s14
	ds_read_b32 v63, v63
	v_add_u32_e32 v61, -1, v61
	s_add_i32 s14, s14, 4
	v_cmp_eq_u32_e32 vcc, 0, v61
	v_add_u32_e32 v60, 4, v60
	s_or_b64 s[6:7], vcc, s[6:7]
	s_waitcnt vmcnt(0) lgkmcnt(0)
	v_fmac_f32_e32 v59, v62, v63
	s_andn2_b64 exec, exec, s[6:7]
	s_cbranch_execnz .LBB24_133
; %bb.134:
	s_or_b64 exec, exec, s[6:7]
.LBB24_135:
	s_or_b64 exec, exec, s[12:13]
	v_mov_b32_e32 v60, 0
	ds_read_b32 v60, v60 offset:40
	s_waitcnt lgkmcnt(0)
	v_mul_f32_e32 v59, v59, v60
	buffer_store_dword v59, off, s[0:3], 0 offset:40
.LBB24_136:
	s_or_b64 exec, exec, s[8:9]
	buffer_load_dword v59, off, s[0:3], 0 offset:36
	v_cmp_lt_u32_e64 s[6:7], 9, v0
	s_waitcnt vmcnt(0)
	ds_write_b32 v52, v59
	s_waitcnt lgkmcnt(0)
	; wave barrier
	s_waitcnt lgkmcnt(0)
	s_and_saveexec_b64 s[8:9], s[6:7]
	s_cbranch_execz .LBB24_146
; %bb.137:
	s_andn2_b64 vcc, exec, s[10:11]
	s_cbranch_vccnz .LBB24_139
; %bb.138:
	buffer_load_dword v59, v53, s[0:3], 0 offen
	ds_read_b32 v60, v52
	s_waitcnt vmcnt(0) lgkmcnt(0)
	v_mul_f32_e32 v59, v59, v60
	s_cbranch_execz .LBB24_140
	s_branch .LBB24_141
.LBB24_139:
                                        ; implicit-def: $vgpr59
.LBB24_140:
	ds_read_b32 v59, v52
.LBB24_141:
	s_and_saveexec_b64 s[12:13], s[4:5]
	s_cbranch_execz .LBB24_145
; %bb.142:
	v_add_u32_e32 v60, -10, v0
	s_movk_i32 s14, 0x98
	s_mov_b64 s[4:5], 0
.LBB24_143:                             ; =>This Inner Loop Header: Depth=1
	buffer_load_dword v61, v58, s[0:3], 0 offen
	v_mov_b32_e32 v62, s14
	ds_read_b32 v62, v62
	v_add_u32_e32 v60, -1, v60
	s_add_i32 s14, s14, 4
	v_cmp_eq_u32_e32 vcc, 0, v60
	v_add_u32_e32 v58, 4, v58
	s_or_b64 s[4:5], vcc, s[4:5]
	s_waitcnt vmcnt(0) lgkmcnt(0)
	v_fmac_f32_e32 v59, v61, v62
	s_andn2_b64 exec, exec, s[4:5]
	s_cbranch_execnz .LBB24_143
; %bb.144:
	s_or_b64 exec, exec, s[4:5]
.LBB24_145:
	s_or_b64 exec, exec, s[12:13]
	v_mov_b32_e32 v58, 0
	ds_read_b32 v58, v58 offset:36
	s_waitcnt lgkmcnt(0)
	v_mul_f32_e32 v58, v59, v58
	buffer_store_dword v58, off, s[0:3], 0 offset:36
.LBB24_146:
	s_or_b64 exec, exec, s[8:9]
	buffer_load_dword v58, off, s[0:3], 0 offset:32
	v_cmp_lt_u32_e64 s[4:5], 8, v0
	s_waitcnt vmcnt(0)
	ds_write_b32 v52, v58
	s_waitcnt lgkmcnt(0)
	; wave barrier
	s_waitcnt lgkmcnt(0)
	s_and_saveexec_b64 s[8:9], s[4:5]
	s_cbranch_execz .LBB24_156
; %bb.147:
	s_andn2_b64 vcc, exec, s[10:11]
	s_cbranch_vccnz .LBB24_149
; %bb.148:
	buffer_load_dword v58, v53, s[0:3], 0 offen
	ds_read_b32 v59, v52
	s_waitcnt vmcnt(0) lgkmcnt(0)
	v_mul_f32_e32 v58, v58, v59
	s_cbranch_execz .LBB24_150
	s_branch .LBB24_151
.LBB24_149:
                                        ; implicit-def: $vgpr58
.LBB24_150:
	ds_read_b32 v58, v52
.LBB24_151:
	s_and_saveexec_b64 s[12:13], s[6:7]
	s_cbranch_execz .LBB24_155
; %bb.152:
	v_mov_b32_e32 v59, 0
	v_add_u32_e32 v59, 36, v59
	v_add_u32_e32 v60, -9, v0
	s_movk_i32 s14, 0x94
	s_mov_b64 s[6:7], 0
.LBB24_153:                             ; =>This Inner Loop Header: Depth=1
	buffer_load_dword v61, v59, s[0:3], 0 offen
	v_mov_b32_e32 v62, s14
	ds_read_b32 v62, v62
	v_add_u32_e32 v60, -1, v60
	s_add_i32 s14, s14, 4
	v_cmp_eq_u32_e32 vcc, 0, v60
	v_add_u32_e32 v59, 4, v59
	s_or_b64 s[6:7], vcc, s[6:7]
	s_waitcnt vmcnt(0) lgkmcnt(0)
	v_fmac_f32_e32 v58, v61, v62
	s_andn2_b64 exec, exec, s[6:7]
	s_cbranch_execnz .LBB24_153
; %bb.154:
	s_or_b64 exec, exec, s[6:7]
.LBB24_155:
	s_or_b64 exec, exec, s[12:13]
	v_mov_b32_e32 v59, 0
	ds_read_b32 v59, v59 offset:32
	s_waitcnt lgkmcnt(0)
	v_mul_f32_e32 v58, v58, v59
	buffer_store_dword v58, off, s[0:3], 0 offset:32
.LBB24_156:
	s_or_b64 exec, exec, s[8:9]
	buffer_load_dword v58, off, s[0:3], 0 offset:28
	v_cmp_lt_u32_e64 s[6:7], 7, v0
	s_waitcnt vmcnt(0)
	ds_write_b32 v52, v58
	s_waitcnt lgkmcnt(0)
	; wave barrier
	s_waitcnt lgkmcnt(0)
	s_and_saveexec_b64 s[8:9], s[6:7]
	s_cbranch_execz .LBB24_166
; %bb.157:
	s_andn2_b64 vcc, exec, s[10:11]
	s_cbranch_vccnz .LBB24_159
; %bb.158:
	buffer_load_dword v58, v53, s[0:3], 0 offen
	ds_read_b32 v59, v52
	s_waitcnt vmcnt(0) lgkmcnt(0)
	v_mul_f32_e32 v58, v58, v59
	s_cbranch_execz .LBB24_160
	s_branch .LBB24_161
.LBB24_159:
                                        ; implicit-def: $vgpr58
.LBB24_160:
	ds_read_b32 v58, v52
.LBB24_161:
	s_and_saveexec_b64 s[12:13], s[4:5]
	s_cbranch_execz .LBB24_165
; %bb.162:
	v_add_u32_e32 v59, -8, v0
	s_movk_i32 s14, 0x90
	s_mov_b64 s[4:5], 0
.LBB24_163:                             ; =>This Inner Loop Header: Depth=1
	buffer_load_dword v60, v57, s[0:3], 0 offen
	v_mov_b32_e32 v61, s14
	ds_read_b32 v61, v61
	v_add_u32_e32 v59, -1, v59
	s_add_i32 s14, s14, 4
	v_cmp_eq_u32_e32 vcc, 0, v59
	v_add_u32_e32 v57, 4, v57
	s_or_b64 s[4:5], vcc, s[4:5]
	s_waitcnt vmcnt(0) lgkmcnt(0)
	v_fmac_f32_e32 v58, v60, v61
	s_andn2_b64 exec, exec, s[4:5]
	s_cbranch_execnz .LBB24_163
; %bb.164:
	s_or_b64 exec, exec, s[4:5]
.LBB24_165:
	s_or_b64 exec, exec, s[12:13]
	v_mov_b32_e32 v57, 0
	ds_read_b32 v57, v57 offset:28
	s_waitcnt lgkmcnt(0)
	v_mul_f32_e32 v57, v58, v57
	buffer_store_dword v57, off, s[0:3], 0 offset:28
.LBB24_166:
	s_or_b64 exec, exec, s[8:9]
	buffer_load_dword v57, off, s[0:3], 0 offset:24
	v_cmp_lt_u32_e64 s[4:5], 6, v0
	s_waitcnt vmcnt(0)
	ds_write_b32 v52, v57
	s_waitcnt lgkmcnt(0)
	; wave barrier
	s_waitcnt lgkmcnt(0)
	s_and_saveexec_b64 s[8:9], s[4:5]
	s_cbranch_execz .LBB24_176
; %bb.167:
	s_andn2_b64 vcc, exec, s[10:11]
	s_cbranch_vccnz .LBB24_169
; %bb.168:
	buffer_load_dword v57, v53, s[0:3], 0 offen
	ds_read_b32 v58, v52
	s_waitcnt vmcnt(0) lgkmcnt(0)
	v_mul_f32_e32 v57, v57, v58
	s_cbranch_execz .LBB24_170
	s_branch .LBB24_171
.LBB24_169:
                                        ; implicit-def: $vgpr57
.LBB24_170:
	ds_read_b32 v57, v52
.LBB24_171:
	s_and_saveexec_b64 s[12:13], s[6:7]
	s_cbranch_execz .LBB24_175
; %bb.172:
	v_mov_b32_e32 v58, 0
	v_add_u32_e32 v58, 28, v58
	v_add_u32_e32 v59, -7, v0
	s_movk_i32 s14, 0x8c
	s_mov_b64 s[6:7], 0
.LBB24_173:                             ; =>This Inner Loop Header: Depth=1
	buffer_load_dword v60, v58, s[0:3], 0 offen
	v_mov_b32_e32 v61, s14
	ds_read_b32 v61, v61
	v_add_u32_e32 v59, -1, v59
	s_add_i32 s14, s14, 4
	v_cmp_eq_u32_e32 vcc, 0, v59
	v_add_u32_e32 v58, 4, v58
	s_or_b64 s[6:7], vcc, s[6:7]
	s_waitcnt vmcnt(0) lgkmcnt(0)
	v_fmac_f32_e32 v57, v60, v61
	s_andn2_b64 exec, exec, s[6:7]
	s_cbranch_execnz .LBB24_173
; %bb.174:
	s_or_b64 exec, exec, s[6:7]
.LBB24_175:
	s_or_b64 exec, exec, s[12:13]
	v_mov_b32_e32 v58, 0
	ds_read_b32 v58, v58 offset:24
	s_waitcnt lgkmcnt(0)
	v_mul_f32_e32 v57, v57, v58
	buffer_store_dword v57, off, s[0:3], 0 offset:24
.LBB24_176:
	s_or_b64 exec, exec, s[8:9]
	buffer_load_dword v57, off, s[0:3], 0 offset:20
	v_cmp_lt_u32_e64 s[6:7], 5, v0
	s_waitcnt vmcnt(0)
	ds_write_b32 v52, v57
	s_waitcnt lgkmcnt(0)
	; wave barrier
	s_waitcnt lgkmcnt(0)
	s_and_saveexec_b64 s[8:9], s[6:7]
	s_cbranch_execz .LBB24_186
; %bb.177:
	s_andn2_b64 vcc, exec, s[10:11]
	s_cbranch_vccnz .LBB24_179
; %bb.178:
	buffer_load_dword v57, v53, s[0:3], 0 offen
	ds_read_b32 v58, v52
	s_waitcnt vmcnt(0) lgkmcnt(0)
	v_mul_f32_e32 v57, v57, v58
	s_cbranch_execz .LBB24_180
	s_branch .LBB24_181
.LBB24_179:
                                        ; implicit-def: $vgpr57
.LBB24_180:
	ds_read_b32 v57, v52
.LBB24_181:
	s_and_saveexec_b64 s[12:13], s[4:5]
	s_cbranch_execz .LBB24_185
; %bb.182:
	v_add_u32_e32 v58, -6, v0
	s_movk_i32 s14, 0x88
	s_mov_b64 s[4:5], 0
.LBB24_183:                             ; =>This Inner Loop Header: Depth=1
	buffer_load_dword v59, v56, s[0:3], 0 offen
	v_mov_b32_e32 v60, s14
	ds_read_b32 v60, v60
	v_add_u32_e32 v58, -1, v58
	s_add_i32 s14, s14, 4
	v_cmp_eq_u32_e32 vcc, 0, v58
	v_add_u32_e32 v56, 4, v56
	s_or_b64 s[4:5], vcc, s[4:5]
	s_waitcnt vmcnt(0) lgkmcnt(0)
	v_fmac_f32_e32 v57, v59, v60
	s_andn2_b64 exec, exec, s[4:5]
	s_cbranch_execnz .LBB24_183
; %bb.184:
	s_or_b64 exec, exec, s[4:5]
.LBB24_185:
	s_or_b64 exec, exec, s[12:13]
	v_mov_b32_e32 v56, 0
	ds_read_b32 v56, v56 offset:20
	s_waitcnt lgkmcnt(0)
	v_mul_f32_e32 v56, v57, v56
	buffer_store_dword v56, off, s[0:3], 0 offset:20
.LBB24_186:
	s_or_b64 exec, exec, s[8:9]
	buffer_load_dword v56, off, s[0:3], 0 offset:16
	v_cmp_lt_u32_e64 s[4:5], 4, v0
	s_waitcnt vmcnt(0)
	ds_write_b32 v52, v56
	s_waitcnt lgkmcnt(0)
	; wave barrier
	s_waitcnt lgkmcnt(0)
	s_and_saveexec_b64 s[8:9], s[4:5]
	s_cbranch_execz .LBB24_196
; %bb.187:
	s_andn2_b64 vcc, exec, s[10:11]
	s_cbranch_vccnz .LBB24_189
; %bb.188:
	buffer_load_dword v56, v53, s[0:3], 0 offen
	ds_read_b32 v57, v52
	s_waitcnt vmcnt(0) lgkmcnt(0)
	v_mul_f32_e32 v56, v56, v57
	s_cbranch_execz .LBB24_190
	s_branch .LBB24_191
.LBB24_189:
                                        ; implicit-def: $vgpr56
.LBB24_190:
	ds_read_b32 v56, v52
.LBB24_191:
	s_and_saveexec_b64 s[12:13], s[6:7]
	s_cbranch_execz .LBB24_195
; %bb.192:
	v_mov_b32_e32 v57, 0
	v_add_u32_e32 v57, 20, v57
	v_add_u32_e32 v58, -5, v0
	s_movk_i32 s14, 0x84
	s_mov_b64 s[6:7], 0
.LBB24_193:                             ; =>This Inner Loop Header: Depth=1
	buffer_load_dword v59, v57, s[0:3], 0 offen
	v_mov_b32_e32 v60, s14
	ds_read_b32 v60, v60
	v_add_u32_e32 v58, -1, v58
	s_add_i32 s14, s14, 4
	v_cmp_eq_u32_e32 vcc, 0, v58
	v_add_u32_e32 v57, 4, v57
	s_or_b64 s[6:7], vcc, s[6:7]
	s_waitcnt vmcnt(0) lgkmcnt(0)
	v_fmac_f32_e32 v56, v59, v60
	s_andn2_b64 exec, exec, s[6:7]
	s_cbranch_execnz .LBB24_193
; %bb.194:
	s_or_b64 exec, exec, s[6:7]
.LBB24_195:
	s_or_b64 exec, exec, s[12:13]
	v_mov_b32_e32 v57, 0
	ds_read_b32 v57, v57 offset:16
	s_waitcnt lgkmcnt(0)
	v_mul_f32_e32 v56, v56, v57
	buffer_store_dword v56, off, s[0:3], 0 offset:16
.LBB24_196:
	s_or_b64 exec, exec, s[8:9]
	buffer_load_dword v56, off, s[0:3], 0 offset:12
	v_cmp_lt_u32_e64 s[6:7], 3, v0
	s_waitcnt vmcnt(0)
	ds_write_b32 v52, v56
	s_waitcnt lgkmcnt(0)
	; wave barrier
	s_waitcnt lgkmcnt(0)
	s_and_saveexec_b64 s[8:9], s[6:7]
	s_cbranch_execz .LBB24_206
; %bb.197:
	s_andn2_b64 vcc, exec, s[10:11]
	s_cbranch_vccnz .LBB24_199
; %bb.198:
	buffer_load_dword v56, v53, s[0:3], 0 offen
	ds_read_b32 v57, v52
	s_waitcnt vmcnt(0) lgkmcnt(0)
	v_mul_f32_e32 v56, v56, v57
	s_cbranch_execz .LBB24_200
	s_branch .LBB24_201
.LBB24_199:
                                        ; implicit-def: $vgpr56
.LBB24_200:
	ds_read_b32 v56, v52
.LBB24_201:
	s_and_saveexec_b64 s[12:13], s[4:5]
	s_cbranch_execz .LBB24_205
; %bb.202:
	v_add_u32_e32 v57, -4, v0
	s_movk_i32 s14, 0x80
	s_mov_b64 s[4:5], 0
.LBB24_203:                             ; =>This Inner Loop Header: Depth=1
	buffer_load_dword v58, v55, s[0:3], 0 offen
	v_mov_b32_e32 v59, s14
	ds_read_b32 v59, v59
	v_add_u32_e32 v57, -1, v57
	s_add_i32 s14, s14, 4
	v_cmp_eq_u32_e32 vcc, 0, v57
	v_add_u32_e32 v55, 4, v55
	s_or_b64 s[4:5], vcc, s[4:5]
	s_waitcnt vmcnt(0) lgkmcnt(0)
	v_fmac_f32_e32 v56, v58, v59
	s_andn2_b64 exec, exec, s[4:5]
	s_cbranch_execnz .LBB24_203
; %bb.204:
	s_or_b64 exec, exec, s[4:5]
.LBB24_205:
	s_or_b64 exec, exec, s[12:13]
	v_mov_b32_e32 v55, 0
	ds_read_b32 v55, v55 offset:12
	s_waitcnt lgkmcnt(0)
	v_mul_f32_e32 v55, v56, v55
	buffer_store_dword v55, off, s[0:3], 0 offset:12
.LBB24_206:
	s_or_b64 exec, exec, s[8:9]
	buffer_load_dword v55, off, s[0:3], 0 offset:8
	v_cmp_lt_u32_e64 s[4:5], 2, v0
	s_waitcnt vmcnt(0)
	ds_write_b32 v52, v55
	s_waitcnt lgkmcnt(0)
	; wave barrier
	s_waitcnt lgkmcnt(0)
	s_and_saveexec_b64 s[8:9], s[4:5]
	s_cbranch_execz .LBB24_216
; %bb.207:
	s_andn2_b64 vcc, exec, s[10:11]
	s_cbranch_vccnz .LBB24_209
; %bb.208:
	buffer_load_dword v55, v53, s[0:3], 0 offen
	ds_read_b32 v56, v52
	s_waitcnt vmcnt(0) lgkmcnt(0)
	v_mul_f32_e32 v55, v55, v56
	s_cbranch_execz .LBB24_210
	s_branch .LBB24_211
.LBB24_209:
                                        ; implicit-def: $vgpr55
.LBB24_210:
	ds_read_b32 v55, v52
.LBB24_211:
	s_and_saveexec_b64 s[12:13], s[6:7]
	s_cbranch_execz .LBB24_215
; %bb.212:
	v_mov_b32_e32 v56, 0
	v_or_b32_e32 v56, 12, v56
	v_add_u32_e32 v57, -3, v0
	s_movk_i32 s14, 0x7c
	s_mov_b64 s[6:7], 0
.LBB24_213:                             ; =>This Inner Loop Header: Depth=1
	buffer_load_dword v58, v56, s[0:3], 0 offen
	v_mov_b32_e32 v59, s14
	ds_read_b32 v59, v59
	v_add_u32_e32 v57, -1, v57
	s_add_i32 s14, s14, 4
	v_cmp_eq_u32_e32 vcc, 0, v57
	v_add_u32_e32 v56, 4, v56
	s_or_b64 s[6:7], vcc, s[6:7]
	s_waitcnt vmcnt(0) lgkmcnt(0)
	v_fmac_f32_e32 v55, v58, v59
	s_andn2_b64 exec, exec, s[6:7]
	s_cbranch_execnz .LBB24_213
; %bb.214:
	s_or_b64 exec, exec, s[6:7]
.LBB24_215:
	s_or_b64 exec, exec, s[12:13]
	v_mov_b32_e32 v56, 0
	ds_read_b32 v56, v56 offset:8
	s_waitcnt lgkmcnt(0)
	v_mul_f32_e32 v55, v55, v56
	buffer_store_dword v55, off, s[0:3], 0 offset:8
.LBB24_216:
	s_or_b64 exec, exec, s[8:9]
	buffer_load_dword v55, off, s[0:3], 0 offset:4
	v_cmp_lt_u32_e64 s[6:7], 1, v0
	s_waitcnt vmcnt(0)
	ds_write_b32 v52, v55
	s_waitcnt lgkmcnt(0)
	; wave barrier
	s_waitcnt lgkmcnt(0)
	s_and_saveexec_b64 s[8:9], s[6:7]
	s_cbranch_execz .LBB24_226
; %bb.217:
	s_andn2_b64 vcc, exec, s[10:11]
	s_cbranch_vccnz .LBB24_219
; %bb.218:
	buffer_load_dword v55, v53, s[0:3], 0 offen
	ds_read_b32 v56, v52
	s_waitcnt vmcnt(0) lgkmcnt(0)
	v_mul_f32_e32 v55, v55, v56
	s_cbranch_execz .LBB24_220
	s_branch .LBB24_221
.LBB24_219:
                                        ; implicit-def: $vgpr55
.LBB24_220:
	ds_read_b32 v55, v52
.LBB24_221:
	s_and_saveexec_b64 s[12:13], s[4:5]
	s_cbranch_execz .LBB24_225
; %bb.222:
	v_add_u32_e32 v56, -2, v0
	s_movk_i32 s14, 0x78
	s_mov_b64 s[4:5], 0
.LBB24_223:                             ; =>This Inner Loop Header: Depth=1
	buffer_load_dword v57, v54, s[0:3], 0 offen
	v_mov_b32_e32 v58, s14
	ds_read_b32 v58, v58
	v_add_u32_e32 v56, -1, v56
	s_add_i32 s14, s14, 4
	v_cmp_eq_u32_e32 vcc, 0, v56
	v_add_u32_e32 v54, 4, v54
	s_or_b64 s[4:5], vcc, s[4:5]
	s_waitcnt vmcnt(0) lgkmcnt(0)
	v_fmac_f32_e32 v55, v57, v58
	s_andn2_b64 exec, exec, s[4:5]
	s_cbranch_execnz .LBB24_223
; %bb.224:
	s_or_b64 exec, exec, s[4:5]
.LBB24_225:
	s_or_b64 exec, exec, s[12:13]
	v_mov_b32_e32 v54, 0
	ds_read_b32 v54, v54 offset:4
	s_waitcnt lgkmcnt(0)
	v_mul_f32_e32 v54, v55, v54
	buffer_store_dword v54, off, s[0:3], 0 offset:4
.LBB24_226:
	s_or_b64 exec, exec, s[8:9]
	buffer_load_dword v54, off, s[0:3], 0
	v_cmp_ne_u32_e32 vcc, 0, v0
	s_waitcnt vmcnt(0)
	ds_write_b32 v52, v54
	s_waitcnt lgkmcnt(0)
	; wave barrier
	s_waitcnt lgkmcnt(0)
	s_and_saveexec_b64 s[4:5], vcc
	s_cbranch_execz .LBB24_236
; %bb.227:
	s_andn2_b64 vcc, exec, s[10:11]
	s_cbranch_vccnz .LBB24_229
; %bb.228:
	buffer_load_dword v54, v53, s[0:3], 0 offen
	ds_read_b32 v55, v52
	s_waitcnt vmcnt(0) lgkmcnt(0)
	v_mul_f32_e32 v54, v54, v55
	s_cbranch_execz .LBB24_230
	s_branch .LBB24_231
.LBB24_229:
                                        ; implicit-def: $vgpr54
.LBB24_230:
	ds_read_b32 v54, v52
.LBB24_231:
	s_and_saveexec_b64 s[8:9], s[6:7]
	s_cbranch_execz .LBB24_235
; %bb.232:
	v_mov_b32_e32 v55, 0
	v_or_b32_e32 v55, 4, v55
	v_add_u32_e32 v56, -1, v0
	s_movk_i32 s12, 0x74
	s_mov_b64 s[6:7], 0
.LBB24_233:                             ; =>This Inner Loop Header: Depth=1
	buffer_load_dword v57, v55, s[0:3], 0 offen
	v_mov_b32_e32 v58, s12
	ds_read_b32 v58, v58
	v_add_u32_e32 v56, -1, v56
	s_add_i32 s12, s12, 4
	v_cmp_eq_u32_e32 vcc, 0, v56
	v_add_u32_e32 v55, 4, v55
	s_or_b64 s[6:7], vcc, s[6:7]
	s_waitcnt vmcnt(0) lgkmcnt(0)
	v_fmac_f32_e32 v54, v57, v58
	s_andn2_b64 exec, exec, s[6:7]
	s_cbranch_execnz .LBB24_233
; %bb.234:
	s_or_b64 exec, exec, s[6:7]
.LBB24_235:
	s_or_b64 exec, exec, s[8:9]
	v_mov_b32_e32 v55, 0
	ds_read_b32 v55, v55
	s_waitcnt lgkmcnt(0)
	v_mul_f32_e32 v54, v54, v55
	buffer_store_dword v54, off, s[0:3], 0
.LBB24_236:
	s_or_b64 exec, exec, s[4:5]
	s_mov_b64 s[4:5], 0
.LBB24_237:
	s_and_b64 vcc, exec, s[4:5]
	s_cbranch_vccz .LBB24_471
; %bb.238:
	buffer_load_dword v54, off, s[0:3], 0 offset:4
	v_cmp_eq_u32_e64 s[6:7], 0, v0
	s_waitcnt vmcnt(0)
	ds_write_b32 v52, v54
	s_waitcnt lgkmcnt(0)
	; wave barrier
	s_waitcnt lgkmcnt(0)
	s_and_saveexec_b64 s[4:5], s[6:7]
	s_cbranch_execz .LBB24_244
; %bb.239:
	s_and_b64 vcc, exec, s[10:11]
	s_cbranch_vccz .LBB24_241
; %bb.240:
	buffer_load_dword v54, v53, s[0:3], 0 offen
	ds_read_b32 v55, v52
	s_waitcnt vmcnt(0) lgkmcnt(0)
	v_mul_f32_e32 v54, v54, v55
	s_cbranch_execz .LBB24_242
	s_branch .LBB24_243
.LBB24_241:
                                        ; implicit-def: $vgpr54
.LBB24_242:
	ds_read_b32 v54, v52
.LBB24_243:
	v_mov_b32_e32 v55, 0
	ds_read_b32 v55, v55 offset:4
	s_waitcnt lgkmcnt(0)
	v_mul_f32_e32 v54, v54, v55
	buffer_store_dword v54, off, s[0:3], 0 offset:4
.LBB24_244:
	s_or_b64 exec, exec, s[4:5]
	buffer_load_dword v54, off, s[0:3], 0 offset:8
	v_cndmask_b32_e64 v55, 0, 1, s[10:11]
	v_cmp_gt_u32_e32 vcc, 2, v0
	v_cmp_ne_u32_e64 s[4:5], 1, v55
	s_waitcnt vmcnt(0)
	ds_write_b32 v52, v54
	s_waitcnt lgkmcnt(0)
	; wave barrier
	s_waitcnt lgkmcnt(0)
	s_and_saveexec_b64 s[8:9], vcc
	s_cbranch_execz .LBB24_252
; %bb.245:
	s_and_b64 vcc, exec, s[4:5]
	s_cbranch_vccnz .LBB24_247
; %bb.246:
	buffer_load_dword v54, v53, s[0:3], 0 offen
	ds_read_b32 v55, v52
	s_waitcnt vmcnt(0) lgkmcnt(0)
	v_mul_f32_e32 v54, v54, v55
	s_cbranch_execz .LBB24_248
	s_branch .LBB24_249
.LBB24_247:
                                        ; implicit-def: $vgpr54
.LBB24_248:
	ds_read_b32 v54, v52
.LBB24_249:
	s_and_saveexec_b64 s[10:11], s[6:7]
	s_cbranch_execz .LBB24_251
; %bb.250:
	buffer_load_dword v55, v53, s[0:3], 0 offen offset:4
	ds_read_b32 v56, v52 offset:4
	s_waitcnt vmcnt(0) lgkmcnt(0)
	v_fmac_f32_e32 v54, v55, v56
.LBB24_251:
	s_or_b64 exec, exec, s[10:11]
	v_mov_b32_e32 v55, 0
	ds_read_b32 v55, v55 offset:8
	s_waitcnt lgkmcnt(0)
	v_mul_f32_e32 v54, v54, v55
	buffer_store_dword v54, off, s[0:3], 0 offset:8
.LBB24_252:
	s_or_b64 exec, exec, s[8:9]
	buffer_load_dword v54, off, s[0:3], 0 offset:12
	v_cmp_gt_u32_e32 vcc, 3, v0
	s_waitcnt vmcnt(0)
	ds_write_b32 v52, v54
	s_waitcnt lgkmcnt(0)
	; wave barrier
	s_waitcnt lgkmcnt(0)
	s_and_saveexec_b64 s[8:9], vcc
	s_cbranch_execz .LBB24_260
; %bb.253:
	s_and_b64 vcc, exec, s[4:5]
	s_cbranch_vccnz .LBB24_255
; %bb.254:
	buffer_load_dword v54, v53, s[0:3], 0 offen
	ds_read_b32 v55, v52
	s_waitcnt vmcnt(0) lgkmcnt(0)
	v_mul_f32_e32 v54, v54, v55
	s_cbranch_execz .LBB24_256
	s_branch .LBB24_257
.LBB24_255:
                                        ; implicit-def: $vgpr54
.LBB24_256:
	ds_read_b32 v54, v52
.LBB24_257:
	v_cmp_ne_u32_e32 vcc, 2, v0
	s_and_saveexec_b64 s[10:11], vcc
	s_cbranch_execz .LBB24_259
; %bb.258:
	buffer_load_dword v55, v53, s[0:3], 0 offen offset:4
	buffer_load_dword v56, off, s[0:3], 0 offset:8
	v_mov_b32_e32 v57, 0
	ds_read_b32 v58, v52 offset:4
	ds_read_b32 v57, v57 offset:120
	s_waitcnt vmcnt(1) lgkmcnt(1)
	v_fmac_f32_e32 v54, v55, v58
	s_waitcnt vmcnt(0) lgkmcnt(0)
	v_fma_f32 v55, v56, v57, v54
	v_cndmask_b32_e64 v54, v54, v55, s[6:7]
.LBB24_259:
	s_or_b64 exec, exec, s[10:11]
	v_mov_b32_e32 v55, 0
	ds_read_b32 v55, v55 offset:12
	s_waitcnt lgkmcnt(0)
	v_mul_f32_e32 v54, v54, v55
	buffer_store_dword v54, off, s[0:3], 0 offset:12
.LBB24_260:
	s_or_b64 exec, exec, s[8:9]
	buffer_load_dword v54, off, s[0:3], 0 offset:16
	v_cmp_gt_u32_e32 vcc, 4, v0
	s_waitcnt vmcnt(0)
	ds_write_b32 v52, v54
	s_waitcnt lgkmcnt(0)
	; wave barrier
	s_waitcnt lgkmcnt(0)
	s_and_saveexec_b64 s[6:7], vcc
	s_cbranch_execz .LBB24_270
; %bb.261:
	s_and_b64 vcc, exec, s[4:5]
	s_cbranch_vccnz .LBB24_263
; %bb.262:
	buffer_load_dword v54, v53, s[0:3], 0 offen
	ds_read_b32 v55, v52
	s_waitcnt vmcnt(0) lgkmcnt(0)
	v_mul_f32_e32 v54, v54, v55
	s_cbranch_execz .LBB24_264
	s_branch .LBB24_265
.LBB24_263:
                                        ; implicit-def: $vgpr54
.LBB24_264:
	ds_read_b32 v54, v52
.LBB24_265:
	v_cmp_ne_u32_e32 vcc, 3, v0
	s_and_saveexec_b64 s[8:9], vcc
	s_cbranch_execz .LBB24_269
; %bb.266:
	v_mov_b32_e32 v56, 0
	v_add_u32_e32 v55, 0x74, v1
	v_add3_u32 v56, v1, v56, 4
	s_mov_b64 s[10:11], 0
	v_mov_b32_e32 v57, v0
.LBB24_267:                             ; =>This Inner Loop Header: Depth=1
	buffer_load_dword v58, v56, s[0:3], 0 offen
	ds_read_b32 v59, v55
	v_add_u32_e32 v57, 1, v57
	v_cmp_lt_u32_e32 vcc, 2, v57
	v_add_u32_e32 v55, 4, v55
	v_add_u32_e32 v56, 4, v56
	s_or_b64 s[10:11], vcc, s[10:11]
	s_waitcnt vmcnt(0) lgkmcnt(0)
	v_fmac_f32_e32 v54, v58, v59
	s_andn2_b64 exec, exec, s[10:11]
	s_cbranch_execnz .LBB24_267
; %bb.268:
	s_or_b64 exec, exec, s[10:11]
.LBB24_269:
	s_or_b64 exec, exec, s[8:9]
	v_mov_b32_e32 v55, 0
	ds_read_b32 v55, v55 offset:16
	s_waitcnt lgkmcnt(0)
	v_mul_f32_e32 v54, v54, v55
	buffer_store_dword v54, off, s[0:3], 0 offset:16
.LBB24_270:
	s_or_b64 exec, exec, s[6:7]
	buffer_load_dword v54, off, s[0:3], 0 offset:20
	v_cmp_gt_u32_e32 vcc, 5, v0
	s_waitcnt vmcnt(0)
	ds_write_b32 v52, v54
	s_waitcnt lgkmcnt(0)
	; wave barrier
	s_waitcnt lgkmcnt(0)
	s_and_saveexec_b64 s[6:7], vcc
	s_cbranch_execz .LBB24_280
; %bb.271:
	s_and_b64 vcc, exec, s[4:5]
	s_cbranch_vccnz .LBB24_273
; %bb.272:
	buffer_load_dword v54, v53, s[0:3], 0 offen
	ds_read_b32 v55, v52
	s_waitcnt vmcnt(0) lgkmcnt(0)
	v_mul_f32_e32 v54, v54, v55
	s_cbranch_execz .LBB24_274
	s_branch .LBB24_275
.LBB24_273:
                                        ; implicit-def: $vgpr54
.LBB24_274:
	ds_read_b32 v54, v52
.LBB24_275:
	v_cmp_ne_u32_e32 vcc, 4, v0
	s_and_saveexec_b64 s[8:9], vcc
	s_cbranch_execz .LBB24_279
; %bb.276:
	v_mov_b32_e32 v56, 0
	v_add_u32_e32 v55, 0x74, v1
	v_add3_u32 v56, v1, v56, 4
	s_mov_b64 s[10:11], 0
	v_mov_b32_e32 v57, v0
.LBB24_277:                             ; =>This Inner Loop Header: Depth=1
	buffer_load_dword v58, v56, s[0:3], 0 offen
	ds_read_b32 v59, v55
	v_add_u32_e32 v57, 1, v57
	v_cmp_lt_u32_e32 vcc, 3, v57
	v_add_u32_e32 v55, 4, v55
	v_add_u32_e32 v56, 4, v56
	s_or_b64 s[10:11], vcc, s[10:11]
	s_waitcnt vmcnt(0) lgkmcnt(0)
	v_fmac_f32_e32 v54, v58, v59
	s_andn2_b64 exec, exec, s[10:11]
	s_cbranch_execnz .LBB24_277
; %bb.278:
	s_or_b64 exec, exec, s[10:11]
.LBB24_279:
	s_or_b64 exec, exec, s[8:9]
	v_mov_b32_e32 v55, 0
	ds_read_b32 v55, v55 offset:20
	s_waitcnt lgkmcnt(0)
	v_mul_f32_e32 v54, v54, v55
	buffer_store_dword v54, off, s[0:3], 0 offset:20
.LBB24_280:
	;; [unrolled: 56-line block ×19, first 2 shown]
	s_or_b64 exec, exec, s[6:7]
	buffer_load_dword v54, off, s[0:3], 0 offset:92
	v_cmp_gt_u32_e64 s[6:7], 23, v0
	s_waitcnt vmcnt(0)
	ds_write_b32 v52, v54
	s_waitcnt lgkmcnt(0)
	; wave barrier
	s_waitcnt lgkmcnt(0)
	s_and_saveexec_b64 s[8:9], s[6:7]
	s_cbranch_execz .LBB24_460
; %bb.451:
	s_and_b64 vcc, exec, s[4:5]
	s_cbranch_vccnz .LBB24_453
; %bb.452:
	buffer_load_dword v54, v53, s[0:3], 0 offen
	ds_read_b32 v55, v52
	s_waitcnt vmcnt(0) lgkmcnt(0)
	v_mul_f32_e32 v54, v54, v55
	s_cbranch_execz .LBB24_454
	s_branch .LBB24_455
.LBB24_453:
                                        ; implicit-def: $vgpr54
.LBB24_454:
	ds_read_b32 v54, v52
.LBB24_455:
	v_cmp_ne_u32_e32 vcc, 22, v0
	s_and_saveexec_b64 s[10:11], vcc
	s_cbranch_execz .LBB24_459
; %bb.456:
	v_mov_b32_e32 v56, 0
	v_add_u32_e32 v55, 0x74, v1
	v_add3_u32 v56, v1, v56, 4
	s_mov_b64 s[12:13], 0
	v_mov_b32_e32 v57, v0
.LBB24_457:                             ; =>This Inner Loop Header: Depth=1
	buffer_load_dword v58, v56, s[0:3], 0 offen
	ds_read_b32 v59, v55
	v_add_u32_e32 v57, 1, v57
	v_cmp_lt_u32_e32 vcc, 21, v57
	v_add_u32_e32 v55, 4, v55
	v_add_u32_e32 v56, 4, v56
	s_or_b64 s[12:13], vcc, s[12:13]
	s_waitcnt vmcnt(0) lgkmcnt(0)
	v_fmac_f32_e32 v54, v58, v59
	s_andn2_b64 exec, exec, s[12:13]
	s_cbranch_execnz .LBB24_457
; %bb.458:
	s_or_b64 exec, exec, s[12:13]
.LBB24_459:
	s_or_b64 exec, exec, s[10:11]
	v_mov_b32_e32 v55, 0
	ds_read_b32 v55, v55 offset:92
	s_waitcnt lgkmcnt(0)
	v_mul_f32_e32 v54, v54, v55
	buffer_store_dword v54, off, s[0:3], 0 offset:92
.LBB24_460:
	s_or_b64 exec, exec, s[8:9]
	buffer_load_dword v54, off, s[0:3], 0 offset:96
	v_cmp_ne_u32_e32 vcc, 24, v0
	s_waitcnt vmcnt(0)
	ds_write_b32 v52, v54
	s_waitcnt lgkmcnt(0)
	; wave barrier
	s_waitcnt lgkmcnt(0)
	s_and_saveexec_b64 s[8:9], vcc
	s_cbranch_execz .LBB24_470
; %bb.461:
	s_and_b64 vcc, exec, s[4:5]
	s_cbranch_vccnz .LBB24_463
; %bb.462:
	buffer_load_dword v53, v53, s[0:3], 0 offen
	ds_read_b32 v54, v52
	s_waitcnt vmcnt(0) lgkmcnt(0)
	v_mul_f32_e32 v53, v53, v54
	s_cbranch_execz .LBB24_464
	s_branch .LBB24_465
.LBB24_463:
                                        ; implicit-def: $vgpr53
.LBB24_464:
	ds_read_b32 v53, v52
.LBB24_465:
	s_and_saveexec_b64 s[4:5], s[6:7]
	s_cbranch_execz .LBB24_469
; %bb.466:
	v_mov_b32_e32 v54, 0
	v_add_u32_e32 v52, 0x74, v1
	v_add3_u32 v1, v1, v54, 4
	s_mov_b64 s[6:7], 0
.LBB24_467:                             ; =>This Inner Loop Header: Depth=1
	buffer_load_dword v54, v1, s[0:3], 0 offen
	ds_read_b32 v55, v52
	v_add_u32_e32 v0, 1, v0
	v_cmp_lt_u32_e32 vcc, 22, v0
	v_add_u32_e32 v52, 4, v52
	v_add_u32_e32 v1, 4, v1
	s_or_b64 s[6:7], vcc, s[6:7]
	s_waitcnt vmcnt(0) lgkmcnt(0)
	v_fmac_f32_e32 v53, v54, v55
	s_andn2_b64 exec, exec, s[6:7]
	s_cbranch_execnz .LBB24_467
; %bb.468:
	s_or_b64 exec, exec, s[6:7]
.LBB24_469:
	s_or_b64 exec, exec, s[4:5]
	v_mov_b32_e32 v0, 0
	ds_read_b32 v0, v0 offset:96
	s_waitcnt lgkmcnt(0)
	v_mul_f32_e32 v0, v53, v0
	buffer_store_dword v0, off, s[0:3], 0 offset:96
.LBB24_470:
	s_or_b64 exec, exec, s[8:9]
.LBB24_471:
	buffer_load_dword v0, off, s[0:3], 0
	buffer_load_dword v1, off, s[0:3], 0 offset:4
	buffer_load_dword v52, off, s[0:3], 0 offset:8
	buffer_load_dword v53, off, s[0:3], 0 offset:12
	buffer_load_dword v54, off, s[0:3], 0 offset:16
	buffer_load_dword v55, off, s[0:3], 0 offset:20
	buffer_load_dword v56, off, s[0:3], 0 offset:24
	buffer_load_dword v57, off, s[0:3], 0 offset:28
	buffer_load_dword v58, off, s[0:3], 0 offset:32
	buffer_load_dword v59, off, s[0:3], 0 offset:36
	buffer_load_dword v60, off, s[0:3], 0 offset:40
	buffer_load_dword v61, off, s[0:3], 0 offset:44
	buffer_load_dword v62, off, s[0:3], 0 offset:48
	buffer_load_dword v63, off, s[0:3], 0 offset:52
	buffer_load_dword v64, off, s[0:3], 0 offset:56
	buffer_load_dword v65, off, s[0:3], 0 offset:60
	s_waitcnt vmcnt(15)
	global_store_dword v[2:3], v0, off
	s_waitcnt vmcnt(15)
	global_store_dword v[6:7], v1, off
	buffer_load_dword v0, off, s[0:3], 0 offset:64
	s_nop 0
	buffer_load_dword v1, off, s[0:3], 0 offset:68
	buffer_load_dword v2, off, s[0:3], 0 offset:72
	;; [unrolled: 1-line block ×7, first 2 shown]
	s_waitcnt vmcnt(23)
	global_store_dword v[4:5], v52, off
	buffer_load_dword v4, off, s[0:3], 0 offset:96
	s_waitcnt vmcnt(24)
	global_store_dword v[8:9], v53, off
	s_waitcnt vmcnt(24)
	global_store_dword v[10:11], v54, off
	;; [unrolled: 2-line block ×22, first 2 shown]
.LBB24_472:
	s_endpgm
	.section	.rodata,"a",@progbits
	.p2align	6, 0x0
	.amdhsa_kernel _ZN9rocsolver6v33100L18trti2_kernel_smallILi25EfPfEEv13rocblas_fill_17rocblas_diagonal_T1_iil
		.amdhsa_group_segment_fixed_size 212
		.amdhsa_private_segment_fixed_size 112
		.amdhsa_kernarg_size 32
		.amdhsa_user_sgpr_count 8
		.amdhsa_user_sgpr_private_segment_buffer 1
		.amdhsa_user_sgpr_dispatch_ptr 0
		.amdhsa_user_sgpr_queue_ptr 0
		.amdhsa_user_sgpr_kernarg_segment_ptr 1
		.amdhsa_user_sgpr_dispatch_id 0
		.amdhsa_user_sgpr_flat_scratch_init 1
		.amdhsa_user_sgpr_kernarg_preload_length 0
		.amdhsa_user_sgpr_kernarg_preload_offset 0
		.amdhsa_user_sgpr_private_segment_size 0
		.amdhsa_uses_dynamic_stack 0
		.amdhsa_system_sgpr_private_segment_wavefront_offset 1
		.amdhsa_system_sgpr_workgroup_id_x 1
		.amdhsa_system_sgpr_workgroup_id_y 0
		.amdhsa_system_sgpr_workgroup_id_z 0
		.amdhsa_system_sgpr_workgroup_info 0
		.amdhsa_system_vgpr_workitem_id 0
		.amdhsa_next_free_vgpr 69
		.amdhsa_next_free_sgpr 20
		.amdhsa_accum_offset 72
		.amdhsa_reserve_vcc 1
		.amdhsa_reserve_flat_scratch 0
		.amdhsa_float_round_mode_32 0
		.amdhsa_float_round_mode_16_64 0
		.amdhsa_float_denorm_mode_32 3
		.amdhsa_float_denorm_mode_16_64 3
		.amdhsa_dx10_clamp 1
		.amdhsa_ieee_mode 1
		.amdhsa_fp16_overflow 0
		.amdhsa_tg_split 0
		.amdhsa_exception_fp_ieee_invalid_op 0
		.amdhsa_exception_fp_denorm_src 0
		.amdhsa_exception_fp_ieee_div_zero 0
		.amdhsa_exception_fp_ieee_overflow 0
		.amdhsa_exception_fp_ieee_underflow 0
		.amdhsa_exception_fp_ieee_inexact 0
		.amdhsa_exception_int_div_zero 0
	.end_amdhsa_kernel
	.section	.text._ZN9rocsolver6v33100L18trti2_kernel_smallILi25EfPfEEv13rocblas_fill_17rocblas_diagonal_T1_iil,"axG",@progbits,_ZN9rocsolver6v33100L18trti2_kernel_smallILi25EfPfEEv13rocblas_fill_17rocblas_diagonal_T1_iil,comdat
.Lfunc_end24:
	.size	_ZN9rocsolver6v33100L18trti2_kernel_smallILi25EfPfEEv13rocblas_fill_17rocblas_diagonal_T1_iil, .Lfunc_end24-_ZN9rocsolver6v33100L18trti2_kernel_smallILi25EfPfEEv13rocblas_fill_17rocblas_diagonal_T1_iil
                                        ; -- End function
	.section	.AMDGPU.csdata,"",@progbits
; Kernel info:
; codeLenInByte = 12060
; NumSgprs: 24
; NumVgprs: 69
; NumAgprs: 0
; TotalNumVgprs: 69
; ScratchSize: 112
; MemoryBound: 0
; FloatMode: 240
; IeeeMode: 1
; LDSByteSize: 212 bytes/workgroup (compile time only)
; SGPRBlocks: 2
; VGPRBlocks: 8
; NumSGPRsForWavesPerEU: 24
; NumVGPRsForWavesPerEU: 69
; AccumOffset: 72
; Occupancy: 7
; WaveLimiterHint : 0
; COMPUTE_PGM_RSRC2:SCRATCH_EN: 1
; COMPUTE_PGM_RSRC2:USER_SGPR: 8
; COMPUTE_PGM_RSRC2:TRAP_HANDLER: 0
; COMPUTE_PGM_RSRC2:TGID_X_EN: 1
; COMPUTE_PGM_RSRC2:TGID_Y_EN: 0
; COMPUTE_PGM_RSRC2:TGID_Z_EN: 0
; COMPUTE_PGM_RSRC2:TIDIG_COMP_CNT: 0
; COMPUTE_PGM_RSRC3_GFX90A:ACCUM_OFFSET: 17
; COMPUTE_PGM_RSRC3_GFX90A:TG_SPLIT: 0
	.section	.text._ZN9rocsolver6v33100L18trti2_kernel_smallILi26EfPfEEv13rocblas_fill_17rocblas_diagonal_T1_iil,"axG",@progbits,_ZN9rocsolver6v33100L18trti2_kernel_smallILi26EfPfEEv13rocblas_fill_17rocblas_diagonal_T1_iil,comdat
	.globl	_ZN9rocsolver6v33100L18trti2_kernel_smallILi26EfPfEEv13rocblas_fill_17rocblas_diagonal_T1_iil ; -- Begin function _ZN9rocsolver6v33100L18trti2_kernel_smallILi26EfPfEEv13rocblas_fill_17rocblas_diagonal_T1_iil
	.p2align	8
	.type	_ZN9rocsolver6v33100L18trti2_kernel_smallILi26EfPfEEv13rocblas_fill_17rocblas_diagonal_T1_iil,@function
_ZN9rocsolver6v33100L18trti2_kernel_smallILi26EfPfEEv13rocblas_fill_17rocblas_diagonal_T1_iil: ; @_ZN9rocsolver6v33100L18trti2_kernel_smallILi26EfPfEEv13rocblas_fill_17rocblas_diagonal_T1_iil
; %bb.0:
	s_add_u32 s0, s0, s9
	s_addc_u32 s1, s1, 0
	v_cmp_gt_u32_e32 vcc, 26, v0
	s_and_saveexec_b64 s[6:7], vcc
	s_cbranch_execz .LBB25_492
; %bb.1:
	s_load_dwordx8 s[12:19], s[4:5], 0x0
	s_ashr_i32 s6, s8, 31
	v_lshlrev_b32_e32 v1, 2, v0
	s_waitcnt lgkmcnt(0)
	s_mul_i32 s7, s8, s19
	s_mul_hi_u32 s9, s8, s18
	s_add_i32 s7, s9, s7
	s_mul_i32 s6, s6, s18
	s_add_i32 s7, s7, s6
	s_mul_i32 s6, s8, s18
	s_ashr_i32 s5, s16, 31
	s_lshl_b64 s[6:7], s[6:7], 2
	s_mov_b32 s4, s16
	s_add_u32 s6, s14, s6
	s_addc_u32 s7, s15, s7
	s_lshl_b64 s[4:5], s[4:5], 2
	s_add_u32 s4, s6, s4
	s_addc_u32 s5, s7, s5
	v_mov_b32_e32 v3, s5
	v_add_co_u32_e32 v2, vcc, s4, v1
	s_ashr_i32 s7, s17, 31
	s_mov_b32 s6, s17
	v_addc_co_u32_e32 v3, vcc, 0, v3, vcc
	s_lshl_b64 s[6:7], s[6:7], 2
	v_add_co_u32_e32 v4, vcc, s6, v2
	s_add_i32 s6, s17, s17
	v_add_u32_e32 v8, s6, v0
	v_mov_b32_e32 v5, s7
	v_ashrrev_i32_e32 v9, 31, v8
	v_addc_co_u32_e32 v5, vcc, v3, v5, vcc
	v_lshlrev_b64 v[6:7], 2, v[8:9]
	v_add_u32_e32 v10, s17, v8
	v_mov_b32_e32 v9, s5
	v_add_co_u32_e32 v6, vcc, s4, v6
	v_ashrrev_i32_e32 v11, 31, v10
	global_load_dword v23, v1, s[4:5]
	v_addc_co_u32_e32 v7, vcc, v9, v7, vcc
	v_lshlrev_b64 v[8:9], 2, v[10:11]
	v_mov_b32_e32 v11, s5
	v_add_co_u32_e32 v8, vcc, s4, v8
	v_addc_co_u32_e32 v9, vcc, v11, v9, vcc
	global_load_dword v25, v[4:5], off
	global_load_dword v27, v[8:9], off
	;; [unrolled: 1-line block ×3, first 2 shown]
	v_add_u32_e32 v12, s17, v10
	v_add_u32_e32 v14, s17, v12
	;; [unrolled: 1-line block ×11, first 2 shown]
	v_ashrrev_i32_e32 v13, 31, v12
	v_add_u32_e32 v34, s17, v32
	v_lshlrev_b64 v[10:11], 2, v[12:13]
	v_add_u32_e32 v36, s17, v34
	v_mov_b32_e32 v13, s5
	v_add_co_u32_e32 v10, vcc, s4, v10
	v_ashrrev_i32_e32 v15, 31, v14
	v_add_u32_e32 v38, s17, v36
	v_addc_co_u32_e32 v11, vcc, v13, v11, vcc
	v_lshlrev_b64 v[12:13], 2, v[14:15]
	v_add_u32_e32 v40, s17, v38
	v_mov_b32_e32 v15, s5
	v_add_co_u32_e32 v12, vcc, s4, v12
	v_ashrrev_i32_e32 v17, 31, v16
	v_add_u32_e32 v42, s17, v40
	v_addc_co_u32_e32 v13, vcc, v15, v13, vcc
	;; [unrolled: 7-line block ×4, first 2 shown]
	v_lshlrev_b64 v[18:19], 2, v[20:21]
	v_add_u32_e32 v52, s17, v50
	v_mov_b32_e32 v21, s5
	v_add_co_u32_e32 v18, vcc, s4, v18
	v_add_u32_e32 v20, s17, v52
	v_addc_co_u32_e32 v19, vcc, v21, v19, vcc
	v_ashrrev_i32_e32 v21, 31, v20
	v_lshlrev_b64 v[20:21], 2, v[20:21]
	v_mov_b32_e32 v31, s5
	v_add_co_u32_e32 v20, vcc, s4, v20
	v_addc_co_u32_e32 v21, vcc, v31, v21, vcc
	global_load_dword v54, v[20:21], off
	v_mov_b32_e32 v33, s5
	v_mov_b32_e32 v35, s5
	;; [unrolled: 1-line block ×5, first 2 shown]
	s_waitcnt vmcnt(4)
	buffer_store_dword v23, off, s[0:3], 0
	v_ashrrev_i32_e32 v23, 31, v22
	v_lshlrev_b64 v[22:23], 2, v[22:23]
	global_load_dword v55, v[10:11], off
	global_load_dword v56, v[12:13], off
	global_load_dword v57, v[14:15], off
	global_load_dword v58, v[16:17], off
	global_load_dword v59, v[18:19], off
	s_waitcnt vmcnt(9)
	buffer_store_dword v25, off, s[0:3], 0 offset:4
	s_waitcnt vmcnt(9)
	buffer_store_dword v27, off, s[0:3], 0 offset:12
	;; [unrolled: 2-line block ×3, first 2 shown]
	v_mov_b32_e32 v25, s5
	v_add_co_u32_e32 v22, vcc, s4, v22
	v_addc_co_u32_e32 v23, vcc, v25, v23, vcc
	v_ashrrev_i32_e32 v25, 31, v24
	v_lshlrev_b64 v[24:25], 2, v[24:25]
	v_mov_b32_e32 v27, s5
	v_add_co_u32_e32 v24, vcc, s4, v24
	v_addc_co_u32_e32 v25, vcc, v27, v25, vcc
	v_ashrrev_i32_e32 v27, 31, v26
	v_lshlrev_b64 v[26:27], 2, v[26:27]
	;; [unrolled: 5-line block ×3, first 2 shown]
	v_add_co_u32_e32 v28, vcc, s4, v28
	v_addc_co_u32_e32 v29, vcc, v31, v29, vcc
	v_ashrrev_i32_e32 v31, 31, v30
	v_lshlrev_b64 v[30:31], 2, v[30:31]
	v_add_co_u32_e32 v30, vcc, s4, v30
	v_addc_co_u32_e32 v31, vcc, v33, v31, vcc
	v_ashrrev_i32_e32 v33, 31, v32
	v_lshlrev_b64 v[32:33], 2, v[32:33]
	;; [unrolled: 4-line block ×6, first 2 shown]
	v_mov_b32_e32 v43, s5
	v_add_co_u32_e32 v40, vcc, s4, v40
	v_addc_co_u32_e32 v41, vcc, v43, v41, vcc
	v_ashrrev_i32_e32 v43, 31, v42
	v_lshlrev_b64 v[42:43], 2, v[42:43]
	v_mov_b32_e32 v45, s5
	v_add_co_u32_e32 v42, vcc, s4, v42
	v_addc_co_u32_e32 v43, vcc, v45, v43, vcc
	v_ashrrev_i32_e32 v45, 31, v44
	v_lshlrev_b64 v[44:45], 2, v[44:45]
	;; [unrolled: 5-line block ×6, first 2 shown]
	v_mov_b32_e32 v68, s5
	v_add_co_u32_e32 v52, vcc, s4, v52
	global_load_dword v60, v[22:23], off
	global_load_dword v61, v[24:25], off
	;; [unrolled: 1-line block ×8, first 2 shown]
	v_addc_co_u32_e32 v53, vcc, v68, v53, vcc
	global_load_dword v68, v[38:39], off
	global_load_dword v69, v[40:41], off
	;; [unrolled: 1-line block ×8, first 2 shown]
	s_cmpk_lg_i32 s13, 0x84
	s_waitcnt vmcnt(23)
	buffer_store_dword v55, off, s[0:3], 0 offset:16
	s_waitcnt vmcnt(23)
	buffer_store_dword v56, off, s[0:3], 0 offset:20
	;; [unrolled: 2-line block ×7, first 2 shown]
	buffer_store_dword v61, off, s[0:3], 0 offset:40
	s_waitcnt vmcnt(20)
	buffer_store_dword v63, off, s[0:3], 0 offset:48
	s_waitcnt vmcnt(20)
	;; [unrolled: 2-line block ×9, first 2 shown]
	buffer_store_dword v71, off, s[0:3], 0 offset:84
	v_mov_b32_e32 v66, 0
	s_waitcnt vmcnt(18)
	buffer_store_dword v74, off, s[0:3], 0 offset:80
	s_waitcnt vmcnt(18)
	buffer_store_dword v75, off, s[0:3], 0 offset:92
	buffer_store_dword v73, off, s[0:3], 0 offset:88
	;; [unrolled: 1-line block ×4, first 2 shown]
	s_cselect_b64 s[8:9], -1, 0
	s_cmpk_eq_i32 s13, 0x84
	v_mov_b32_e32 v54, -1.0
	s_cbranch_scc1 .LBB25_3
; %bb.2:
	v_lshl_add_u32 v54, v0, 2, v66
	buffer_load_dword v55, v54, s[0:3], 0 offen
	s_waitcnt vmcnt(0)
	v_div_scale_f32 v56, s[4:5], v55, v55, 1.0
	v_rcp_f32_e32 v57, v56
	v_div_scale_f32 v58, vcc, 1.0, v55, 1.0
	v_fma_f32 v59, -v56, v57, 1.0
	v_fmac_f32_e32 v57, v59, v57
	v_mul_f32_e32 v59, v58, v57
	v_fma_f32 v60, -v56, v59, v58
	v_fmac_f32_e32 v59, v60, v57
	v_fma_f32 v56, -v56, v59, v58
	v_div_fmas_f32 v56, v56, v57, v59
	v_div_fixup_f32 v55, v56, v55, 1.0
	buffer_store_dword v55, v54, s[0:3], 0 offen
	v_xor_b32_e32 v54, 0x80000000, v55
.LBB25_3:
	ds_write_b32 v1, v54
	s_cmpk_eq_i32 s12, 0x79
	v_add_u32_e32 v54, 0x70, v1
	v_add_u32_e32 v55, 0, v1
	s_mov_b64 s[4:5], -1
	s_cbranch_scc1 .LBB25_247
; %bb.4:
	buffer_load_dword v56, off, s[0:3], 0 offset:96
	v_cmp_eq_u32_e64 s[4:5], 25, v0
	s_waitcnt vmcnt(0)
	ds_write_b32 v54, v56
	s_waitcnt lgkmcnt(0)
	; wave barrier
	s_waitcnt lgkmcnt(0)
	s_and_saveexec_b64 s[6:7], s[4:5]
	s_cbranch_execz .LBB25_10
; %bb.5:
	s_and_b64 vcc, exec, s[8:9]
	s_cbranch_vccz .LBB25_7
; %bb.6:
	buffer_load_dword v56, v55, s[0:3], 0 offen
	ds_read_b32 v57, v54
	s_waitcnt vmcnt(0) lgkmcnt(0)
	v_mul_f32_e32 v56, v56, v57
	s_cbranch_execz .LBB25_8
	s_branch .LBB25_9
.LBB25_7:
                                        ; implicit-def: $vgpr56
.LBB25_8:
	ds_read_b32 v56, v54
.LBB25_9:
	v_mov_b32_e32 v57, 0
	ds_read_b32 v57, v57 offset:96
	s_waitcnt lgkmcnt(0)
	v_mul_f32_e32 v56, v56, v57
	buffer_store_dword v56, off, s[0:3], 0 offset:96
.LBB25_10:
	s_or_b64 exec, exec, s[6:7]
	buffer_load_dword v67, off, s[0:3], 0 offset:92
	v_or_b32_e32 v56, 8, v66
	v_add_u32_e32 v57, 16, v66
	v_add_u32_e32 v58, 24, v66
	;; [unrolled: 1-line block ×10, first 2 shown]
	v_cmp_lt_u32_e64 s[6:7], 23, v0
	s_waitcnt vmcnt(0)
	ds_write_b32 v54, v67
	s_waitcnt lgkmcnt(0)
	; wave barrier
	s_waitcnt lgkmcnt(0)
	s_and_saveexec_b64 s[10:11], s[6:7]
	s_cbranch_execz .LBB25_16
; %bb.11:
	s_andn2_b64 vcc, exec, s[8:9]
	s_cbranch_vccnz .LBB25_13
; %bb.12:
	buffer_load_dword v67, v55, s[0:3], 0 offen
	ds_read_b32 v68, v54
	s_waitcnt vmcnt(0) lgkmcnt(0)
	v_mul_f32_e32 v67, v67, v68
	s_cbranch_execz .LBB25_14
	s_branch .LBB25_15
.LBB25_13:
                                        ; implicit-def: $vgpr67
.LBB25_14:
	ds_read_b32 v67, v54
.LBB25_15:
	buffer_load_dword v70, off, s[0:3], 0 offset:96
	v_mov_b32_e32 v68, 0
	ds_read2_b32 v[68:69], v68 offset0:23 offset1:52
	s_waitcnt vmcnt(0) lgkmcnt(0)
	v_fma_f32 v69, v70, v69, v67
	v_cndmask_b32_e64 v67, v67, v69, s[4:5]
	v_mul_f32_e32 v67, v67, v68
	buffer_store_dword v67, off, s[0:3], 0 offset:92
.LBB25_16:
	s_or_b64 exec, exec, s[10:11]
	buffer_load_dword v67, off, s[0:3], 0 offset:88
	v_cmp_lt_u32_e64 s[4:5], 22, v0
	s_waitcnt vmcnt(0)
	ds_write_b32 v54, v67
	s_waitcnt lgkmcnt(0)
	; wave barrier
	s_waitcnt lgkmcnt(0)
	s_and_saveexec_b64 s[10:11], s[4:5]
	s_cbranch_execz .LBB25_26
; %bb.17:
	s_andn2_b64 vcc, exec, s[8:9]
	s_cbranch_vccnz .LBB25_19
; %bb.18:
	buffer_load_dword v67, v55, s[0:3], 0 offen
	ds_read_b32 v68, v54
	s_waitcnt vmcnt(0) lgkmcnt(0)
	v_mul_f32_e32 v67, v67, v68
	s_cbranch_execz .LBB25_20
	s_branch .LBB25_21
.LBB25_19:
                                        ; implicit-def: $vgpr67
.LBB25_20:
	ds_read_b32 v67, v54
.LBB25_21:
	s_and_saveexec_b64 s[12:13], s[6:7]
	s_cbranch_execz .LBB25_25
; %bb.22:
	v_mov_b32_e32 v68, 0
	v_add_u32_e32 v68, 0x5c, v68
	v_subrev_u32_e32 v69, 23, v0
	s_movk_i32 s14, 0xcc
	s_mov_b64 s[6:7], 0
.LBB25_23:                              ; =>This Inner Loop Header: Depth=1
	buffer_load_dword v70, v68, s[0:3], 0 offen
	v_mov_b32_e32 v71, s14
	ds_read_b32 v71, v71
	v_add_u32_e32 v69, -1, v69
	s_add_i32 s14, s14, 4
	v_cmp_eq_u32_e32 vcc, 0, v69
	v_add_u32_e32 v68, 4, v68
	s_or_b64 s[6:7], vcc, s[6:7]
	s_waitcnt vmcnt(0) lgkmcnt(0)
	v_fmac_f32_e32 v67, v70, v71
	s_andn2_b64 exec, exec, s[6:7]
	s_cbranch_execnz .LBB25_23
; %bb.24:
	s_or_b64 exec, exec, s[6:7]
.LBB25_25:
	s_or_b64 exec, exec, s[12:13]
	v_mov_b32_e32 v68, 0
	ds_read_b32 v68, v68 offset:88
	s_waitcnt lgkmcnt(0)
	v_mul_f32_e32 v67, v67, v68
	buffer_store_dword v67, off, s[0:3], 0 offset:88
.LBB25_26:
	s_or_b64 exec, exec, s[10:11]
	buffer_load_dword v67, off, s[0:3], 0 offset:84
	v_cmp_lt_u32_e64 s[6:7], 21, v0
	s_waitcnt vmcnt(0)
	ds_write_b32 v54, v67
	s_waitcnt lgkmcnt(0)
	; wave barrier
	s_waitcnt lgkmcnt(0)
	s_and_saveexec_b64 s[10:11], s[6:7]
	s_cbranch_execz .LBB25_36
; %bb.27:
	s_andn2_b64 vcc, exec, s[8:9]
	s_cbranch_vccnz .LBB25_29
; %bb.28:
	buffer_load_dword v67, v55, s[0:3], 0 offen
	ds_read_b32 v68, v54
	s_waitcnt vmcnt(0) lgkmcnt(0)
	v_mul_f32_e32 v67, v67, v68
	s_cbranch_execz .LBB25_30
	s_branch .LBB25_31
.LBB25_29:
                                        ; implicit-def: $vgpr67
.LBB25_30:
	ds_read_b32 v67, v54
.LBB25_31:
	s_and_saveexec_b64 s[12:13], s[4:5]
	s_cbranch_execz .LBB25_35
; %bb.32:
	v_subrev_u32_e32 v68, 22, v0
	s_movk_i32 s14, 0xc8
	s_mov_b64 s[4:5], 0
.LBB25_33:                              ; =>This Inner Loop Header: Depth=1
	buffer_load_dword v69, v66, s[0:3], 0 offen
	v_mov_b32_e32 v70, s14
	ds_read_b32 v70, v70
	v_add_u32_e32 v68, -1, v68
	s_add_i32 s14, s14, 4
	v_cmp_eq_u32_e32 vcc, 0, v68
	v_add_u32_e32 v66, 4, v66
	s_or_b64 s[4:5], vcc, s[4:5]
	s_waitcnt vmcnt(0) lgkmcnt(0)
	v_fmac_f32_e32 v67, v69, v70
	s_andn2_b64 exec, exec, s[4:5]
	s_cbranch_execnz .LBB25_33
; %bb.34:
	s_or_b64 exec, exec, s[4:5]
.LBB25_35:
	s_or_b64 exec, exec, s[12:13]
	v_mov_b32_e32 v66, 0
	ds_read_b32 v66, v66 offset:84
	s_waitcnt lgkmcnt(0)
	v_mul_f32_e32 v66, v67, v66
	buffer_store_dword v66, off, s[0:3], 0 offset:84
.LBB25_36:
	s_or_b64 exec, exec, s[10:11]
	buffer_load_dword v66, off, s[0:3], 0 offset:80
	v_cmp_lt_u32_e64 s[4:5], 20, v0
	s_waitcnt vmcnt(0)
	ds_write_b32 v54, v66
	s_waitcnt lgkmcnt(0)
	; wave barrier
	s_waitcnt lgkmcnt(0)
	s_and_saveexec_b64 s[10:11], s[4:5]
	s_cbranch_execz .LBB25_46
; %bb.37:
	s_andn2_b64 vcc, exec, s[8:9]
	s_cbranch_vccnz .LBB25_39
; %bb.38:
	buffer_load_dword v66, v55, s[0:3], 0 offen
	ds_read_b32 v67, v54
	s_waitcnt vmcnt(0) lgkmcnt(0)
	v_mul_f32_e32 v66, v66, v67
	s_cbranch_execz .LBB25_40
	s_branch .LBB25_41
.LBB25_39:
                                        ; implicit-def: $vgpr66
.LBB25_40:
	ds_read_b32 v66, v54
.LBB25_41:
	s_and_saveexec_b64 s[12:13], s[6:7]
	s_cbranch_execz .LBB25_45
; %bb.42:
	v_mov_b32_e32 v67, 0
	v_add_u32_e32 v67, 0x54, v67
	v_subrev_u32_e32 v68, 21, v0
	s_movk_i32 s14, 0xc4
	s_mov_b64 s[6:7], 0
.LBB25_43:                              ; =>This Inner Loop Header: Depth=1
	buffer_load_dword v69, v67, s[0:3], 0 offen
	v_mov_b32_e32 v70, s14
	ds_read_b32 v70, v70
	v_add_u32_e32 v68, -1, v68
	s_add_i32 s14, s14, 4
	v_cmp_eq_u32_e32 vcc, 0, v68
	v_add_u32_e32 v67, 4, v67
	s_or_b64 s[6:7], vcc, s[6:7]
	s_waitcnt vmcnt(0) lgkmcnt(0)
	v_fmac_f32_e32 v66, v69, v70
	s_andn2_b64 exec, exec, s[6:7]
	s_cbranch_execnz .LBB25_43
; %bb.44:
	s_or_b64 exec, exec, s[6:7]
.LBB25_45:
	s_or_b64 exec, exec, s[12:13]
	v_mov_b32_e32 v67, 0
	ds_read_b32 v67, v67 offset:80
	s_waitcnt lgkmcnt(0)
	v_mul_f32_e32 v66, v66, v67
	buffer_store_dword v66, off, s[0:3], 0 offset:80
.LBB25_46:
	s_or_b64 exec, exec, s[10:11]
	buffer_load_dword v66, off, s[0:3], 0 offset:76
	v_cmp_lt_u32_e64 s[6:7], 19, v0
	s_waitcnt vmcnt(0)
	ds_write_b32 v54, v66
	s_waitcnt lgkmcnt(0)
	; wave barrier
	s_waitcnt lgkmcnt(0)
	s_and_saveexec_b64 s[10:11], s[6:7]
	s_cbranch_execz .LBB25_56
; %bb.47:
	s_andn2_b64 vcc, exec, s[8:9]
	s_cbranch_vccnz .LBB25_49
; %bb.48:
	buffer_load_dword v66, v55, s[0:3], 0 offen
	ds_read_b32 v67, v54
	s_waitcnt vmcnt(0) lgkmcnt(0)
	v_mul_f32_e32 v66, v66, v67
	s_cbranch_execz .LBB25_50
	s_branch .LBB25_51
.LBB25_49:
                                        ; implicit-def: $vgpr66
.LBB25_50:
	ds_read_b32 v66, v54
.LBB25_51:
	s_and_saveexec_b64 s[12:13], s[4:5]
	s_cbranch_execz .LBB25_55
; %bb.52:
	v_subrev_u32_e32 v67, 20, v0
	s_movk_i32 s14, 0xc0
	s_mov_b64 s[4:5], 0
.LBB25_53:                              ; =>This Inner Loop Header: Depth=1
	buffer_load_dword v68, v65, s[0:3], 0 offen
	v_mov_b32_e32 v69, s14
	ds_read_b32 v69, v69
	v_add_u32_e32 v67, -1, v67
	s_add_i32 s14, s14, 4
	v_cmp_eq_u32_e32 vcc, 0, v67
	v_add_u32_e32 v65, 4, v65
	s_or_b64 s[4:5], vcc, s[4:5]
	s_waitcnt vmcnt(0) lgkmcnt(0)
	v_fmac_f32_e32 v66, v68, v69
	s_andn2_b64 exec, exec, s[4:5]
	s_cbranch_execnz .LBB25_53
; %bb.54:
	s_or_b64 exec, exec, s[4:5]
.LBB25_55:
	s_or_b64 exec, exec, s[12:13]
	v_mov_b32_e32 v65, 0
	ds_read_b32 v65, v65 offset:76
	s_waitcnt lgkmcnt(0)
	v_mul_f32_e32 v65, v66, v65
	buffer_store_dword v65, off, s[0:3], 0 offset:76
.LBB25_56:
	s_or_b64 exec, exec, s[10:11]
	buffer_load_dword v65, off, s[0:3], 0 offset:72
	v_cmp_lt_u32_e64 s[4:5], 18, v0
	s_waitcnt vmcnt(0)
	ds_write_b32 v54, v65
	s_waitcnt lgkmcnt(0)
	; wave barrier
	s_waitcnt lgkmcnt(0)
	s_and_saveexec_b64 s[10:11], s[4:5]
	s_cbranch_execz .LBB25_66
; %bb.57:
	s_andn2_b64 vcc, exec, s[8:9]
	s_cbranch_vccnz .LBB25_59
; %bb.58:
	buffer_load_dword v65, v55, s[0:3], 0 offen
	ds_read_b32 v66, v54
	s_waitcnt vmcnt(0) lgkmcnt(0)
	v_mul_f32_e32 v65, v65, v66
	s_cbranch_execz .LBB25_60
	s_branch .LBB25_61
.LBB25_59:
                                        ; implicit-def: $vgpr65
.LBB25_60:
	ds_read_b32 v65, v54
.LBB25_61:
	s_and_saveexec_b64 s[12:13], s[6:7]
	s_cbranch_execz .LBB25_65
; %bb.62:
	v_mov_b32_e32 v66, 0
	v_add_u32_e32 v66, 0x4c, v66
	v_subrev_u32_e32 v67, 19, v0
	s_movk_i32 s14, 0xbc
	s_mov_b64 s[6:7], 0
.LBB25_63:                              ; =>This Inner Loop Header: Depth=1
	buffer_load_dword v68, v66, s[0:3], 0 offen
	v_mov_b32_e32 v69, s14
	ds_read_b32 v69, v69
	v_add_u32_e32 v67, -1, v67
	s_add_i32 s14, s14, 4
	v_cmp_eq_u32_e32 vcc, 0, v67
	v_add_u32_e32 v66, 4, v66
	s_or_b64 s[6:7], vcc, s[6:7]
	s_waitcnt vmcnt(0) lgkmcnt(0)
	v_fmac_f32_e32 v65, v68, v69
	s_andn2_b64 exec, exec, s[6:7]
	s_cbranch_execnz .LBB25_63
; %bb.64:
	s_or_b64 exec, exec, s[6:7]
.LBB25_65:
	s_or_b64 exec, exec, s[12:13]
	v_mov_b32_e32 v66, 0
	ds_read_b32 v66, v66 offset:72
	s_waitcnt lgkmcnt(0)
	v_mul_f32_e32 v65, v65, v66
	buffer_store_dword v65, off, s[0:3], 0 offset:72
.LBB25_66:
	s_or_b64 exec, exec, s[10:11]
	buffer_load_dword v65, off, s[0:3], 0 offset:68
	v_cmp_lt_u32_e64 s[6:7], 17, v0
	s_waitcnt vmcnt(0)
	ds_write_b32 v54, v65
	s_waitcnt lgkmcnt(0)
	; wave barrier
	s_waitcnt lgkmcnt(0)
	s_and_saveexec_b64 s[10:11], s[6:7]
	s_cbranch_execz .LBB25_76
; %bb.67:
	s_andn2_b64 vcc, exec, s[8:9]
	s_cbranch_vccnz .LBB25_69
; %bb.68:
	buffer_load_dword v65, v55, s[0:3], 0 offen
	ds_read_b32 v66, v54
	s_waitcnt vmcnt(0) lgkmcnt(0)
	v_mul_f32_e32 v65, v65, v66
	s_cbranch_execz .LBB25_70
	s_branch .LBB25_71
.LBB25_69:
                                        ; implicit-def: $vgpr65
.LBB25_70:
	ds_read_b32 v65, v54
.LBB25_71:
	s_and_saveexec_b64 s[12:13], s[4:5]
	s_cbranch_execz .LBB25_75
; %bb.72:
	v_subrev_u32_e32 v66, 18, v0
	s_movk_i32 s14, 0xb8
	s_mov_b64 s[4:5], 0
.LBB25_73:                              ; =>This Inner Loop Header: Depth=1
	buffer_load_dword v67, v64, s[0:3], 0 offen
	v_mov_b32_e32 v68, s14
	ds_read_b32 v68, v68
	v_add_u32_e32 v66, -1, v66
	s_add_i32 s14, s14, 4
	v_cmp_eq_u32_e32 vcc, 0, v66
	v_add_u32_e32 v64, 4, v64
	s_or_b64 s[4:5], vcc, s[4:5]
	s_waitcnt vmcnt(0) lgkmcnt(0)
	v_fmac_f32_e32 v65, v67, v68
	s_andn2_b64 exec, exec, s[4:5]
	s_cbranch_execnz .LBB25_73
; %bb.74:
	s_or_b64 exec, exec, s[4:5]
.LBB25_75:
	s_or_b64 exec, exec, s[12:13]
	v_mov_b32_e32 v64, 0
	ds_read_b32 v64, v64 offset:68
	s_waitcnt lgkmcnt(0)
	v_mul_f32_e32 v64, v65, v64
	buffer_store_dword v64, off, s[0:3], 0 offset:68
.LBB25_76:
	s_or_b64 exec, exec, s[10:11]
	buffer_load_dword v64, off, s[0:3], 0 offset:64
	v_cmp_lt_u32_e64 s[4:5], 16, v0
	s_waitcnt vmcnt(0)
	ds_write_b32 v54, v64
	s_waitcnt lgkmcnt(0)
	; wave barrier
	s_waitcnt lgkmcnt(0)
	s_and_saveexec_b64 s[10:11], s[4:5]
	s_cbranch_execz .LBB25_86
; %bb.77:
	s_andn2_b64 vcc, exec, s[8:9]
	s_cbranch_vccnz .LBB25_79
; %bb.78:
	buffer_load_dword v64, v55, s[0:3], 0 offen
	ds_read_b32 v65, v54
	s_waitcnt vmcnt(0) lgkmcnt(0)
	v_mul_f32_e32 v64, v64, v65
	s_cbranch_execz .LBB25_80
	s_branch .LBB25_81
.LBB25_79:
                                        ; implicit-def: $vgpr64
.LBB25_80:
	ds_read_b32 v64, v54
.LBB25_81:
	s_and_saveexec_b64 s[12:13], s[6:7]
	s_cbranch_execz .LBB25_85
; %bb.82:
	v_mov_b32_e32 v65, 0
	v_add_u32_e32 v65, 0x44, v65
	v_subrev_u32_e32 v66, 17, v0
	s_movk_i32 s14, 0xb4
	s_mov_b64 s[6:7], 0
.LBB25_83:                              ; =>This Inner Loop Header: Depth=1
	buffer_load_dword v67, v65, s[0:3], 0 offen
	v_mov_b32_e32 v68, s14
	ds_read_b32 v68, v68
	v_add_u32_e32 v66, -1, v66
	s_add_i32 s14, s14, 4
	v_cmp_eq_u32_e32 vcc, 0, v66
	v_add_u32_e32 v65, 4, v65
	s_or_b64 s[6:7], vcc, s[6:7]
	s_waitcnt vmcnt(0) lgkmcnt(0)
	v_fmac_f32_e32 v64, v67, v68
	s_andn2_b64 exec, exec, s[6:7]
	s_cbranch_execnz .LBB25_83
; %bb.84:
	s_or_b64 exec, exec, s[6:7]
.LBB25_85:
	s_or_b64 exec, exec, s[12:13]
	v_mov_b32_e32 v65, 0
	ds_read_b32 v65, v65 offset:64
	s_waitcnt lgkmcnt(0)
	v_mul_f32_e32 v64, v64, v65
	buffer_store_dword v64, off, s[0:3], 0 offset:64
.LBB25_86:
	s_or_b64 exec, exec, s[10:11]
	buffer_load_dword v64, off, s[0:3], 0 offset:60
	v_cmp_lt_u32_e64 s[6:7], 15, v0
	s_waitcnt vmcnt(0)
	ds_write_b32 v54, v64
	s_waitcnt lgkmcnt(0)
	; wave barrier
	s_waitcnt lgkmcnt(0)
	s_and_saveexec_b64 s[10:11], s[6:7]
	s_cbranch_execz .LBB25_96
; %bb.87:
	s_andn2_b64 vcc, exec, s[8:9]
	s_cbranch_vccnz .LBB25_89
; %bb.88:
	buffer_load_dword v64, v55, s[0:3], 0 offen
	ds_read_b32 v65, v54
	s_waitcnt vmcnt(0) lgkmcnt(0)
	v_mul_f32_e32 v64, v64, v65
	s_cbranch_execz .LBB25_90
	s_branch .LBB25_91
.LBB25_89:
                                        ; implicit-def: $vgpr64
.LBB25_90:
	ds_read_b32 v64, v54
.LBB25_91:
	s_and_saveexec_b64 s[12:13], s[4:5]
	s_cbranch_execz .LBB25_95
; %bb.92:
	v_add_u32_e32 v65, -16, v0
	s_movk_i32 s14, 0xb0
	s_mov_b64 s[4:5], 0
.LBB25_93:                              ; =>This Inner Loop Header: Depth=1
	buffer_load_dword v66, v63, s[0:3], 0 offen
	v_mov_b32_e32 v67, s14
	ds_read_b32 v67, v67
	v_add_u32_e32 v65, -1, v65
	s_add_i32 s14, s14, 4
	v_cmp_eq_u32_e32 vcc, 0, v65
	v_add_u32_e32 v63, 4, v63
	s_or_b64 s[4:5], vcc, s[4:5]
	s_waitcnt vmcnt(0) lgkmcnt(0)
	v_fmac_f32_e32 v64, v66, v67
	s_andn2_b64 exec, exec, s[4:5]
	s_cbranch_execnz .LBB25_93
; %bb.94:
	s_or_b64 exec, exec, s[4:5]
.LBB25_95:
	s_or_b64 exec, exec, s[12:13]
	v_mov_b32_e32 v63, 0
	ds_read_b32 v63, v63 offset:60
	s_waitcnt lgkmcnt(0)
	v_mul_f32_e32 v63, v64, v63
	buffer_store_dword v63, off, s[0:3], 0 offset:60
.LBB25_96:
	s_or_b64 exec, exec, s[10:11]
	buffer_load_dword v63, off, s[0:3], 0 offset:56
	v_cmp_lt_u32_e64 s[4:5], 14, v0
	s_waitcnt vmcnt(0)
	ds_write_b32 v54, v63
	s_waitcnt lgkmcnt(0)
	; wave barrier
	s_waitcnt lgkmcnt(0)
	s_and_saveexec_b64 s[10:11], s[4:5]
	s_cbranch_execz .LBB25_106
; %bb.97:
	s_andn2_b64 vcc, exec, s[8:9]
	s_cbranch_vccnz .LBB25_99
; %bb.98:
	buffer_load_dword v63, v55, s[0:3], 0 offen
	ds_read_b32 v64, v54
	s_waitcnt vmcnt(0) lgkmcnt(0)
	v_mul_f32_e32 v63, v63, v64
	s_cbranch_execz .LBB25_100
	s_branch .LBB25_101
.LBB25_99:
                                        ; implicit-def: $vgpr63
.LBB25_100:
	ds_read_b32 v63, v54
.LBB25_101:
	s_and_saveexec_b64 s[12:13], s[6:7]
	s_cbranch_execz .LBB25_105
; %bb.102:
	v_mov_b32_e32 v64, 0
	v_add_u32_e32 v64, 60, v64
	v_add_u32_e32 v65, -15, v0
	s_movk_i32 s14, 0xac
	s_mov_b64 s[6:7], 0
.LBB25_103:                             ; =>This Inner Loop Header: Depth=1
	buffer_load_dword v66, v64, s[0:3], 0 offen
	v_mov_b32_e32 v67, s14
	ds_read_b32 v67, v67
	v_add_u32_e32 v65, -1, v65
	s_add_i32 s14, s14, 4
	v_cmp_eq_u32_e32 vcc, 0, v65
	v_add_u32_e32 v64, 4, v64
	s_or_b64 s[6:7], vcc, s[6:7]
	s_waitcnt vmcnt(0) lgkmcnt(0)
	v_fmac_f32_e32 v63, v66, v67
	s_andn2_b64 exec, exec, s[6:7]
	s_cbranch_execnz .LBB25_103
; %bb.104:
	s_or_b64 exec, exec, s[6:7]
.LBB25_105:
	s_or_b64 exec, exec, s[12:13]
	v_mov_b32_e32 v64, 0
	ds_read_b32 v64, v64 offset:56
	s_waitcnt lgkmcnt(0)
	v_mul_f32_e32 v63, v63, v64
	buffer_store_dword v63, off, s[0:3], 0 offset:56
.LBB25_106:
	s_or_b64 exec, exec, s[10:11]
	buffer_load_dword v63, off, s[0:3], 0 offset:52
	v_cmp_lt_u32_e64 s[6:7], 13, v0
	s_waitcnt vmcnt(0)
	ds_write_b32 v54, v63
	s_waitcnt lgkmcnt(0)
	; wave barrier
	s_waitcnt lgkmcnt(0)
	s_and_saveexec_b64 s[10:11], s[6:7]
	s_cbranch_execz .LBB25_116
; %bb.107:
	s_andn2_b64 vcc, exec, s[8:9]
	s_cbranch_vccnz .LBB25_109
; %bb.108:
	buffer_load_dword v63, v55, s[0:3], 0 offen
	ds_read_b32 v64, v54
	s_waitcnt vmcnt(0) lgkmcnt(0)
	v_mul_f32_e32 v63, v63, v64
	s_cbranch_execz .LBB25_110
	s_branch .LBB25_111
.LBB25_109:
                                        ; implicit-def: $vgpr63
.LBB25_110:
	ds_read_b32 v63, v54
.LBB25_111:
	s_and_saveexec_b64 s[12:13], s[4:5]
	s_cbranch_execz .LBB25_115
; %bb.112:
	v_add_u32_e32 v64, -14, v0
	s_movk_i32 s14, 0xa8
	s_mov_b64 s[4:5], 0
.LBB25_113:                             ; =>This Inner Loop Header: Depth=1
	buffer_load_dword v65, v62, s[0:3], 0 offen
	v_mov_b32_e32 v66, s14
	ds_read_b32 v66, v66
	v_add_u32_e32 v64, -1, v64
	s_add_i32 s14, s14, 4
	v_cmp_eq_u32_e32 vcc, 0, v64
	v_add_u32_e32 v62, 4, v62
	s_or_b64 s[4:5], vcc, s[4:5]
	s_waitcnt vmcnt(0) lgkmcnt(0)
	v_fmac_f32_e32 v63, v65, v66
	s_andn2_b64 exec, exec, s[4:5]
	s_cbranch_execnz .LBB25_113
; %bb.114:
	s_or_b64 exec, exec, s[4:5]
.LBB25_115:
	s_or_b64 exec, exec, s[12:13]
	v_mov_b32_e32 v62, 0
	ds_read_b32 v62, v62 offset:52
	s_waitcnt lgkmcnt(0)
	v_mul_f32_e32 v62, v63, v62
	buffer_store_dword v62, off, s[0:3], 0 offset:52
.LBB25_116:
	s_or_b64 exec, exec, s[10:11]
	buffer_load_dword v62, off, s[0:3], 0 offset:48
	v_cmp_lt_u32_e64 s[4:5], 12, v0
	s_waitcnt vmcnt(0)
	ds_write_b32 v54, v62
	s_waitcnt lgkmcnt(0)
	; wave barrier
	s_waitcnt lgkmcnt(0)
	s_and_saveexec_b64 s[10:11], s[4:5]
	s_cbranch_execz .LBB25_126
; %bb.117:
	s_andn2_b64 vcc, exec, s[8:9]
	s_cbranch_vccnz .LBB25_119
; %bb.118:
	buffer_load_dword v62, v55, s[0:3], 0 offen
	ds_read_b32 v63, v54
	s_waitcnt vmcnt(0) lgkmcnt(0)
	v_mul_f32_e32 v62, v62, v63
	s_cbranch_execz .LBB25_120
	s_branch .LBB25_121
.LBB25_119:
                                        ; implicit-def: $vgpr62
.LBB25_120:
	ds_read_b32 v62, v54
.LBB25_121:
	s_and_saveexec_b64 s[12:13], s[6:7]
	s_cbranch_execz .LBB25_125
; %bb.122:
	v_mov_b32_e32 v63, 0
	v_add_u32_e32 v63, 52, v63
	v_add_u32_e32 v64, -13, v0
	s_movk_i32 s14, 0xa4
	s_mov_b64 s[6:7], 0
.LBB25_123:                             ; =>This Inner Loop Header: Depth=1
	buffer_load_dword v65, v63, s[0:3], 0 offen
	v_mov_b32_e32 v66, s14
	ds_read_b32 v66, v66
	v_add_u32_e32 v64, -1, v64
	s_add_i32 s14, s14, 4
	v_cmp_eq_u32_e32 vcc, 0, v64
	v_add_u32_e32 v63, 4, v63
	s_or_b64 s[6:7], vcc, s[6:7]
	s_waitcnt vmcnt(0) lgkmcnt(0)
	v_fmac_f32_e32 v62, v65, v66
	s_andn2_b64 exec, exec, s[6:7]
	s_cbranch_execnz .LBB25_123
; %bb.124:
	s_or_b64 exec, exec, s[6:7]
.LBB25_125:
	s_or_b64 exec, exec, s[12:13]
	v_mov_b32_e32 v63, 0
	ds_read_b32 v63, v63 offset:48
	s_waitcnt lgkmcnt(0)
	v_mul_f32_e32 v62, v62, v63
	buffer_store_dword v62, off, s[0:3], 0 offset:48
.LBB25_126:
	s_or_b64 exec, exec, s[10:11]
	buffer_load_dword v62, off, s[0:3], 0 offset:44
	v_cmp_lt_u32_e64 s[6:7], 11, v0
	s_waitcnt vmcnt(0)
	ds_write_b32 v54, v62
	s_waitcnt lgkmcnt(0)
	; wave barrier
	s_waitcnt lgkmcnt(0)
	s_and_saveexec_b64 s[10:11], s[6:7]
	s_cbranch_execz .LBB25_136
; %bb.127:
	s_andn2_b64 vcc, exec, s[8:9]
	s_cbranch_vccnz .LBB25_129
; %bb.128:
	buffer_load_dword v62, v55, s[0:3], 0 offen
	ds_read_b32 v63, v54
	s_waitcnt vmcnt(0) lgkmcnt(0)
	v_mul_f32_e32 v62, v62, v63
	s_cbranch_execz .LBB25_130
	s_branch .LBB25_131
.LBB25_129:
                                        ; implicit-def: $vgpr62
.LBB25_130:
	ds_read_b32 v62, v54
.LBB25_131:
	s_and_saveexec_b64 s[12:13], s[4:5]
	s_cbranch_execz .LBB25_135
; %bb.132:
	v_add_u32_e32 v63, -12, v0
	s_movk_i32 s14, 0xa0
	s_mov_b64 s[4:5], 0
.LBB25_133:                             ; =>This Inner Loop Header: Depth=1
	buffer_load_dword v64, v61, s[0:3], 0 offen
	v_mov_b32_e32 v65, s14
	ds_read_b32 v65, v65
	v_add_u32_e32 v63, -1, v63
	s_add_i32 s14, s14, 4
	v_cmp_eq_u32_e32 vcc, 0, v63
	v_add_u32_e32 v61, 4, v61
	s_or_b64 s[4:5], vcc, s[4:5]
	s_waitcnt vmcnt(0) lgkmcnt(0)
	v_fmac_f32_e32 v62, v64, v65
	s_andn2_b64 exec, exec, s[4:5]
	s_cbranch_execnz .LBB25_133
; %bb.134:
	s_or_b64 exec, exec, s[4:5]
.LBB25_135:
	s_or_b64 exec, exec, s[12:13]
	v_mov_b32_e32 v61, 0
	ds_read_b32 v61, v61 offset:44
	s_waitcnt lgkmcnt(0)
	v_mul_f32_e32 v61, v62, v61
	buffer_store_dword v61, off, s[0:3], 0 offset:44
.LBB25_136:
	s_or_b64 exec, exec, s[10:11]
	buffer_load_dword v61, off, s[0:3], 0 offset:40
	v_cmp_lt_u32_e64 s[4:5], 10, v0
	s_waitcnt vmcnt(0)
	ds_write_b32 v54, v61
	s_waitcnt lgkmcnt(0)
	; wave barrier
	s_waitcnt lgkmcnt(0)
	s_and_saveexec_b64 s[10:11], s[4:5]
	s_cbranch_execz .LBB25_146
; %bb.137:
	s_andn2_b64 vcc, exec, s[8:9]
	s_cbranch_vccnz .LBB25_139
; %bb.138:
	buffer_load_dword v61, v55, s[0:3], 0 offen
	ds_read_b32 v62, v54
	s_waitcnt vmcnt(0) lgkmcnt(0)
	v_mul_f32_e32 v61, v61, v62
	s_cbranch_execz .LBB25_140
	s_branch .LBB25_141
.LBB25_139:
                                        ; implicit-def: $vgpr61
.LBB25_140:
	ds_read_b32 v61, v54
.LBB25_141:
	s_and_saveexec_b64 s[12:13], s[6:7]
	s_cbranch_execz .LBB25_145
; %bb.142:
	v_mov_b32_e32 v62, 0
	v_add_u32_e32 v62, 44, v62
	v_add_u32_e32 v63, -11, v0
	s_movk_i32 s14, 0x9c
	s_mov_b64 s[6:7], 0
.LBB25_143:                             ; =>This Inner Loop Header: Depth=1
	buffer_load_dword v64, v62, s[0:3], 0 offen
	v_mov_b32_e32 v65, s14
	ds_read_b32 v65, v65
	v_add_u32_e32 v63, -1, v63
	s_add_i32 s14, s14, 4
	v_cmp_eq_u32_e32 vcc, 0, v63
	v_add_u32_e32 v62, 4, v62
	s_or_b64 s[6:7], vcc, s[6:7]
	s_waitcnt vmcnt(0) lgkmcnt(0)
	v_fmac_f32_e32 v61, v64, v65
	s_andn2_b64 exec, exec, s[6:7]
	s_cbranch_execnz .LBB25_143
; %bb.144:
	s_or_b64 exec, exec, s[6:7]
.LBB25_145:
	s_or_b64 exec, exec, s[12:13]
	v_mov_b32_e32 v62, 0
	ds_read_b32 v62, v62 offset:40
	s_waitcnt lgkmcnt(0)
	v_mul_f32_e32 v61, v61, v62
	buffer_store_dword v61, off, s[0:3], 0 offset:40
.LBB25_146:
	s_or_b64 exec, exec, s[10:11]
	buffer_load_dword v61, off, s[0:3], 0 offset:36
	v_cmp_lt_u32_e64 s[6:7], 9, v0
	s_waitcnt vmcnt(0)
	ds_write_b32 v54, v61
	s_waitcnt lgkmcnt(0)
	; wave barrier
	s_waitcnt lgkmcnt(0)
	s_and_saveexec_b64 s[10:11], s[6:7]
	s_cbranch_execz .LBB25_156
; %bb.147:
	s_andn2_b64 vcc, exec, s[8:9]
	s_cbranch_vccnz .LBB25_149
; %bb.148:
	buffer_load_dword v61, v55, s[0:3], 0 offen
	ds_read_b32 v62, v54
	s_waitcnt vmcnt(0) lgkmcnt(0)
	v_mul_f32_e32 v61, v61, v62
	s_cbranch_execz .LBB25_150
	s_branch .LBB25_151
.LBB25_149:
                                        ; implicit-def: $vgpr61
.LBB25_150:
	ds_read_b32 v61, v54
.LBB25_151:
	s_and_saveexec_b64 s[12:13], s[4:5]
	s_cbranch_execz .LBB25_155
; %bb.152:
	v_add_u32_e32 v62, -10, v0
	s_movk_i32 s14, 0x98
	s_mov_b64 s[4:5], 0
.LBB25_153:                             ; =>This Inner Loop Header: Depth=1
	buffer_load_dword v63, v60, s[0:3], 0 offen
	v_mov_b32_e32 v64, s14
	ds_read_b32 v64, v64
	v_add_u32_e32 v62, -1, v62
	s_add_i32 s14, s14, 4
	v_cmp_eq_u32_e32 vcc, 0, v62
	v_add_u32_e32 v60, 4, v60
	s_or_b64 s[4:5], vcc, s[4:5]
	s_waitcnt vmcnt(0) lgkmcnt(0)
	v_fmac_f32_e32 v61, v63, v64
	s_andn2_b64 exec, exec, s[4:5]
	s_cbranch_execnz .LBB25_153
; %bb.154:
	s_or_b64 exec, exec, s[4:5]
.LBB25_155:
	s_or_b64 exec, exec, s[12:13]
	v_mov_b32_e32 v60, 0
	ds_read_b32 v60, v60 offset:36
	s_waitcnt lgkmcnt(0)
	v_mul_f32_e32 v60, v61, v60
	buffer_store_dword v60, off, s[0:3], 0 offset:36
.LBB25_156:
	s_or_b64 exec, exec, s[10:11]
	buffer_load_dword v60, off, s[0:3], 0 offset:32
	v_cmp_lt_u32_e64 s[4:5], 8, v0
	s_waitcnt vmcnt(0)
	ds_write_b32 v54, v60
	s_waitcnt lgkmcnt(0)
	; wave barrier
	s_waitcnt lgkmcnt(0)
	s_and_saveexec_b64 s[10:11], s[4:5]
	s_cbranch_execz .LBB25_166
; %bb.157:
	s_andn2_b64 vcc, exec, s[8:9]
	s_cbranch_vccnz .LBB25_159
; %bb.158:
	buffer_load_dword v60, v55, s[0:3], 0 offen
	ds_read_b32 v61, v54
	s_waitcnt vmcnt(0) lgkmcnt(0)
	v_mul_f32_e32 v60, v60, v61
	s_cbranch_execz .LBB25_160
	s_branch .LBB25_161
.LBB25_159:
                                        ; implicit-def: $vgpr60
.LBB25_160:
	ds_read_b32 v60, v54
.LBB25_161:
	s_and_saveexec_b64 s[12:13], s[6:7]
	s_cbranch_execz .LBB25_165
; %bb.162:
	v_mov_b32_e32 v61, 0
	v_add_u32_e32 v61, 36, v61
	v_add_u32_e32 v62, -9, v0
	s_movk_i32 s14, 0x94
	s_mov_b64 s[6:7], 0
.LBB25_163:                             ; =>This Inner Loop Header: Depth=1
	buffer_load_dword v63, v61, s[0:3], 0 offen
	v_mov_b32_e32 v64, s14
	ds_read_b32 v64, v64
	v_add_u32_e32 v62, -1, v62
	s_add_i32 s14, s14, 4
	v_cmp_eq_u32_e32 vcc, 0, v62
	v_add_u32_e32 v61, 4, v61
	s_or_b64 s[6:7], vcc, s[6:7]
	s_waitcnt vmcnt(0) lgkmcnt(0)
	v_fmac_f32_e32 v60, v63, v64
	s_andn2_b64 exec, exec, s[6:7]
	s_cbranch_execnz .LBB25_163
; %bb.164:
	s_or_b64 exec, exec, s[6:7]
.LBB25_165:
	s_or_b64 exec, exec, s[12:13]
	v_mov_b32_e32 v61, 0
	ds_read_b32 v61, v61 offset:32
	s_waitcnt lgkmcnt(0)
	v_mul_f32_e32 v60, v60, v61
	buffer_store_dword v60, off, s[0:3], 0 offset:32
.LBB25_166:
	s_or_b64 exec, exec, s[10:11]
	buffer_load_dword v60, off, s[0:3], 0 offset:28
	v_cmp_lt_u32_e64 s[6:7], 7, v0
	s_waitcnt vmcnt(0)
	ds_write_b32 v54, v60
	s_waitcnt lgkmcnt(0)
	; wave barrier
	s_waitcnt lgkmcnt(0)
	s_and_saveexec_b64 s[10:11], s[6:7]
	s_cbranch_execz .LBB25_176
; %bb.167:
	s_andn2_b64 vcc, exec, s[8:9]
	s_cbranch_vccnz .LBB25_169
; %bb.168:
	buffer_load_dword v60, v55, s[0:3], 0 offen
	ds_read_b32 v61, v54
	s_waitcnt vmcnt(0) lgkmcnt(0)
	v_mul_f32_e32 v60, v60, v61
	s_cbranch_execz .LBB25_170
	s_branch .LBB25_171
.LBB25_169:
                                        ; implicit-def: $vgpr60
.LBB25_170:
	ds_read_b32 v60, v54
.LBB25_171:
	s_and_saveexec_b64 s[12:13], s[4:5]
	s_cbranch_execz .LBB25_175
; %bb.172:
	v_add_u32_e32 v61, -8, v0
	s_movk_i32 s14, 0x90
	s_mov_b64 s[4:5], 0
.LBB25_173:                             ; =>This Inner Loop Header: Depth=1
	buffer_load_dword v62, v59, s[0:3], 0 offen
	v_mov_b32_e32 v63, s14
	ds_read_b32 v63, v63
	v_add_u32_e32 v61, -1, v61
	s_add_i32 s14, s14, 4
	v_cmp_eq_u32_e32 vcc, 0, v61
	v_add_u32_e32 v59, 4, v59
	s_or_b64 s[4:5], vcc, s[4:5]
	s_waitcnt vmcnt(0) lgkmcnt(0)
	v_fmac_f32_e32 v60, v62, v63
	s_andn2_b64 exec, exec, s[4:5]
	s_cbranch_execnz .LBB25_173
; %bb.174:
	s_or_b64 exec, exec, s[4:5]
.LBB25_175:
	s_or_b64 exec, exec, s[12:13]
	v_mov_b32_e32 v59, 0
	ds_read_b32 v59, v59 offset:28
	s_waitcnt lgkmcnt(0)
	v_mul_f32_e32 v59, v60, v59
	buffer_store_dword v59, off, s[0:3], 0 offset:28
.LBB25_176:
	s_or_b64 exec, exec, s[10:11]
	buffer_load_dword v59, off, s[0:3], 0 offset:24
	v_cmp_lt_u32_e64 s[4:5], 6, v0
	s_waitcnt vmcnt(0)
	ds_write_b32 v54, v59
	s_waitcnt lgkmcnt(0)
	; wave barrier
	s_waitcnt lgkmcnt(0)
	s_and_saveexec_b64 s[10:11], s[4:5]
	s_cbranch_execz .LBB25_186
; %bb.177:
	s_andn2_b64 vcc, exec, s[8:9]
	s_cbranch_vccnz .LBB25_179
; %bb.178:
	buffer_load_dword v59, v55, s[0:3], 0 offen
	ds_read_b32 v60, v54
	s_waitcnt vmcnt(0) lgkmcnt(0)
	v_mul_f32_e32 v59, v59, v60
	s_cbranch_execz .LBB25_180
	s_branch .LBB25_181
.LBB25_179:
                                        ; implicit-def: $vgpr59
.LBB25_180:
	ds_read_b32 v59, v54
.LBB25_181:
	s_and_saveexec_b64 s[12:13], s[6:7]
	s_cbranch_execz .LBB25_185
; %bb.182:
	v_mov_b32_e32 v60, 0
	v_add_u32_e32 v60, 28, v60
	v_add_u32_e32 v61, -7, v0
	s_movk_i32 s14, 0x8c
	s_mov_b64 s[6:7], 0
.LBB25_183:                             ; =>This Inner Loop Header: Depth=1
	buffer_load_dword v62, v60, s[0:3], 0 offen
	v_mov_b32_e32 v63, s14
	ds_read_b32 v63, v63
	v_add_u32_e32 v61, -1, v61
	s_add_i32 s14, s14, 4
	v_cmp_eq_u32_e32 vcc, 0, v61
	v_add_u32_e32 v60, 4, v60
	s_or_b64 s[6:7], vcc, s[6:7]
	s_waitcnt vmcnt(0) lgkmcnt(0)
	v_fmac_f32_e32 v59, v62, v63
	s_andn2_b64 exec, exec, s[6:7]
	s_cbranch_execnz .LBB25_183
; %bb.184:
	s_or_b64 exec, exec, s[6:7]
.LBB25_185:
	s_or_b64 exec, exec, s[12:13]
	v_mov_b32_e32 v60, 0
	ds_read_b32 v60, v60 offset:24
	s_waitcnt lgkmcnt(0)
	v_mul_f32_e32 v59, v59, v60
	buffer_store_dword v59, off, s[0:3], 0 offset:24
.LBB25_186:
	s_or_b64 exec, exec, s[10:11]
	buffer_load_dword v59, off, s[0:3], 0 offset:20
	v_cmp_lt_u32_e64 s[6:7], 5, v0
	s_waitcnt vmcnt(0)
	ds_write_b32 v54, v59
	s_waitcnt lgkmcnt(0)
	; wave barrier
	s_waitcnt lgkmcnt(0)
	s_and_saveexec_b64 s[10:11], s[6:7]
	s_cbranch_execz .LBB25_196
; %bb.187:
	s_andn2_b64 vcc, exec, s[8:9]
	s_cbranch_vccnz .LBB25_189
; %bb.188:
	buffer_load_dword v59, v55, s[0:3], 0 offen
	ds_read_b32 v60, v54
	s_waitcnt vmcnt(0) lgkmcnt(0)
	v_mul_f32_e32 v59, v59, v60
	s_cbranch_execz .LBB25_190
	s_branch .LBB25_191
.LBB25_189:
                                        ; implicit-def: $vgpr59
.LBB25_190:
	ds_read_b32 v59, v54
.LBB25_191:
	s_and_saveexec_b64 s[12:13], s[4:5]
	s_cbranch_execz .LBB25_195
; %bb.192:
	v_add_u32_e32 v60, -6, v0
	s_movk_i32 s14, 0x88
	s_mov_b64 s[4:5], 0
.LBB25_193:                             ; =>This Inner Loop Header: Depth=1
	buffer_load_dword v61, v58, s[0:3], 0 offen
	v_mov_b32_e32 v62, s14
	ds_read_b32 v62, v62
	v_add_u32_e32 v60, -1, v60
	s_add_i32 s14, s14, 4
	v_cmp_eq_u32_e32 vcc, 0, v60
	v_add_u32_e32 v58, 4, v58
	s_or_b64 s[4:5], vcc, s[4:5]
	s_waitcnt vmcnt(0) lgkmcnt(0)
	v_fmac_f32_e32 v59, v61, v62
	s_andn2_b64 exec, exec, s[4:5]
	s_cbranch_execnz .LBB25_193
; %bb.194:
	s_or_b64 exec, exec, s[4:5]
.LBB25_195:
	s_or_b64 exec, exec, s[12:13]
	v_mov_b32_e32 v58, 0
	ds_read_b32 v58, v58 offset:20
	s_waitcnt lgkmcnt(0)
	v_mul_f32_e32 v58, v59, v58
	buffer_store_dword v58, off, s[0:3], 0 offset:20
.LBB25_196:
	s_or_b64 exec, exec, s[10:11]
	buffer_load_dword v58, off, s[0:3], 0 offset:16
	v_cmp_lt_u32_e64 s[4:5], 4, v0
	s_waitcnt vmcnt(0)
	ds_write_b32 v54, v58
	s_waitcnt lgkmcnt(0)
	; wave barrier
	s_waitcnt lgkmcnt(0)
	s_and_saveexec_b64 s[10:11], s[4:5]
	s_cbranch_execz .LBB25_206
; %bb.197:
	s_andn2_b64 vcc, exec, s[8:9]
	s_cbranch_vccnz .LBB25_199
; %bb.198:
	buffer_load_dword v58, v55, s[0:3], 0 offen
	ds_read_b32 v59, v54
	s_waitcnt vmcnt(0) lgkmcnt(0)
	v_mul_f32_e32 v58, v58, v59
	s_cbranch_execz .LBB25_200
	s_branch .LBB25_201
.LBB25_199:
                                        ; implicit-def: $vgpr58
.LBB25_200:
	ds_read_b32 v58, v54
.LBB25_201:
	s_and_saveexec_b64 s[12:13], s[6:7]
	s_cbranch_execz .LBB25_205
; %bb.202:
	v_mov_b32_e32 v59, 0
	v_add_u32_e32 v59, 20, v59
	v_add_u32_e32 v60, -5, v0
	s_movk_i32 s14, 0x84
	s_mov_b64 s[6:7], 0
.LBB25_203:                             ; =>This Inner Loop Header: Depth=1
	buffer_load_dword v61, v59, s[0:3], 0 offen
	v_mov_b32_e32 v62, s14
	ds_read_b32 v62, v62
	v_add_u32_e32 v60, -1, v60
	s_add_i32 s14, s14, 4
	v_cmp_eq_u32_e32 vcc, 0, v60
	v_add_u32_e32 v59, 4, v59
	s_or_b64 s[6:7], vcc, s[6:7]
	s_waitcnt vmcnt(0) lgkmcnt(0)
	v_fmac_f32_e32 v58, v61, v62
	s_andn2_b64 exec, exec, s[6:7]
	s_cbranch_execnz .LBB25_203
; %bb.204:
	s_or_b64 exec, exec, s[6:7]
.LBB25_205:
	s_or_b64 exec, exec, s[12:13]
	v_mov_b32_e32 v59, 0
	ds_read_b32 v59, v59 offset:16
	s_waitcnt lgkmcnt(0)
	v_mul_f32_e32 v58, v58, v59
	buffer_store_dword v58, off, s[0:3], 0 offset:16
.LBB25_206:
	s_or_b64 exec, exec, s[10:11]
	buffer_load_dword v58, off, s[0:3], 0 offset:12
	v_cmp_lt_u32_e64 s[6:7], 3, v0
	s_waitcnt vmcnt(0)
	ds_write_b32 v54, v58
	s_waitcnt lgkmcnt(0)
	; wave barrier
	s_waitcnt lgkmcnt(0)
	s_and_saveexec_b64 s[10:11], s[6:7]
	s_cbranch_execz .LBB25_216
; %bb.207:
	s_andn2_b64 vcc, exec, s[8:9]
	s_cbranch_vccnz .LBB25_209
; %bb.208:
	buffer_load_dword v58, v55, s[0:3], 0 offen
	ds_read_b32 v59, v54
	s_waitcnt vmcnt(0) lgkmcnt(0)
	v_mul_f32_e32 v58, v58, v59
	s_cbranch_execz .LBB25_210
	s_branch .LBB25_211
.LBB25_209:
                                        ; implicit-def: $vgpr58
.LBB25_210:
	ds_read_b32 v58, v54
.LBB25_211:
	s_and_saveexec_b64 s[12:13], s[4:5]
	s_cbranch_execz .LBB25_215
; %bb.212:
	v_add_u32_e32 v59, -4, v0
	s_movk_i32 s14, 0x80
	s_mov_b64 s[4:5], 0
.LBB25_213:                             ; =>This Inner Loop Header: Depth=1
	buffer_load_dword v60, v57, s[0:3], 0 offen
	v_mov_b32_e32 v61, s14
	ds_read_b32 v61, v61
	v_add_u32_e32 v59, -1, v59
	s_add_i32 s14, s14, 4
	v_cmp_eq_u32_e32 vcc, 0, v59
	v_add_u32_e32 v57, 4, v57
	s_or_b64 s[4:5], vcc, s[4:5]
	s_waitcnt vmcnt(0) lgkmcnt(0)
	v_fmac_f32_e32 v58, v60, v61
	s_andn2_b64 exec, exec, s[4:5]
	s_cbranch_execnz .LBB25_213
; %bb.214:
	s_or_b64 exec, exec, s[4:5]
.LBB25_215:
	s_or_b64 exec, exec, s[12:13]
	v_mov_b32_e32 v57, 0
	ds_read_b32 v57, v57 offset:12
	s_waitcnt lgkmcnt(0)
	v_mul_f32_e32 v57, v58, v57
	buffer_store_dword v57, off, s[0:3], 0 offset:12
.LBB25_216:
	s_or_b64 exec, exec, s[10:11]
	buffer_load_dword v57, off, s[0:3], 0 offset:8
	v_cmp_lt_u32_e64 s[4:5], 2, v0
	s_waitcnt vmcnt(0)
	ds_write_b32 v54, v57
	s_waitcnt lgkmcnt(0)
	; wave barrier
	s_waitcnt lgkmcnt(0)
	s_and_saveexec_b64 s[10:11], s[4:5]
	s_cbranch_execz .LBB25_226
; %bb.217:
	s_andn2_b64 vcc, exec, s[8:9]
	s_cbranch_vccnz .LBB25_219
; %bb.218:
	buffer_load_dword v57, v55, s[0:3], 0 offen
	ds_read_b32 v58, v54
	s_waitcnt vmcnt(0) lgkmcnt(0)
	v_mul_f32_e32 v57, v57, v58
	s_cbranch_execz .LBB25_220
	s_branch .LBB25_221
.LBB25_219:
                                        ; implicit-def: $vgpr57
.LBB25_220:
	ds_read_b32 v57, v54
.LBB25_221:
	s_and_saveexec_b64 s[12:13], s[6:7]
	s_cbranch_execz .LBB25_225
; %bb.222:
	v_mov_b32_e32 v58, 0
	v_or_b32_e32 v58, 12, v58
	v_add_u32_e32 v59, -3, v0
	s_movk_i32 s14, 0x7c
	s_mov_b64 s[6:7], 0
.LBB25_223:                             ; =>This Inner Loop Header: Depth=1
	buffer_load_dword v60, v58, s[0:3], 0 offen
	v_mov_b32_e32 v61, s14
	ds_read_b32 v61, v61
	v_add_u32_e32 v59, -1, v59
	s_add_i32 s14, s14, 4
	v_cmp_eq_u32_e32 vcc, 0, v59
	v_add_u32_e32 v58, 4, v58
	s_or_b64 s[6:7], vcc, s[6:7]
	s_waitcnt vmcnt(0) lgkmcnt(0)
	v_fmac_f32_e32 v57, v60, v61
	s_andn2_b64 exec, exec, s[6:7]
	s_cbranch_execnz .LBB25_223
; %bb.224:
	s_or_b64 exec, exec, s[6:7]
.LBB25_225:
	s_or_b64 exec, exec, s[12:13]
	v_mov_b32_e32 v58, 0
	ds_read_b32 v58, v58 offset:8
	s_waitcnt lgkmcnt(0)
	v_mul_f32_e32 v57, v57, v58
	buffer_store_dword v57, off, s[0:3], 0 offset:8
.LBB25_226:
	s_or_b64 exec, exec, s[10:11]
	buffer_load_dword v57, off, s[0:3], 0 offset:4
	v_cmp_lt_u32_e64 s[6:7], 1, v0
	s_waitcnt vmcnt(0)
	ds_write_b32 v54, v57
	s_waitcnt lgkmcnt(0)
	; wave barrier
	s_waitcnt lgkmcnt(0)
	s_and_saveexec_b64 s[10:11], s[6:7]
	s_cbranch_execz .LBB25_236
; %bb.227:
	s_andn2_b64 vcc, exec, s[8:9]
	s_cbranch_vccnz .LBB25_229
; %bb.228:
	buffer_load_dword v57, v55, s[0:3], 0 offen
	ds_read_b32 v58, v54
	s_waitcnt vmcnt(0) lgkmcnt(0)
	v_mul_f32_e32 v57, v57, v58
	s_cbranch_execz .LBB25_230
	s_branch .LBB25_231
.LBB25_229:
                                        ; implicit-def: $vgpr57
.LBB25_230:
	ds_read_b32 v57, v54
.LBB25_231:
	s_and_saveexec_b64 s[12:13], s[4:5]
	s_cbranch_execz .LBB25_235
; %bb.232:
	v_add_u32_e32 v58, -2, v0
	s_movk_i32 s14, 0x78
	s_mov_b64 s[4:5], 0
.LBB25_233:                             ; =>This Inner Loop Header: Depth=1
	buffer_load_dword v59, v56, s[0:3], 0 offen
	v_mov_b32_e32 v60, s14
	ds_read_b32 v60, v60
	v_add_u32_e32 v58, -1, v58
	s_add_i32 s14, s14, 4
	v_cmp_eq_u32_e32 vcc, 0, v58
	v_add_u32_e32 v56, 4, v56
	s_or_b64 s[4:5], vcc, s[4:5]
	s_waitcnt vmcnt(0) lgkmcnt(0)
	v_fmac_f32_e32 v57, v59, v60
	s_andn2_b64 exec, exec, s[4:5]
	s_cbranch_execnz .LBB25_233
; %bb.234:
	s_or_b64 exec, exec, s[4:5]
.LBB25_235:
	s_or_b64 exec, exec, s[12:13]
	v_mov_b32_e32 v56, 0
	ds_read_b32 v56, v56 offset:4
	s_waitcnt lgkmcnt(0)
	v_mul_f32_e32 v56, v57, v56
	buffer_store_dword v56, off, s[0:3], 0 offset:4
.LBB25_236:
	s_or_b64 exec, exec, s[10:11]
	buffer_load_dword v56, off, s[0:3], 0
	v_cmp_ne_u32_e32 vcc, 0, v0
	s_waitcnt vmcnt(0)
	ds_write_b32 v54, v56
	s_waitcnt lgkmcnt(0)
	; wave barrier
	s_waitcnt lgkmcnt(0)
	s_and_saveexec_b64 s[4:5], vcc
	s_cbranch_execz .LBB25_246
; %bb.237:
	s_andn2_b64 vcc, exec, s[8:9]
	s_cbranch_vccnz .LBB25_239
; %bb.238:
	buffer_load_dword v56, v55, s[0:3], 0 offen
	ds_read_b32 v57, v54
	s_waitcnt vmcnt(0) lgkmcnt(0)
	v_mul_f32_e32 v56, v56, v57
	s_cbranch_execz .LBB25_240
	s_branch .LBB25_241
.LBB25_239:
                                        ; implicit-def: $vgpr56
.LBB25_240:
	ds_read_b32 v56, v54
.LBB25_241:
	s_and_saveexec_b64 s[10:11], s[6:7]
	s_cbranch_execz .LBB25_245
; %bb.242:
	v_mov_b32_e32 v57, 0
	v_or_b32_e32 v57, 4, v57
	v_add_u32_e32 v58, -1, v0
	s_movk_i32 s12, 0x74
	s_mov_b64 s[6:7], 0
.LBB25_243:                             ; =>This Inner Loop Header: Depth=1
	buffer_load_dword v59, v57, s[0:3], 0 offen
	v_mov_b32_e32 v60, s12
	ds_read_b32 v60, v60
	v_add_u32_e32 v58, -1, v58
	s_add_i32 s12, s12, 4
	v_cmp_eq_u32_e32 vcc, 0, v58
	v_add_u32_e32 v57, 4, v57
	s_or_b64 s[6:7], vcc, s[6:7]
	s_waitcnt vmcnt(0) lgkmcnt(0)
	v_fmac_f32_e32 v56, v59, v60
	s_andn2_b64 exec, exec, s[6:7]
	s_cbranch_execnz .LBB25_243
; %bb.244:
	s_or_b64 exec, exec, s[6:7]
.LBB25_245:
	s_or_b64 exec, exec, s[10:11]
	v_mov_b32_e32 v57, 0
	ds_read_b32 v57, v57
	s_waitcnt lgkmcnt(0)
	v_mul_f32_e32 v56, v56, v57
	buffer_store_dword v56, off, s[0:3], 0
.LBB25_246:
	s_or_b64 exec, exec, s[4:5]
	s_mov_b64 s[4:5], 0
.LBB25_247:
	s_and_b64 vcc, exec, s[4:5]
	s_cbranch_vccz .LBB25_491
; %bb.248:
	buffer_load_dword v56, off, s[0:3], 0 offset:4
	v_cmp_eq_u32_e64 s[6:7], 0, v0
	s_waitcnt vmcnt(0)
	ds_write_b32 v54, v56
	s_waitcnt lgkmcnt(0)
	; wave barrier
	s_waitcnt lgkmcnt(0)
	s_and_saveexec_b64 s[4:5], s[6:7]
	s_cbranch_execz .LBB25_254
; %bb.249:
	s_and_b64 vcc, exec, s[8:9]
	s_cbranch_vccz .LBB25_251
; %bb.250:
	buffer_load_dword v56, v55, s[0:3], 0 offen
	ds_read_b32 v57, v54
	s_waitcnt vmcnt(0) lgkmcnt(0)
	v_mul_f32_e32 v56, v56, v57
	s_cbranch_execz .LBB25_252
	s_branch .LBB25_253
.LBB25_251:
                                        ; implicit-def: $vgpr56
.LBB25_252:
	ds_read_b32 v56, v54
.LBB25_253:
	v_mov_b32_e32 v57, 0
	ds_read_b32 v57, v57 offset:4
	s_waitcnt lgkmcnt(0)
	v_mul_f32_e32 v56, v56, v57
	buffer_store_dword v56, off, s[0:3], 0 offset:4
.LBB25_254:
	s_or_b64 exec, exec, s[4:5]
	buffer_load_dword v56, off, s[0:3], 0 offset:8
	v_cndmask_b32_e64 v57, 0, 1, s[8:9]
	v_cmp_gt_u32_e32 vcc, 2, v0
	v_cmp_ne_u32_e64 s[4:5], 1, v57
	s_waitcnt vmcnt(0)
	ds_write_b32 v54, v56
	s_waitcnt lgkmcnt(0)
	; wave barrier
	s_waitcnt lgkmcnt(0)
	s_and_saveexec_b64 s[8:9], vcc
	s_cbranch_execz .LBB25_262
; %bb.255:
	s_and_b64 vcc, exec, s[4:5]
	s_cbranch_vccnz .LBB25_257
; %bb.256:
	buffer_load_dword v56, v55, s[0:3], 0 offen
	ds_read_b32 v57, v54
	s_waitcnt vmcnt(0) lgkmcnt(0)
	v_mul_f32_e32 v56, v56, v57
	s_cbranch_execz .LBB25_258
	s_branch .LBB25_259
.LBB25_257:
                                        ; implicit-def: $vgpr56
.LBB25_258:
	ds_read_b32 v56, v54
.LBB25_259:
	s_and_saveexec_b64 s[10:11], s[6:7]
	s_cbranch_execz .LBB25_261
; %bb.260:
	buffer_load_dword v57, v55, s[0:3], 0 offen offset:4
	ds_read_b32 v58, v54 offset:4
	s_waitcnt vmcnt(0) lgkmcnt(0)
	v_fmac_f32_e32 v56, v57, v58
.LBB25_261:
	s_or_b64 exec, exec, s[10:11]
	v_mov_b32_e32 v57, 0
	ds_read_b32 v57, v57 offset:8
	s_waitcnt lgkmcnt(0)
	v_mul_f32_e32 v56, v56, v57
	buffer_store_dword v56, off, s[0:3], 0 offset:8
.LBB25_262:
	s_or_b64 exec, exec, s[8:9]
	buffer_load_dword v56, off, s[0:3], 0 offset:12
	v_cmp_gt_u32_e32 vcc, 3, v0
	s_waitcnt vmcnt(0)
	ds_write_b32 v54, v56
	s_waitcnt lgkmcnt(0)
	; wave barrier
	s_waitcnt lgkmcnt(0)
	s_and_saveexec_b64 s[8:9], vcc
	s_cbranch_execz .LBB25_270
; %bb.263:
	s_and_b64 vcc, exec, s[4:5]
	s_cbranch_vccnz .LBB25_265
; %bb.264:
	buffer_load_dword v56, v55, s[0:3], 0 offen
	ds_read_b32 v57, v54
	s_waitcnt vmcnt(0) lgkmcnt(0)
	v_mul_f32_e32 v56, v56, v57
	s_cbranch_execz .LBB25_266
	s_branch .LBB25_267
.LBB25_265:
                                        ; implicit-def: $vgpr56
.LBB25_266:
	ds_read_b32 v56, v54
.LBB25_267:
	v_cmp_ne_u32_e32 vcc, 2, v0
	s_and_saveexec_b64 s[10:11], vcc
	s_cbranch_execz .LBB25_269
; %bb.268:
	buffer_load_dword v57, v55, s[0:3], 0 offen offset:4
	buffer_load_dword v58, off, s[0:3], 0 offset:8
	v_mov_b32_e32 v59, 0
	ds_read_b32 v60, v54 offset:4
	ds_read_b32 v59, v59 offset:120
	s_waitcnt vmcnt(1) lgkmcnt(1)
	v_fmac_f32_e32 v56, v57, v60
	s_waitcnt vmcnt(0) lgkmcnt(0)
	v_fma_f32 v57, v58, v59, v56
	v_cndmask_b32_e64 v56, v56, v57, s[6:7]
.LBB25_269:
	s_or_b64 exec, exec, s[10:11]
	v_mov_b32_e32 v57, 0
	ds_read_b32 v57, v57 offset:12
	s_waitcnt lgkmcnt(0)
	v_mul_f32_e32 v56, v56, v57
	buffer_store_dword v56, off, s[0:3], 0 offset:12
.LBB25_270:
	s_or_b64 exec, exec, s[8:9]
	buffer_load_dword v56, off, s[0:3], 0 offset:16
	v_cmp_gt_u32_e32 vcc, 4, v0
	s_waitcnt vmcnt(0)
	ds_write_b32 v54, v56
	s_waitcnt lgkmcnt(0)
	; wave barrier
	s_waitcnt lgkmcnt(0)
	s_and_saveexec_b64 s[6:7], vcc
	s_cbranch_execz .LBB25_280
; %bb.271:
	s_and_b64 vcc, exec, s[4:5]
	s_cbranch_vccnz .LBB25_273
; %bb.272:
	buffer_load_dword v56, v55, s[0:3], 0 offen
	ds_read_b32 v57, v54
	s_waitcnt vmcnt(0) lgkmcnt(0)
	v_mul_f32_e32 v56, v56, v57
	s_cbranch_execz .LBB25_274
	s_branch .LBB25_275
.LBB25_273:
                                        ; implicit-def: $vgpr56
.LBB25_274:
	ds_read_b32 v56, v54
.LBB25_275:
	v_cmp_ne_u32_e32 vcc, 3, v0
	s_and_saveexec_b64 s[8:9], vcc
	s_cbranch_execz .LBB25_279
; %bb.276:
	v_mov_b32_e32 v58, 0
	v_add_u32_e32 v57, 0x74, v1
	v_add3_u32 v58, v1, v58, 4
	s_mov_b64 s[10:11], 0
	v_mov_b32_e32 v59, v0
.LBB25_277:                             ; =>This Inner Loop Header: Depth=1
	buffer_load_dword v60, v58, s[0:3], 0 offen
	ds_read_b32 v61, v57
	v_add_u32_e32 v59, 1, v59
	v_cmp_lt_u32_e32 vcc, 2, v59
	v_add_u32_e32 v57, 4, v57
	v_add_u32_e32 v58, 4, v58
	s_or_b64 s[10:11], vcc, s[10:11]
	s_waitcnt vmcnt(0) lgkmcnt(0)
	v_fmac_f32_e32 v56, v60, v61
	s_andn2_b64 exec, exec, s[10:11]
	s_cbranch_execnz .LBB25_277
; %bb.278:
	s_or_b64 exec, exec, s[10:11]
.LBB25_279:
	s_or_b64 exec, exec, s[8:9]
	v_mov_b32_e32 v57, 0
	ds_read_b32 v57, v57 offset:16
	s_waitcnt lgkmcnt(0)
	v_mul_f32_e32 v56, v56, v57
	buffer_store_dword v56, off, s[0:3], 0 offset:16
.LBB25_280:
	s_or_b64 exec, exec, s[6:7]
	buffer_load_dword v56, off, s[0:3], 0 offset:20
	v_cmp_gt_u32_e32 vcc, 5, v0
	s_waitcnt vmcnt(0)
	ds_write_b32 v54, v56
	s_waitcnt lgkmcnt(0)
	; wave barrier
	s_waitcnt lgkmcnt(0)
	s_and_saveexec_b64 s[6:7], vcc
	s_cbranch_execz .LBB25_290
; %bb.281:
	s_and_b64 vcc, exec, s[4:5]
	s_cbranch_vccnz .LBB25_283
; %bb.282:
	buffer_load_dword v56, v55, s[0:3], 0 offen
	ds_read_b32 v57, v54
	s_waitcnt vmcnt(0) lgkmcnt(0)
	v_mul_f32_e32 v56, v56, v57
	s_cbranch_execz .LBB25_284
	s_branch .LBB25_285
.LBB25_283:
                                        ; implicit-def: $vgpr56
.LBB25_284:
	ds_read_b32 v56, v54
.LBB25_285:
	v_cmp_ne_u32_e32 vcc, 4, v0
	s_and_saveexec_b64 s[8:9], vcc
	s_cbranch_execz .LBB25_289
; %bb.286:
	v_mov_b32_e32 v58, 0
	v_add_u32_e32 v57, 0x74, v1
	v_add3_u32 v58, v1, v58, 4
	s_mov_b64 s[10:11], 0
	v_mov_b32_e32 v59, v0
.LBB25_287:                             ; =>This Inner Loop Header: Depth=1
	buffer_load_dword v60, v58, s[0:3], 0 offen
	ds_read_b32 v61, v57
	v_add_u32_e32 v59, 1, v59
	v_cmp_lt_u32_e32 vcc, 3, v59
	v_add_u32_e32 v57, 4, v57
	v_add_u32_e32 v58, 4, v58
	s_or_b64 s[10:11], vcc, s[10:11]
	s_waitcnt vmcnt(0) lgkmcnt(0)
	v_fmac_f32_e32 v56, v60, v61
	s_andn2_b64 exec, exec, s[10:11]
	s_cbranch_execnz .LBB25_287
; %bb.288:
	s_or_b64 exec, exec, s[10:11]
.LBB25_289:
	s_or_b64 exec, exec, s[8:9]
	v_mov_b32_e32 v57, 0
	ds_read_b32 v57, v57 offset:20
	s_waitcnt lgkmcnt(0)
	v_mul_f32_e32 v56, v56, v57
	buffer_store_dword v56, off, s[0:3], 0 offset:20
.LBB25_290:
	;; [unrolled: 56-line block ×20, first 2 shown]
	s_or_b64 exec, exec, s[6:7]
	buffer_load_dword v56, off, s[0:3], 0 offset:96
	v_cmp_gt_u32_e64 s[6:7], 24, v0
	s_waitcnt vmcnt(0)
	ds_write_b32 v54, v56
	s_waitcnt lgkmcnt(0)
	; wave barrier
	s_waitcnt lgkmcnt(0)
	s_and_saveexec_b64 s[8:9], s[6:7]
	s_cbranch_execz .LBB25_480
; %bb.471:
	s_and_b64 vcc, exec, s[4:5]
	s_cbranch_vccnz .LBB25_473
; %bb.472:
	buffer_load_dword v56, v55, s[0:3], 0 offen
	ds_read_b32 v57, v54
	s_waitcnt vmcnt(0) lgkmcnt(0)
	v_mul_f32_e32 v56, v56, v57
	s_cbranch_execz .LBB25_474
	s_branch .LBB25_475
.LBB25_473:
                                        ; implicit-def: $vgpr56
.LBB25_474:
	ds_read_b32 v56, v54
.LBB25_475:
	v_cmp_ne_u32_e32 vcc, 23, v0
	s_and_saveexec_b64 s[10:11], vcc
	s_cbranch_execz .LBB25_479
; %bb.476:
	v_mov_b32_e32 v58, 0
	v_add_u32_e32 v57, 0x74, v1
	v_add3_u32 v58, v1, v58, 4
	s_mov_b64 s[12:13], 0
	v_mov_b32_e32 v59, v0
.LBB25_477:                             ; =>This Inner Loop Header: Depth=1
	buffer_load_dword v60, v58, s[0:3], 0 offen
	ds_read_b32 v61, v57
	v_add_u32_e32 v59, 1, v59
	v_cmp_lt_u32_e32 vcc, 22, v59
	v_add_u32_e32 v57, 4, v57
	v_add_u32_e32 v58, 4, v58
	s_or_b64 s[12:13], vcc, s[12:13]
	s_waitcnt vmcnt(0) lgkmcnt(0)
	v_fmac_f32_e32 v56, v60, v61
	s_andn2_b64 exec, exec, s[12:13]
	s_cbranch_execnz .LBB25_477
; %bb.478:
	s_or_b64 exec, exec, s[12:13]
.LBB25_479:
	s_or_b64 exec, exec, s[10:11]
	v_mov_b32_e32 v57, 0
	ds_read_b32 v57, v57 offset:96
	s_waitcnt lgkmcnt(0)
	v_mul_f32_e32 v56, v56, v57
	buffer_store_dword v56, off, s[0:3], 0 offset:96
.LBB25_480:
	s_or_b64 exec, exec, s[8:9]
	buffer_load_dword v56, off, s[0:3], 0 offset:100
	v_cmp_ne_u32_e32 vcc, 25, v0
	s_waitcnt vmcnt(0)
	ds_write_b32 v54, v56
	s_waitcnt lgkmcnt(0)
	; wave barrier
	s_waitcnt lgkmcnt(0)
	s_and_saveexec_b64 s[8:9], vcc
	s_cbranch_execz .LBB25_490
; %bb.481:
	s_and_b64 vcc, exec, s[4:5]
	s_cbranch_vccnz .LBB25_483
; %bb.482:
	buffer_load_dword v55, v55, s[0:3], 0 offen
	ds_read_b32 v56, v54
	s_waitcnt vmcnt(0) lgkmcnt(0)
	v_mul_f32_e32 v55, v55, v56
	s_cbranch_execz .LBB25_484
	s_branch .LBB25_485
.LBB25_483:
                                        ; implicit-def: $vgpr55
.LBB25_484:
	ds_read_b32 v55, v54
.LBB25_485:
	s_and_saveexec_b64 s[4:5], s[6:7]
	s_cbranch_execz .LBB25_489
; %bb.486:
	v_mov_b32_e32 v56, 0
	v_add_u32_e32 v54, 0x74, v1
	v_add3_u32 v1, v1, v56, 4
	s_mov_b64 s[6:7], 0
.LBB25_487:                             ; =>This Inner Loop Header: Depth=1
	buffer_load_dword v56, v1, s[0:3], 0 offen
	ds_read_b32 v57, v54
	v_add_u32_e32 v0, 1, v0
	v_cmp_lt_u32_e32 vcc, 23, v0
	v_add_u32_e32 v54, 4, v54
	v_add_u32_e32 v1, 4, v1
	s_or_b64 s[6:7], vcc, s[6:7]
	s_waitcnt vmcnt(0) lgkmcnt(0)
	v_fmac_f32_e32 v55, v56, v57
	s_andn2_b64 exec, exec, s[6:7]
	s_cbranch_execnz .LBB25_487
; %bb.488:
	s_or_b64 exec, exec, s[6:7]
.LBB25_489:
	s_or_b64 exec, exec, s[4:5]
	v_mov_b32_e32 v0, 0
	ds_read_b32 v0, v0 offset:100
	s_waitcnt lgkmcnt(0)
	v_mul_f32_e32 v0, v55, v0
	buffer_store_dword v0, off, s[0:3], 0 offset:100
.LBB25_490:
	s_or_b64 exec, exec, s[8:9]
.LBB25_491:
	buffer_load_dword v0, off, s[0:3], 0
	buffer_load_dword v1, off, s[0:3], 0 offset:4
	buffer_load_dword v54, off, s[0:3], 0 offset:8
	;; [unrolled: 1-line block ×23, first 2 shown]
	s_waitcnt vmcnt(23)
	global_store_dword v[2:3], v0, off
	buffer_load_dword v0, off, s[0:3], 0 offset:96
	s_nop 0
	buffer_load_dword v2, off, s[0:3], 0 offset:100
	s_waitcnt vmcnt(25)
	global_store_dword v[4:5], v1, off
	s_waitcnt vmcnt(25)
	global_store_dword v[6:7], v54, off
	;; [unrolled: 2-line block ×25, first 2 shown]
.LBB25_492:
	s_endpgm
	.section	.rodata,"a",@progbits
	.p2align	6, 0x0
	.amdhsa_kernel _ZN9rocsolver6v33100L18trti2_kernel_smallILi26EfPfEEv13rocblas_fill_17rocblas_diagonal_T1_iil
		.amdhsa_group_segment_fixed_size 216
		.amdhsa_private_segment_fixed_size 112
		.amdhsa_kernarg_size 32
		.amdhsa_user_sgpr_count 8
		.amdhsa_user_sgpr_private_segment_buffer 1
		.amdhsa_user_sgpr_dispatch_ptr 0
		.amdhsa_user_sgpr_queue_ptr 0
		.amdhsa_user_sgpr_kernarg_segment_ptr 1
		.amdhsa_user_sgpr_dispatch_id 0
		.amdhsa_user_sgpr_flat_scratch_init 1
		.amdhsa_user_sgpr_kernarg_preload_length 0
		.amdhsa_user_sgpr_kernarg_preload_offset 0
		.amdhsa_user_sgpr_private_segment_size 0
		.amdhsa_uses_dynamic_stack 0
		.amdhsa_system_sgpr_private_segment_wavefront_offset 1
		.amdhsa_system_sgpr_workgroup_id_x 1
		.amdhsa_system_sgpr_workgroup_id_y 0
		.amdhsa_system_sgpr_workgroup_id_z 0
		.amdhsa_system_sgpr_workgroup_info 0
		.amdhsa_system_vgpr_workitem_id 0
		.amdhsa_next_free_vgpr 76
		.amdhsa_next_free_sgpr 20
		.amdhsa_accum_offset 76
		.amdhsa_reserve_vcc 1
		.amdhsa_reserve_flat_scratch 0
		.amdhsa_float_round_mode_32 0
		.amdhsa_float_round_mode_16_64 0
		.amdhsa_float_denorm_mode_32 3
		.amdhsa_float_denorm_mode_16_64 3
		.amdhsa_dx10_clamp 1
		.amdhsa_ieee_mode 1
		.amdhsa_fp16_overflow 0
		.amdhsa_tg_split 0
		.amdhsa_exception_fp_ieee_invalid_op 0
		.amdhsa_exception_fp_denorm_src 0
		.amdhsa_exception_fp_ieee_div_zero 0
		.amdhsa_exception_fp_ieee_overflow 0
		.amdhsa_exception_fp_ieee_underflow 0
		.amdhsa_exception_fp_ieee_inexact 0
		.amdhsa_exception_int_div_zero 0
	.end_amdhsa_kernel
	.section	.text._ZN9rocsolver6v33100L18trti2_kernel_smallILi26EfPfEEv13rocblas_fill_17rocblas_diagonal_T1_iil,"axG",@progbits,_ZN9rocsolver6v33100L18trti2_kernel_smallILi26EfPfEEv13rocblas_fill_17rocblas_diagonal_T1_iil,comdat
.Lfunc_end25:
	.size	_ZN9rocsolver6v33100L18trti2_kernel_smallILi26EfPfEEv13rocblas_fill_17rocblas_diagonal_T1_iil, .Lfunc_end25-_ZN9rocsolver6v33100L18trti2_kernel_smallILi26EfPfEEv13rocblas_fill_17rocblas_diagonal_T1_iil
                                        ; -- End function
	.section	.AMDGPU.csdata,"",@progbits
; Kernel info:
; codeLenInByte = 12564
; NumSgprs: 24
; NumVgprs: 76
; NumAgprs: 0
; TotalNumVgprs: 76
; ScratchSize: 112
; MemoryBound: 0
; FloatMode: 240
; IeeeMode: 1
; LDSByteSize: 216 bytes/workgroup (compile time only)
; SGPRBlocks: 2
; VGPRBlocks: 9
; NumSGPRsForWavesPerEU: 24
; NumVGPRsForWavesPerEU: 76
; AccumOffset: 76
; Occupancy: 6
; WaveLimiterHint : 0
; COMPUTE_PGM_RSRC2:SCRATCH_EN: 1
; COMPUTE_PGM_RSRC2:USER_SGPR: 8
; COMPUTE_PGM_RSRC2:TRAP_HANDLER: 0
; COMPUTE_PGM_RSRC2:TGID_X_EN: 1
; COMPUTE_PGM_RSRC2:TGID_Y_EN: 0
; COMPUTE_PGM_RSRC2:TGID_Z_EN: 0
; COMPUTE_PGM_RSRC2:TIDIG_COMP_CNT: 0
; COMPUTE_PGM_RSRC3_GFX90A:ACCUM_OFFSET: 18
; COMPUTE_PGM_RSRC3_GFX90A:TG_SPLIT: 0
	.section	.text._ZN9rocsolver6v33100L18trti2_kernel_smallILi27EfPfEEv13rocblas_fill_17rocblas_diagonal_T1_iil,"axG",@progbits,_ZN9rocsolver6v33100L18trti2_kernel_smallILi27EfPfEEv13rocblas_fill_17rocblas_diagonal_T1_iil,comdat
	.globl	_ZN9rocsolver6v33100L18trti2_kernel_smallILi27EfPfEEv13rocblas_fill_17rocblas_diagonal_T1_iil ; -- Begin function _ZN9rocsolver6v33100L18trti2_kernel_smallILi27EfPfEEv13rocblas_fill_17rocblas_diagonal_T1_iil
	.p2align	8
	.type	_ZN9rocsolver6v33100L18trti2_kernel_smallILi27EfPfEEv13rocblas_fill_17rocblas_diagonal_T1_iil,@function
_ZN9rocsolver6v33100L18trti2_kernel_smallILi27EfPfEEv13rocblas_fill_17rocblas_diagonal_T1_iil: ; @_ZN9rocsolver6v33100L18trti2_kernel_smallILi27EfPfEEv13rocblas_fill_17rocblas_diagonal_T1_iil
; %bb.0:
	s_add_u32 s0, s0, s9
	s_addc_u32 s1, s1, 0
	v_cmp_gt_u32_e32 vcc, 27, v0
	s_and_saveexec_b64 s[6:7], vcc
	s_cbranch_execz .LBB26_512
; %bb.1:
	s_load_dwordx8 s[12:19], s[4:5], 0x0
	s_ashr_i32 s6, s8, 31
	v_lshlrev_b32_e32 v1, 2, v0
	v_mov_b32_e32 v69, 0
	s_waitcnt lgkmcnt(0)
	s_mul_i32 s7, s8, s19
	s_mul_hi_u32 s9, s8, s18
	s_add_i32 s7, s9, s7
	s_mul_i32 s6, s6, s18
	s_add_i32 s7, s7, s6
	s_mul_i32 s6, s8, s18
	s_ashr_i32 s5, s16, 31
	s_lshl_b64 s[6:7], s[6:7], 2
	s_mov_b32 s4, s16
	s_add_u32 s6, s14, s6
	s_addc_u32 s7, s15, s7
	s_lshl_b64 s[4:5], s[4:5], 2
	s_add_u32 s4, s6, s4
	s_addc_u32 s5, s7, s5
	global_load_dword v17, v1, s[4:5]
	v_mov_b32_e32 v2, s5
	v_add_co_u32_e32 v4, vcc, s4, v1
	s_ashr_i32 s7, s17, 31
	s_mov_b32 s6, s17
	v_addc_co_u32_e32 v5, vcc, 0, v2, vcc
	s_lshl_b64 s[6:7], s[6:7], 2
	v_add_co_u32_e32 v2, vcc, s6, v4
	s_add_i32 s6, s17, s17
	v_add_u32_e32 v8, s6, v0
	v_mov_b32_e32 v3, s7
	v_ashrrev_i32_e32 v9, 31, v8
	v_addc_co_u32_e32 v3, vcc, v5, v3, vcc
	v_lshlrev_b64 v[6:7], 2, v[8:9]
	v_add_u32_e32 v10, s17, v8
	v_mov_b32_e32 v9, s5
	v_add_co_u32_e32 v6, vcc, s4, v6
	v_ashrrev_i32_e32 v11, 31, v10
	v_addc_co_u32_e32 v7, vcc, v9, v7, vcc
	v_lshlrev_b64 v[8:9], 2, v[10:11]
	v_add_u32_e32 v12, s17, v10
	v_mov_b32_e32 v11, s5
	v_add_co_u32_e32 v8, vcc, s4, v8
	;; [unrolled: 6-line block ×3, first 2 shown]
	v_ashrrev_i32_e32 v15, 31, v14
	v_addc_co_u32_e32 v11, vcc, v13, v11, vcc
	v_lshlrev_b64 v[12:13], 2, v[14:15]
	v_mov_b32_e32 v15, s5
	v_add_co_u32_e32 v12, vcc, s4, v12
	global_load_dword v23, v[2:3], off
	global_load_dword v25, v[6:7], off
	;; [unrolled: 1-line block ×3, first 2 shown]
	v_addc_co_u32_e32 v13, vcc, v15, v13, vcc
	global_load_dword v29, v[10:11], off
	global_load_dword v31, v[12:13], off
	v_add_u32_e32 v16, s17, v14
	v_add_u32_e32 v18, s17, v16
	;; [unrolled: 1-line block ×21, first 2 shown]
	v_ashrrev_i32_e32 v15, 31, v14
	v_lshlrev_b64 v[14:15], 2, v[14:15]
	v_mov_b32_e32 v19, s5
	v_add_co_u32_e32 v14, vcc, s4, v14
	v_addc_co_u32_e32 v15, vcc, v19, v15, vcc
	v_mov_b32_e32 v21, s5
	v_mov_b32_e32 v33, s5
	global_load_dword v56, v[14:15], off
	v_mov_b32_e32 v35, s5
	s_waitcnt vmcnt(6)
	buffer_store_dword v17, off, s[0:3], 0
	v_ashrrev_i32_e32 v17, 31, v16
	v_lshlrev_b64 v[16:17], 2, v[16:17]
	v_add_co_u32_e32 v16, vcc, s4, v16
	v_addc_co_u32_e32 v17, vcc, v19, v17, vcc
	v_ashrrev_i32_e32 v19, 31, v18
	v_lshlrev_b64 v[18:19], 2, v[18:19]
	v_add_co_u32_e32 v18, vcc, s4, v18
	v_addc_co_u32_e32 v19, vcc, v21, v19, vcc
	;; [unrolled: 4-line block ×3, first 2 shown]
	global_load_dword v57, v[16:17], off
	global_load_dword v58, v[18:19], off
	global_load_dword v59, v[20:21], off
	s_waitcnt vmcnt(9)
	buffer_store_dword v23, off, s[0:3], 0 offset:4
	s_waitcnt vmcnt(8)
	buffer_store_dword v27, off, s[0:3], 0 offset:12
	buffer_store_dword v25, off, s[0:3], 0 offset:8
	s_waitcnt vmcnt(9)
	buffer_store_dword v29, off, s[0:3], 0 offset:16
	s_waitcnt vmcnt(9)
	buffer_store_dword v31, off, s[0:3], 0 offset:20
	v_ashrrev_i32_e32 v23, 31, v22
	v_lshlrev_b64 v[22:23], 2, v[22:23]
	v_mov_b32_e32 v25, s5
	v_add_co_u32_e32 v22, vcc, s4, v22
	v_addc_co_u32_e32 v23, vcc, v25, v23, vcc
	v_ashrrev_i32_e32 v25, 31, v24
	v_lshlrev_b64 v[24:25], 2, v[24:25]
	v_mov_b32_e32 v27, s5
	v_add_co_u32_e32 v24, vcc, s4, v24
	v_addc_co_u32_e32 v25, vcc, v27, v25, vcc
	;; [unrolled: 5-line block ×4, first 2 shown]
	v_ashrrev_i32_e32 v31, 31, v30
	v_lshlrev_b64 v[30:31], 2, v[30:31]
	v_add_co_u32_e32 v30, vcc, s4, v30
	v_addc_co_u32_e32 v31, vcc, v33, v31, vcc
	v_ashrrev_i32_e32 v33, 31, v32
	v_lshlrev_b64 v[32:33], 2, v[32:33]
	v_add_co_u32_e32 v32, vcc, s4, v32
	v_addc_co_u32_e32 v33, vcc, v35, v33, vcc
	v_ashrrev_i32_e32 v35, 31, v34
	v_lshlrev_b64 v[34:35], 2, v[34:35]
	v_mov_b32_e32 v37, s5
	v_add_co_u32_e32 v34, vcc, s4, v34
	v_addc_co_u32_e32 v35, vcc, v37, v35, vcc
	v_ashrrev_i32_e32 v37, 31, v36
	v_lshlrev_b64 v[36:37], 2, v[36:37]
	v_mov_b32_e32 v39, s5
	;; [unrolled: 5-line block ×11, first 2 shown]
	v_add_co_u32_e32 v54, vcc, s4, v54
	global_load_dword v60, v[22:23], off
	global_load_dword v61, v[24:25], off
	;; [unrolled: 1-line block ×8, first 2 shown]
	v_addc_co_u32_e32 v55, vcc, v68, v55, vcc
	global_load_dword v68, v[38:39], off
	global_load_dword v70, v[40:41], off
	;; [unrolled: 1-line block ×8, first 2 shown]
	s_cmpk_lg_i32 s13, 0x84
	s_waitcnt vmcnt(23)
	buffer_store_dword v57, off, s[0:3], 0 offset:24
	global_load_dword v57, v[52:53], off
	s_cselect_b64 s[10:11], -1, 0
	s_waitcnt vmcnt(24)
	buffer_store_dword v58, off, s[0:3], 0 offset:28
	s_waitcnt vmcnt(24)
	buffer_store_dword v59, off, s[0:3], 0 offset:32
	;; [unrolled: 2-line block ×4, first 2 shown]
	buffer_store_dword v61, off, s[0:3], 0 offset:40
	s_waitcnt vmcnt(19)
	buffer_store_dword v63, off, s[0:3], 0 offset:48
	s_waitcnt vmcnt(19)
	;; [unrolled: 2-line block ×9, first 2 shown]
	buffer_store_dword v73, off, s[0:3], 0 offset:84
	buffer_store_dword v72, off, s[0:3], 0 offset:80
	s_waitcnt vmcnt(18)
	buffer_store_dword v75, off, s[0:3], 0 offset:92
	buffer_store_dword v74, off, s[0:3], 0 offset:88
	s_waitcnt vmcnt(19)
	buffer_store_dword v76, off, s[0:3], 0 offset:100
	s_waitcnt vmcnt(18)
	buffer_store_dword v57, off, s[0:3], 0 offset:96
	buffer_store_dword v56, off, s[0:3], 0 offset:104
	s_cmpk_eq_i32 s13, 0x84
	v_mov_b32_e32 v56, -1.0
	s_cbranch_scc1 .LBB26_3
; %bb.2:
	v_lshl_add_u32 v56, v0, 2, v69
	buffer_load_dword v57, v56, s[0:3], 0 offen
	s_waitcnt vmcnt(0)
	v_div_scale_f32 v58, s[4:5], v57, v57, 1.0
	v_rcp_f32_e32 v59, v58
	v_div_scale_f32 v60, vcc, 1.0, v57, 1.0
	v_fma_f32 v61, -v58, v59, 1.0
	v_fmac_f32_e32 v59, v61, v59
	v_mul_f32_e32 v61, v60, v59
	v_fma_f32 v62, -v58, v61, v60
	v_fmac_f32_e32 v61, v62, v59
	v_fma_f32 v58, -v58, v61, v60
	v_div_fmas_f32 v58, v58, v59, v61
	v_div_fixup_f32 v57, v58, v57, 1.0
	buffer_store_dword v57, v56, s[0:3], 0 offen
	v_xor_b32_e32 v56, 0x80000000, v57
.LBB26_3:
	ds_write_b32 v1, v56
	s_cmpk_eq_i32 s12, 0x79
	v_add_u32_e32 v56, 0x70, v1
	v_add_u32_e32 v57, 0, v1
	s_mov_b64 s[4:5], -1
	s_cbranch_scc1 .LBB26_257
; %bb.4:
	buffer_load_dword v58, off, s[0:3], 0 offset:100
	v_cmp_eq_u32_e64 s[4:5], 26, v0
	s_waitcnt vmcnt(0)
	ds_write_b32 v56, v58
	s_waitcnt lgkmcnt(0)
	; wave barrier
	s_waitcnt lgkmcnt(0)
	s_and_saveexec_b64 s[6:7], s[4:5]
	s_cbranch_execz .LBB26_10
; %bb.5:
	s_and_b64 vcc, exec, s[10:11]
	s_cbranch_vccz .LBB26_7
; %bb.6:
	buffer_load_dword v58, v57, s[0:3], 0 offen
	ds_read_b32 v59, v56
	s_waitcnt vmcnt(0) lgkmcnt(0)
	v_mul_f32_e32 v58, v58, v59
	s_cbranch_execz .LBB26_8
	s_branch .LBB26_9
.LBB26_7:
                                        ; implicit-def: $vgpr58
.LBB26_8:
	ds_read_b32 v58, v56
.LBB26_9:
	v_mov_b32_e32 v59, 0
	ds_read_b32 v59, v59 offset:100
	s_waitcnt lgkmcnt(0)
	v_mul_f32_e32 v58, v58, v59
	buffer_store_dword v58, off, s[0:3], 0 offset:100
.LBB26_10:
	s_or_b64 exec, exec, s[6:7]
	buffer_load_dword v70, off, s[0:3], 0 offset:96
	v_or_b32_e32 v58, 8, v69
	v_add_u32_e32 v59, 16, v69
	v_add_u32_e32 v60, 24, v69
	;; [unrolled: 1-line block ×11, first 2 shown]
	v_cmp_lt_u32_e64 s[8:9], 24, v0
	s_waitcnt vmcnt(0)
	ds_write_b32 v56, v70
	s_waitcnt lgkmcnt(0)
	; wave barrier
	s_waitcnt lgkmcnt(0)
	s_and_saveexec_b64 s[6:7], s[8:9]
	s_cbranch_execz .LBB26_16
; %bb.11:
	s_andn2_b64 vcc, exec, s[10:11]
	s_cbranch_vccnz .LBB26_13
; %bb.12:
	buffer_load_dword v70, v57, s[0:3], 0 offen
	ds_read_b32 v71, v56
	s_waitcnt vmcnt(0) lgkmcnt(0)
	v_mul_f32_e32 v70, v70, v71
	s_cbranch_execz .LBB26_14
	s_branch .LBB26_15
.LBB26_13:
                                        ; implicit-def: $vgpr70
.LBB26_14:
	ds_read_b32 v70, v56
.LBB26_15:
	buffer_load_dword v71, off, s[0:3], 0 offset:100
	v_mov_b32_e32 v72, 0
	ds_read2_b32 v[72:73], v72 offset0:24 offset1:53
	s_waitcnt vmcnt(0) lgkmcnt(0)
	v_fma_f32 v71, v71, v73, v70
	v_cndmask_b32_e64 v70, v70, v71, s[4:5]
	v_mul_f32_e32 v70, v70, v72
	buffer_store_dword v70, off, s[0:3], 0 offset:96
.LBB26_16:
	s_or_b64 exec, exec, s[6:7]
	buffer_load_dword v70, off, s[0:3], 0 offset:92
	v_cmp_lt_u32_e64 s[6:7], 23, v0
	s_waitcnt vmcnt(0)
	ds_write_b32 v56, v70
	s_waitcnt lgkmcnt(0)
	; wave barrier
	s_waitcnt lgkmcnt(0)
	s_and_saveexec_b64 s[4:5], s[6:7]
	s_cbranch_execz .LBB26_26
; %bb.17:
	s_andn2_b64 vcc, exec, s[10:11]
	s_cbranch_vccnz .LBB26_19
; %bb.18:
	buffer_load_dword v70, v57, s[0:3], 0 offen
	ds_read_b32 v71, v56
	s_waitcnt vmcnt(0) lgkmcnt(0)
	v_mul_f32_e32 v70, v70, v71
	s_cbranch_execz .LBB26_20
	s_branch .LBB26_21
.LBB26_19:
                                        ; implicit-def: $vgpr70
.LBB26_20:
	ds_read_b32 v70, v56
.LBB26_21:
	s_and_saveexec_b64 s[12:13], s[8:9]
	s_cbranch_execz .LBB26_25
; %bb.22:
	v_subrev_u32_e32 v71, 24, v0
	s_movk_i32 s14, 0xd0
	s_mov_b64 s[8:9], 0
.LBB26_23:                              ; =>This Inner Loop Header: Depth=1
	buffer_load_dword v72, v69, s[0:3], 0 offen
	v_mov_b32_e32 v73, s14
	ds_read_b32 v73, v73
	v_add_u32_e32 v71, -1, v71
	s_add_i32 s14, s14, 4
	v_cmp_eq_u32_e32 vcc, 0, v71
	v_add_u32_e32 v69, 4, v69
	s_or_b64 s[8:9], vcc, s[8:9]
	s_waitcnt vmcnt(0) lgkmcnt(0)
	v_fmac_f32_e32 v70, v72, v73
	s_andn2_b64 exec, exec, s[8:9]
	s_cbranch_execnz .LBB26_23
; %bb.24:
	s_or_b64 exec, exec, s[8:9]
.LBB26_25:
	s_or_b64 exec, exec, s[12:13]
	v_mov_b32_e32 v69, 0
	ds_read_b32 v69, v69 offset:92
	s_waitcnt lgkmcnt(0)
	v_mul_f32_e32 v69, v70, v69
	buffer_store_dword v69, off, s[0:3], 0 offset:92
.LBB26_26:
	s_or_b64 exec, exec, s[4:5]
	buffer_load_dword v69, off, s[0:3], 0 offset:88
	v_cmp_lt_u32_e64 s[4:5], 22, v0
	s_waitcnt vmcnt(0)
	ds_write_b32 v56, v69
	s_waitcnt lgkmcnt(0)
	; wave barrier
	s_waitcnt lgkmcnt(0)
	s_and_saveexec_b64 s[8:9], s[4:5]
	s_cbranch_execz .LBB26_36
; %bb.27:
	s_andn2_b64 vcc, exec, s[10:11]
	s_cbranch_vccnz .LBB26_29
; %bb.28:
	buffer_load_dword v69, v57, s[0:3], 0 offen
	ds_read_b32 v70, v56
	s_waitcnt vmcnt(0) lgkmcnt(0)
	v_mul_f32_e32 v69, v69, v70
	s_cbranch_execz .LBB26_30
	s_branch .LBB26_31
.LBB26_29:
                                        ; implicit-def: $vgpr69
.LBB26_30:
	ds_read_b32 v69, v56
.LBB26_31:
	s_and_saveexec_b64 s[12:13], s[6:7]
	s_cbranch_execz .LBB26_35
; %bb.32:
	v_mov_b32_e32 v70, 0
	v_add_u32_e32 v70, 0x5c, v70
	v_subrev_u32_e32 v71, 23, v0
	s_movk_i32 s14, 0xcc
	s_mov_b64 s[6:7], 0
.LBB26_33:                              ; =>This Inner Loop Header: Depth=1
	buffer_load_dword v72, v70, s[0:3], 0 offen
	v_mov_b32_e32 v73, s14
	ds_read_b32 v73, v73
	v_add_u32_e32 v71, -1, v71
	s_add_i32 s14, s14, 4
	v_cmp_eq_u32_e32 vcc, 0, v71
	v_add_u32_e32 v70, 4, v70
	s_or_b64 s[6:7], vcc, s[6:7]
	s_waitcnt vmcnt(0) lgkmcnt(0)
	v_fmac_f32_e32 v69, v72, v73
	s_andn2_b64 exec, exec, s[6:7]
	s_cbranch_execnz .LBB26_33
; %bb.34:
	s_or_b64 exec, exec, s[6:7]
.LBB26_35:
	s_or_b64 exec, exec, s[12:13]
	v_mov_b32_e32 v70, 0
	ds_read_b32 v70, v70 offset:88
	s_waitcnt lgkmcnt(0)
	v_mul_f32_e32 v69, v69, v70
	buffer_store_dword v69, off, s[0:3], 0 offset:88
.LBB26_36:
	s_or_b64 exec, exec, s[8:9]
	buffer_load_dword v69, off, s[0:3], 0 offset:84
	v_cmp_lt_u32_e64 s[6:7], 21, v0
	s_waitcnt vmcnt(0)
	ds_write_b32 v56, v69
	s_waitcnt lgkmcnt(0)
	; wave barrier
	s_waitcnt lgkmcnt(0)
	s_and_saveexec_b64 s[8:9], s[6:7]
	s_cbranch_execz .LBB26_46
; %bb.37:
	s_andn2_b64 vcc, exec, s[10:11]
	s_cbranch_vccnz .LBB26_39
; %bb.38:
	buffer_load_dword v69, v57, s[0:3], 0 offen
	ds_read_b32 v70, v56
	s_waitcnt vmcnt(0) lgkmcnt(0)
	v_mul_f32_e32 v69, v69, v70
	s_cbranch_execz .LBB26_40
	s_branch .LBB26_41
.LBB26_39:
                                        ; implicit-def: $vgpr69
.LBB26_40:
	ds_read_b32 v69, v56
.LBB26_41:
	s_and_saveexec_b64 s[12:13], s[4:5]
	s_cbranch_execz .LBB26_45
; %bb.42:
	v_subrev_u32_e32 v70, 22, v0
	s_movk_i32 s14, 0xc8
	s_mov_b64 s[4:5], 0
.LBB26_43:                              ; =>This Inner Loop Header: Depth=1
	buffer_load_dword v71, v68, s[0:3], 0 offen
	v_mov_b32_e32 v72, s14
	ds_read_b32 v72, v72
	v_add_u32_e32 v70, -1, v70
	s_add_i32 s14, s14, 4
	v_cmp_eq_u32_e32 vcc, 0, v70
	v_add_u32_e32 v68, 4, v68
	s_or_b64 s[4:5], vcc, s[4:5]
	s_waitcnt vmcnt(0) lgkmcnt(0)
	v_fmac_f32_e32 v69, v71, v72
	s_andn2_b64 exec, exec, s[4:5]
	s_cbranch_execnz .LBB26_43
; %bb.44:
	s_or_b64 exec, exec, s[4:5]
.LBB26_45:
	s_or_b64 exec, exec, s[12:13]
	v_mov_b32_e32 v68, 0
	ds_read_b32 v68, v68 offset:84
	s_waitcnt lgkmcnt(0)
	v_mul_f32_e32 v68, v69, v68
	buffer_store_dword v68, off, s[0:3], 0 offset:84
.LBB26_46:
	s_or_b64 exec, exec, s[8:9]
	buffer_load_dword v68, off, s[0:3], 0 offset:80
	v_cmp_lt_u32_e64 s[4:5], 20, v0
	s_waitcnt vmcnt(0)
	ds_write_b32 v56, v68
	s_waitcnt lgkmcnt(0)
	; wave barrier
	s_waitcnt lgkmcnt(0)
	s_and_saveexec_b64 s[8:9], s[4:5]
	s_cbranch_execz .LBB26_56
; %bb.47:
	s_andn2_b64 vcc, exec, s[10:11]
	s_cbranch_vccnz .LBB26_49
; %bb.48:
	buffer_load_dword v68, v57, s[0:3], 0 offen
	ds_read_b32 v69, v56
	s_waitcnt vmcnt(0) lgkmcnt(0)
	v_mul_f32_e32 v68, v68, v69
	s_cbranch_execz .LBB26_50
	s_branch .LBB26_51
.LBB26_49:
                                        ; implicit-def: $vgpr68
.LBB26_50:
	ds_read_b32 v68, v56
.LBB26_51:
	s_and_saveexec_b64 s[12:13], s[6:7]
	s_cbranch_execz .LBB26_55
; %bb.52:
	v_mov_b32_e32 v69, 0
	v_add_u32_e32 v69, 0x54, v69
	v_subrev_u32_e32 v70, 21, v0
	s_movk_i32 s14, 0xc4
	s_mov_b64 s[6:7], 0
.LBB26_53:                              ; =>This Inner Loop Header: Depth=1
	buffer_load_dword v71, v69, s[0:3], 0 offen
	v_mov_b32_e32 v72, s14
	ds_read_b32 v72, v72
	v_add_u32_e32 v70, -1, v70
	s_add_i32 s14, s14, 4
	v_cmp_eq_u32_e32 vcc, 0, v70
	v_add_u32_e32 v69, 4, v69
	s_or_b64 s[6:7], vcc, s[6:7]
	s_waitcnt vmcnt(0) lgkmcnt(0)
	v_fmac_f32_e32 v68, v71, v72
	s_andn2_b64 exec, exec, s[6:7]
	s_cbranch_execnz .LBB26_53
; %bb.54:
	s_or_b64 exec, exec, s[6:7]
.LBB26_55:
	s_or_b64 exec, exec, s[12:13]
	v_mov_b32_e32 v69, 0
	ds_read_b32 v69, v69 offset:80
	s_waitcnt lgkmcnt(0)
	v_mul_f32_e32 v68, v68, v69
	buffer_store_dword v68, off, s[0:3], 0 offset:80
.LBB26_56:
	s_or_b64 exec, exec, s[8:9]
	buffer_load_dword v68, off, s[0:3], 0 offset:76
	v_cmp_lt_u32_e64 s[6:7], 19, v0
	s_waitcnt vmcnt(0)
	ds_write_b32 v56, v68
	s_waitcnt lgkmcnt(0)
	; wave barrier
	s_waitcnt lgkmcnt(0)
	s_and_saveexec_b64 s[8:9], s[6:7]
	s_cbranch_execz .LBB26_66
; %bb.57:
	s_andn2_b64 vcc, exec, s[10:11]
	s_cbranch_vccnz .LBB26_59
; %bb.58:
	buffer_load_dword v68, v57, s[0:3], 0 offen
	ds_read_b32 v69, v56
	s_waitcnt vmcnt(0) lgkmcnt(0)
	v_mul_f32_e32 v68, v68, v69
	s_cbranch_execz .LBB26_60
	s_branch .LBB26_61
.LBB26_59:
                                        ; implicit-def: $vgpr68
.LBB26_60:
	ds_read_b32 v68, v56
.LBB26_61:
	s_and_saveexec_b64 s[12:13], s[4:5]
	s_cbranch_execz .LBB26_65
; %bb.62:
	v_subrev_u32_e32 v69, 20, v0
	s_movk_i32 s14, 0xc0
	s_mov_b64 s[4:5], 0
.LBB26_63:                              ; =>This Inner Loop Header: Depth=1
	buffer_load_dword v70, v67, s[0:3], 0 offen
	v_mov_b32_e32 v71, s14
	ds_read_b32 v71, v71
	v_add_u32_e32 v69, -1, v69
	s_add_i32 s14, s14, 4
	v_cmp_eq_u32_e32 vcc, 0, v69
	v_add_u32_e32 v67, 4, v67
	s_or_b64 s[4:5], vcc, s[4:5]
	s_waitcnt vmcnt(0) lgkmcnt(0)
	v_fmac_f32_e32 v68, v70, v71
	s_andn2_b64 exec, exec, s[4:5]
	s_cbranch_execnz .LBB26_63
; %bb.64:
	s_or_b64 exec, exec, s[4:5]
.LBB26_65:
	s_or_b64 exec, exec, s[12:13]
	v_mov_b32_e32 v67, 0
	ds_read_b32 v67, v67 offset:76
	s_waitcnt lgkmcnt(0)
	v_mul_f32_e32 v67, v68, v67
	buffer_store_dword v67, off, s[0:3], 0 offset:76
.LBB26_66:
	s_or_b64 exec, exec, s[8:9]
	buffer_load_dword v67, off, s[0:3], 0 offset:72
	v_cmp_lt_u32_e64 s[4:5], 18, v0
	s_waitcnt vmcnt(0)
	ds_write_b32 v56, v67
	s_waitcnt lgkmcnt(0)
	; wave barrier
	s_waitcnt lgkmcnt(0)
	s_and_saveexec_b64 s[8:9], s[4:5]
	s_cbranch_execz .LBB26_76
; %bb.67:
	s_andn2_b64 vcc, exec, s[10:11]
	s_cbranch_vccnz .LBB26_69
; %bb.68:
	buffer_load_dword v67, v57, s[0:3], 0 offen
	ds_read_b32 v68, v56
	s_waitcnt vmcnt(0) lgkmcnt(0)
	v_mul_f32_e32 v67, v67, v68
	s_cbranch_execz .LBB26_70
	s_branch .LBB26_71
.LBB26_69:
                                        ; implicit-def: $vgpr67
.LBB26_70:
	ds_read_b32 v67, v56
.LBB26_71:
	s_and_saveexec_b64 s[12:13], s[6:7]
	s_cbranch_execz .LBB26_75
; %bb.72:
	v_mov_b32_e32 v68, 0
	v_add_u32_e32 v68, 0x4c, v68
	v_subrev_u32_e32 v69, 19, v0
	s_movk_i32 s14, 0xbc
	s_mov_b64 s[6:7], 0
.LBB26_73:                              ; =>This Inner Loop Header: Depth=1
	buffer_load_dword v70, v68, s[0:3], 0 offen
	v_mov_b32_e32 v71, s14
	ds_read_b32 v71, v71
	v_add_u32_e32 v69, -1, v69
	s_add_i32 s14, s14, 4
	v_cmp_eq_u32_e32 vcc, 0, v69
	v_add_u32_e32 v68, 4, v68
	s_or_b64 s[6:7], vcc, s[6:7]
	s_waitcnt vmcnt(0) lgkmcnt(0)
	v_fmac_f32_e32 v67, v70, v71
	s_andn2_b64 exec, exec, s[6:7]
	s_cbranch_execnz .LBB26_73
; %bb.74:
	s_or_b64 exec, exec, s[6:7]
.LBB26_75:
	s_or_b64 exec, exec, s[12:13]
	v_mov_b32_e32 v68, 0
	ds_read_b32 v68, v68 offset:72
	s_waitcnt lgkmcnt(0)
	v_mul_f32_e32 v67, v67, v68
	buffer_store_dword v67, off, s[0:3], 0 offset:72
.LBB26_76:
	s_or_b64 exec, exec, s[8:9]
	buffer_load_dword v67, off, s[0:3], 0 offset:68
	v_cmp_lt_u32_e64 s[6:7], 17, v0
	s_waitcnt vmcnt(0)
	ds_write_b32 v56, v67
	s_waitcnt lgkmcnt(0)
	; wave barrier
	s_waitcnt lgkmcnt(0)
	s_and_saveexec_b64 s[8:9], s[6:7]
	s_cbranch_execz .LBB26_86
; %bb.77:
	s_andn2_b64 vcc, exec, s[10:11]
	s_cbranch_vccnz .LBB26_79
; %bb.78:
	buffer_load_dword v67, v57, s[0:3], 0 offen
	ds_read_b32 v68, v56
	s_waitcnt vmcnt(0) lgkmcnt(0)
	v_mul_f32_e32 v67, v67, v68
	s_cbranch_execz .LBB26_80
	s_branch .LBB26_81
.LBB26_79:
                                        ; implicit-def: $vgpr67
.LBB26_80:
	ds_read_b32 v67, v56
.LBB26_81:
	s_and_saveexec_b64 s[12:13], s[4:5]
	s_cbranch_execz .LBB26_85
; %bb.82:
	v_subrev_u32_e32 v68, 18, v0
	s_movk_i32 s14, 0xb8
	s_mov_b64 s[4:5], 0
.LBB26_83:                              ; =>This Inner Loop Header: Depth=1
	buffer_load_dword v69, v66, s[0:3], 0 offen
	v_mov_b32_e32 v70, s14
	ds_read_b32 v70, v70
	v_add_u32_e32 v68, -1, v68
	s_add_i32 s14, s14, 4
	v_cmp_eq_u32_e32 vcc, 0, v68
	v_add_u32_e32 v66, 4, v66
	s_or_b64 s[4:5], vcc, s[4:5]
	s_waitcnt vmcnt(0) lgkmcnt(0)
	v_fmac_f32_e32 v67, v69, v70
	s_andn2_b64 exec, exec, s[4:5]
	s_cbranch_execnz .LBB26_83
; %bb.84:
	s_or_b64 exec, exec, s[4:5]
.LBB26_85:
	s_or_b64 exec, exec, s[12:13]
	v_mov_b32_e32 v66, 0
	ds_read_b32 v66, v66 offset:68
	s_waitcnt lgkmcnt(0)
	v_mul_f32_e32 v66, v67, v66
	buffer_store_dword v66, off, s[0:3], 0 offset:68
.LBB26_86:
	s_or_b64 exec, exec, s[8:9]
	buffer_load_dword v66, off, s[0:3], 0 offset:64
	v_cmp_lt_u32_e64 s[4:5], 16, v0
	s_waitcnt vmcnt(0)
	ds_write_b32 v56, v66
	s_waitcnt lgkmcnt(0)
	; wave barrier
	s_waitcnt lgkmcnt(0)
	s_and_saveexec_b64 s[8:9], s[4:5]
	s_cbranch_execz .LBB26_96
; %bb.87:
	s_andn2_b64 vcc, exec, s[10:11]
	s_cbranch_vccnz .LBB26_89
; %bb.88:
	buffer_load_dword v66, v57, s[0:3], 0 offen
	ds_read_b32 v67, v56
	s_waitcnt vmcnt(0) lgkmcnt(0)
	v_mul_f32_e32 v66, v66, v67
	s_cbranch_execz .LBB26_90
	s_branch .LBB26_91
.LBB26_89:
                                        ; implicit-def: $vgpr66
.LBB26_90:
	ds_read_b32 v66, v56
.LBB26_91:
	s_and_saveexec_b64 s[12:13], s[6:7]
	s_cbranch_execz .LBB26_95
; %bb.92:
	v_mov_b32_e32 v67, 0
	v_add_u32_e32 v67, 0x44, v67
	v_subrev_u32_e32 v68, 17, v0
	s_movk_i32 s14, 0xb4
	s_mov_b64 s[6:7], 0
.LBB26_93:                              ; =>This Inner Loop Header: Depth=1
	buffer_load_dword v69, v67, s[0:3], 0 offen
	v_mov_b32_e32 v70, s14
	ds_read_b32 v70, v70
	v_add_u32_e32 v68, -1, v68
	s_add_i32 s14, s14, 4
	v_cmp_eq_u32_e32 vcc, 0, v68
	v_add_u32_e32 v67, 4, v67
	s_or_b64 s[6:7], vcc, s[6:7]
	s_waitcnt vmcnt(0) lgkmcnt(0)
	v_fmac_f32_e32 v66, v69, v70
	s_andn2_b64 exec, exec, s[6:7]
	s_cbranch_execnz .LBB26_93
; %bb.94:
	s_or_b64 exec, exec, s[6:7]
.LBB26_95:
	s_or_b64 exec, exec, s[12:13]
	v_mov_b32_e32 v67, 0
	ds_read_b32 v67, v67 offset:64
	s_waitcnt lgkmcnt(0)
	v_mul_f32_e32 v66, v66, v67
	buffer_store_dword v66, off, s[0:3], 0 offset:64
.LBB26_96:
	s_or_b64 exec, exec, s[8:9]
	buffer_load_dword v66, off, s[0:3], 0 offset:60
	v_cmp_lt_u32_e64 s[6:7], 15, v0
	s_waitcnt vmcnt(0)
	ds_write_b32 v56, v66
	s_waitcnt lgkmcnt(0)
	; wave barrier
	s_waitcnt lgkmcnt(0)
	s_and_saveexec_b64 s[8:9], s[6:7]
	s_cbranch_execz .LBB26_106
; %bb.97:
	s_andn2_b64 vcc, exec, s[10:11]
	s_cbranch_vccnz .LBB26_99
; %bb.98:
	buffer_load_dword v66, v57, s[0:3], 0 offen
	ds_read_b32 v67, v56
	s_waitcnt vmcnt(0) lgkmcnt(0)
	v_mul_f32_e32 v66, v66, v67
	s_cbranch_execz .LBB26_100
	s_branch .LBB26_101
.LBB26_99:
                                        ; implicit-def: $vgpr66
.LBB26_100:
	ds_read_b32 v66, v56
.LBB26_101:
	s_and_saveexec_b64 s[12:13], s[4:5]
	s_cbranch_execz .LBB26_105
; %bb.102:
	v_add_u32_e32 v67, -16, v0
	s_movk_i32 s14, 0xb0
	s_mov_b64 s[4:5], 0
.LBB26_103:                             ; =>This Inner Loop Header: Depth=1
	buffer_load_dword v68, v65, s[0:3], 0 offen
	v_mov_b32_e32 v69, s14
	ds_read_b32 v69, v69
	v_add_u32_e32 v67, -1, v67
	s_add_i32 s14, s14, 4
	v_cmp_eq_u32_e32 vcc, 0, v67
	v_add_u32_e32 v65, 4, v65
	s_or_b64 s[4:5], vcc, s[4:5]
	s_waitcnt vmcnt(0) lgkmcnt(0)
	v_fmac_f32_e32 v66, v68, v69
	s_andn2_b64 exec, exec, s[4:5]
	s_cbranch_execnz .LBB26_103
; %bb.104:
	s_or_b64 exec, exec, s[4:5]
.LBB26_105:
	s_or_b64 exec, exec, s[12:13]
	v_mov_b32_e32 v65, 0
	ds_read_b32 v65, v65 offset:60
	s_waitcnt lgkmcnt(0)
	v_mul_f32_e32 v65, v66, v65
	buffer_store_dword v65, off, s[0:3], 0 offset:60
.LBB26_106:
	s_or_b64 exec, exec, s[8:9]
	buffer_load_dword v65, off, s[0:3], 0 offset:56
	v_cmp_lt_u32_e64 s[4:5], 14, v0
	s_waitcnt vmcnt(0)
	ds_write_b32 v56, v65
	s_waitcnt lgkmcnt(0)
	; wave barrier
	s_waitcnt lgkmcnt(0)
	s_and_saveexec_b64 s[8:9], s[4:5]
	s_cbranch_execz .LBB26_116
; %bb.107:
	s_andn2_b64 vcc, exec, s[10:11]
	s_cbranch_vccnz .LBB26_109
; %bb.108:
	buffer_load_dword v65, v57, s[0:3], 0 offen
	ds_read_b32 v66, v56
	s_waitcnt vmcnt(0) lgkmcnt(0)
	v_mul_f32_e32 v65, v65, v66
	s_cbranch_execz .LBB26_110
	s_branch .LBB26_111
.LBB26_109:
                                        ; implicit-def: $vgpr65
.LBB26_110:
	ds_read_b32 v65, v56
.LBB26_111:
	s_and_saveexec_b64 s[12:13], s[6:7]
	s_cbranch_execz .LBB26_115
; %bb.112:
	v_mov_b32_e32 v66, 0
	v_add_u32_e32 v66, 60, v66
	v_add_u32_e32 v67, -15, v0
	s_movk_i32 s14, 0xac
	s_mov_b64 s[6:7], 0
.LBB26_113:                             ; =>This Inner Loop Header: Depth=1
	buffer_load_dword v68, v66, s[0:3], 0 offen
	v_mov_b32_e32 v69, s14
	ds_read_b32 v69, v69
	v_add_u32_e32 v67, -1, v67
	s_add_i32 s14, s14, 4
	v_cmp_eq_u32_e32 vcc, 0, v67
	v_add_u32_e32 v66, 4, v66
	s_or_b64 s[6:7], vcc, s[6:7]
	s_waitcnt vmcnt(0) lgkmcnt(0)
	v_fmac_f32_e32 v65, v68, v69
	s_andn2_b64 exec, exec, s[6:7]
	s_cbranch_execnz .LBB26_113
; %bb.114:
	s_or_b64 exec, exec, s[6:7]
.LBB26_115:
	s_or_b64 exec, exec, s[12:13]
	v_mov_b32_e32 v66, 0
	ds_read_b32 v66, v66 offset:56
	s_waitcnt lgkmcnt(0)
	v_mul_f32_e32 v65, v65, v66
	buffer_store_dword v65, off, s[0:3], 0 offset:56
.LBB26_116:
	s_or_b64 exec, exec, s[8:9]
	buffer_load_dword v65, off, s[0:3], 0 offset:52
	v_cmp_lt_u32_e64 s[6:7], 13, v0
	s_waitcnt vmcnt(0)
	ds_write_b32 v56, v65
	s_waitcnt lgkmcnt(0)
	; wave barrier
	s_waitcnt lgkmcnt(0)
	s_and_saveexec_b64 s[8:9], s[6:7]
	s_cbranch_execz .LBB26_126
; %bb.117:
	s_andn2_b64 vcc, exec, s[10:11]
	s_cbranch_vccnz .LBB26_119
; %bb.118:
	buffer_load_dword v65, v57, s[0:3], 0 offen
	ds_read_b32 v66, v56
	s_waitcnt vmcnt(0) lgkmcnt(0)
	v_mul_f32_e32 v65, v65, v66
	s_cbranch_execz .LBB26_120
	s_branch .LBB26_121
.LBB26_119:
                                        ; implicit-def: $vgpr65
.LBB26_120:
	ds_read_b32 v65, v56
.LBB26_121:
	s_and_saveexec_b64 s[12:13], s[4:5]
	s_cbranch_execz .LBB26_125
; %bb.122:
	v_add_u32_e32 v66, -14, v0
	s_movk_i32 s14, 0xa8
	s_mov_b64 s[4:5], 0
.LBB26_123:                             ; =>This Inner Loop Header: Depth=1
	buffer_load_dword v67, v64, s[0:3], 0 offen
	v_mov_b32_e32 v68, s14
	ds_read_b32 v68, v68
	v_add_u32_e32 v66, -1, v66
	s_add_i32 s14, s14, 4
	v_cmp_eq_u32_e32 vcc, 0, v66
	v_add_u32_e32 v64, 4, v64
	s_or_b64 s[4:5], vcc, s[4:5]
	s_waitcnt vmcnt(0) lgkmcnt(0)
	v_fmac_f32_e32 v65, v67, v68
	s_andn2_b64 exec, exec, s[4:5]
	s_cbranch_execnz .LBB26_123
; %bb.124:
	s_or_b64 exec, exec, s[4:5]
.LBB26_125:
	s_or_b64 exec, exec, s[12:13]
	v_mov_b32_e32 v64, 0
	ds_read_b32 v64, v64 offset:52
	s_waitcnt lgkmcnt(0)
	v_mul_f32_e32 v64, v65, v64
	buffer_store_dword v64, off, s[0:3], 0 offset:52
.LBB26_126:
	s_or_b64 exec, exec, s[8:9]
	buffer_load_dword v64, off, s[0:3], 0 offset:48
	v_cmp_lt_u32_e64 s[4:5], 12, v0
	s_waitcnt vmcnt(0)
	ds_write_b32 v56, v64
	s_waitcnt lgkmcnt(0)
	; wave barrier
	s_waitcnt lgkmcnt(0)
	s_and_saveexec_b64 s[8:9], s[4:5]
	s_cbranch_execz .LBB26_136
; %bb.127:
	s_andn2_b64 vcc, exec, s[10:11]
	s_cbranch_vccnz .LBB26_129
; %bb.128:
	buffer_load_dword v64, v57, s[0:3], 0 offen
	ds_read_b32 v65, v56
	s_waitcnt vmcnt(0) lgkmcnt(0)
	v_mul_f32_e32 v64, v64, v65
	s_cbranch_execz .LBB26_130
	s_branch .LBB26_131
.LBB26_129:
                                        ; implicit-def: $vgpr64
.LBB26_130:
	ds_read_b32 v64, v56
.LBB26_131:
	s_and_saveexec_b64 s[12:13], s[6:7]
	s_cbranch_execz .LBB26_135
; %bb.132:
	v_mov_b32_e32 v65, 0
	v_add_u32_e32 v65, 52, v65
	v_add_u32_e32 v66, -13, v0
	s_movk_i32 s14, 0xa4
	s_mov_b64 s[6:7], 0
.LBB26_133:                             ; =>This Inner Loop Header: Depth=1
	buffer_load_dword v67, v65, s[0:3], 0 offen
	v_mov_b32_e32 v68, s14
	ds_read_b32 v68, v68
	v_add_u32_e32 v66, -1, v66
	s_add_i32 s14, s14, 4
	v_cmp_eq_u32_e32 vcc, 0, v66
	v_add_u32_e32 v65, 4, v65
	s_or_b64 s[6:7], vcc, s[6:7]
	s_waitcnt vmcnt(0) lgkmcnt(0)
	v_fmac_f32_e32 v64, v67, v68
	s_andn2_b64 exec, exec, s[6:7]
	s_cbranch_execnz .LBB26_133
; %bb.134:
	s_or_b64 exec, exec, s[6:7]
.LBB26_135:
	s_or_b64 exec, exec, s[12:13]
	v_mov_b32_e32 v65, 0
	ds_read_b32 v65, v65 offset:48
	s_waitcnt lgkmcnt(0)
	v_mul_f32_e32 v64, v64, v65
	buffer_store_dword v64, off, s[0:3], 0 offset:48
.LBB26_136:
	s_or_b64 exec, exec, s[8:9]
	buffer_load_dword v64, off, s[0:3], 0 offset:44
	v_cmp_lt_u32_e64 s[6:7], 11, v0
	s_waitcnt vmcnt(0)
	ds_write_b32 v56, v64
	s_waitcnt lgkmcnt(0)
	; wave barrier
	s_waitcnt lgkmcnt(0)
	s_and_saveexec_b64 s[8:9], s[6:7]
	s_cbranch_execz .LBB26_146
; %bb.137:
	s_andn2_b64 vcc, exec, s[10:11]
	s_cbranch_vccnz .LBB26_139
; %bb.138:
	buffer_load_dword v64, v57, s[0:3], 0 offen
	ds_read_b32 v65, v56
	s_waitcnt vmcnt(0) lgkmcnt(0)
	v_mul_f32_e32 v64, v64, v65
	s_cbranch_execz .LBB26_140
	s_branch .LBB26_141
.LBB26_139:
                                        ; implicit-def: $vgpr64
.LBB26_140:
	ds_read_b32 v64, v56
.LBB26_141:
	s_and_saveexec_b64 s[12:13], s[4:5]
	s_cbranch_execz .LBB26_145
; %bb.142:
	v_add_u32_e32 v65, -12, v0
	s_movk_i32 s14, 0xa0
	s_mov_b64 s[4:5], 0
.LBB26_143:                             ; =>This Inner Loop Header: Depth=1
	buffer_load_dword v66, v63, s[0:3], 0 offen
	v_mov_b32_e32 v67, s14
	ds_read_b32 v67, v67
	v_add_u32_e32 v65, -1, v65
	s_add_i32 s14, s14, 4
	v_cmp_eq_u32_e32 vcc, 0, v65
	v_add_u32_e32 v63, 4, v63
	s_or_b64 s[4:5], vcc, s[4:5]
	s_waitcnt vmcnt(0) lgkmcnt(0)
	v_fmac_f32_e32 v64, v66, v67
	s_andn2_b64 exec, exec, s[4:5]
	s_cbranch_execnz .LBB26_143
; %bb.144:
	s_or_b64 exec, exec, s[4:5]
.LBB26_145:
	s_or_b64 exec, exec, s[12:13]
	v_mov_b32_e32 v63, 0
	ds_read_b32 v63, v63 offset:44
	s_waitcnt lgkmcnt(0)
	v_mul_f32_e32 v63, v64, v63
	buffer_store_dword v63, off, s[0:3], 0 offset:44
.LBB26_146:
	s_or_b64 exec, exec, s[8:9]
	buffer_load_dword v63, off, s[0:3], 0 offset:40
	v_cmp_lt_u32_e64 s[4:5], 10, v0
	s_waitcnt vmcnt(0)
	ds_write_b32 v56, v63
	s_waitcnt lgkmcnt(0)
	; wave barrier
	s_waitcnt lgkmcnt(0)
	s_and_saveexec_b64 s[8:9], s[4:5]
	s_cbranch_execz .LBB26_156
; %bb.147:
	s_andn2_b64 vcc, exec, s[10:11]
	s_cbranch_vccnz .LBB26_149
; %bb.148:
	buffer_load_dword v63, v57, s[0:3], 0 offen
	ds_read_b32 v64, v56
	s_waitcnt vmcnt(0) lgkmcnt(0)
	v_mul_f32_e32 v63, v63, v64
	s_cbranch_execz .LBB26_150
	s_branch .LBB26_151
.LBB26_149:
                                        ; implicit-def: $vgpr63
.LBB26_150:
	ds_read_b32 v63, v56
.LBB26_151:
	s_and_saveexec_b64 s[12:13], s[6:7]
	s_cbranch_execz .LBB26_155
; %bb.152:
	v_mov_b32_e32 v64, 0
	v_add_u32_e32 v64, 44, v64
	v_add_u32_e32 v65, -11, v0
	s_movk_i32 s14, 0x9c
	s_mov_b64 s[6:7], 0
.LBB26_153:                             ; =>This Inner Loop Header: Depth=1
	buffer_load_dword v66, v64, s[0:3], 0 offen
	v_mov_b32_e32 v67, s14
	ds_read_b32 v67, v67
	v_add_u32_e32 v65, -1, v65
	s_add_i32 s14, s14, 4
	v_cmp_eq_u32_e32 vcc, 0, v65
	v_add_u32_e32 v64, 4, v64
	s_or_b64 s[6:7], vcc, s[6:7]
	s_waitcnt vmcnt(0) lgkmcnt(0)
	v_fmac_f32_e32 v63, v66, v67
	s_andn2_b64 exec, exec, s[6:7]
	s_cbranch_execnz .LBB26_153
; %bb.154:
	s_or_b64 exec, exec, s[6:7]
.LBB26_155:
	s_or_b64 exec, exec, s[12:13]
	v_mov_b32_e32 v64, 0
	ds_read_b32 v64, v64 offset:40
	s_waitcnt lgkmcnt(0)
	v_mul_f32_e32 v63, v63, v64
	buffer_store_dword v63, off, s[0:3], 0 offset:40
.LBB26_156:
	s_or_b64 exec, exec, s[8:9]
	buffer_load_dword v63, off, s[0:3], 0 offset:36
	v_cmp_lt_u32_e64 s[6:7], 9, v0
	s_waitcnt vmcnt(0)
	ds_write_b32 v56, v63
	s_waitcnt lgkmcnt(0)
	; wave barrier
	s_waitcnt lgkmcnt(0)
	s_and_saveexec_b64 s[8:9], s[6:7]
	s_cbranch_execz .LBB26_166
; %bb.157:
	s_andn2_b64 vcc, exec, s[10:11]
	s_cbranch_vccnz .LBB26_159
; %bb.158:
	buffer_load_dword v63, v57, s[0:3], 0 offen
	ds_read_b32 v64, v56
	s_waitcnt vmcnt(0) lgkmcnt(0)
	v_mul_f32_e32 v63, v63, v64
	s_cbranch_execz .LBB26_160
	s_branch .LBB26_161
.LBB26_159:
                                        ; implicit-def: $vgpr63
.LBB26_160:
	ds_read_b32 v63, v56
.LBB26_161:
	s_and_saveexec_b64 s[12:13], s[4:5]
	s_cbranch_execz .LBB26_165
; %bb.162:
	v_add_u32_e32 v64, -10, v0
	s_movk_i32 s14, 0x98
	s_mov_b64 s[4:5], 0
.LBB26_163:                             ; =>This Inner Loop Header: Depth=1
	buffer_load_dword v65, v62, s[0:3], 0 offen
	v_mov_b32_e32 v66, s14
	ds_read_b32 v66, v66
	v_add_u32_e32 v64, -1, v64
	s_add_i32 s14, s14, 4
	v_cmp_eq_u32_e32 vcc, 0, v64
	v_add_u32_e32 v62, 4, v62
	s_or_b64 s[4:5], vcc, s[4:5]
	s_waitcnt vmcnt(0) lgkmcnt(0)
	v_fmac_f32_e32 v63, v65, v66
	s_andn2_b64 exec, exec, s[4:5]
	s_cbranch_execnz .LBB26_163
; %bb.164:
	s_or_b64 exec, exec, s[4:5]
.LBB26_165:
	s_or_b64 exec, exec, s[12:13]
	v_mov_b32_e32 v62, 0
	ds_read_b32 v62, v62 offset:36
	s_waitcnt lgkmcnt(0)
	v_mul_f32_e32 v62, v63, v62
	buffer_store_dword v62, off, s[0:3], 0 offset:36
.LBB26_166:
	s_or_b64 exec, exec, s[8:9]
	buffer_load_dword v62, off, s[0:3], 0 offset:32
	v_cmp_lt_u32_e64 s[4:5], 8, v0
	s_waitcnt vmcnt(0)
	ds_write_b32 v56, v62
	s_waitcnt lgkmcnt(0)
	; wave barrier
	s_waitcnt lgkmcnt(0)
	s_and_saveexec_b64 s[8:9], s[4:5]
	s_cbranch_execz .LBB26_176
; %bb.167:
	s_andn2_b64 vcc, exec, s[10:11]
	s_cbranch_vccnz .LBB26_169
; %bb.168:
	buffer_load_dword v62, v57, s[0:3], 0 offen
	ds_read_b32 v63, v56
	s_waitcnt vmcnt(0) lgkmcnt(0)
	v_mul_f32_e32 v62, v62, v63
	s_cbranch_execz .LBB26_170
	s_branch .LBB26_171
.LBB26_169:
                                        ; implicit-def: $vgpr62
.LBB26_170:
	ds_read_b32 v62, v56
.LBB26_171:
	s_and_saveexec_b64 s[12:13], s[6:7]
	s_cbranch_execz .LBB26_175
; %bb.172:
	v_mov_b32_e32 v63, 0
	v_add_u32_e32 v63, 36, v63
	v_add_u32_e32 v64, -9, v0
	s_movk_i32 s14, 0x94
	s_mov_b64 s[6:7], 0
.LBB26_173:                             ; =>This Inner Loop Header: Depth=1
	buffer_load_dword v65, v63, s[0:3], 0 offen
	v_mov_b32_e32 v66, s14
	ds_read_b32 v66, v66
	v_add_u32_e32 v64, -1, v64
	s_add_i32 s14, s14, 4
	v_cmp_eq_u32_e32 vcc, 0, v64
	v_add_u32_e32 v63, 4, v63
	s_or_b64 s[6:7], vcc, s[6:7]
	s_waitcnt vmcnt(0) lgkmcnt(0)
	v_fmac_f32_e32 v62, v65, v66
	s_andn2_b64 exec, exec, s[6:7]
	s_cbranch_execnz .LBB26_173
; %bb.174:
	s_or_b64 exec, exec, s[6:7]
.LBB26_175:
	s_or_b64 exec, exec, s[12:13]
	v_mov_b32_e32 v63, 0
	ds_read_b32 v63, v63 offset:32
	s_waitcnt lgkmcnt(0)
	v_mul_f32_e32 v62, v62, v63
	buffer_store_dword v62, off, s[0:3], 0 offset:32
.LBB26_176:
	s_or_b64 exec, exec, s[8:9]
	buffer_load_dword v62, off, s[0:3], 0 offset:28
	v_cmp_lt_u32_e64 s[6:7], 7, v0
	s_waitcnt vmcnt(0)
	ds_write_b32 v56, v62
	s_waitcnt lgkmcnt(0)
	; wave barrier
	s_waitcnt lgkmcnt(0)
	s_and_saveexec_b64 s[8:9], s[6:7]
	s_cbranch_execz .LBB26_186
; %bb.177:
	s_andn2_b64 vcc, exec, s[10:11]
	s_cbranch_vccnz .LBB26_179
; %bb.178:
	buffer_load_dword v62, v57, s[0:3], 0 offen
	ds_read_b32 v63, v56
	s_waitcnt vmcnt(0) lgkmcnt(0)
	v_mul_f32_e32 v62, v62, v63
	s_cbranch_execz .LBB26_180
	s_branch .LBB26_181
.LBB26_179:
                                        ; implicit-def: $vgpr62
.LBB26_180:
	ds_read_b32 v62, v56
.LBB26_181:
	s_and_saveexec_b64 s[12:13], s[4:5]
	s_cbranch_execz .LBB26_185
; %bb.182:
	v_add_u32_e32 v63, -8, v0
	s_movk_i32 s14, 0x90
	s_mov_b64 s[4:5], 0
.LBB26_183:                             ; =>This Inner Loop Header: Depth=1
	buffer_load_dword v64, v61, s[0:3], 0 offen
	v_mov_b32_e32 v65, s14
	ds_read_b32 v65, v65
	v_add_u32_e32 v63, -1, v63
	s_add_i32 s14, s14, 4
	v_cmp_eq_u32_e32 vcc, 0, v63
	v_add_u32_e32 v61, 4, v61
	s_or_b64 s[4:5], vcc, s[4:5]
	s_waitcnt vmcnt(0) lgkmcnt(0)
	v_fmac_f32_e32 v62, v64, v65
	s_andn2_b64 exec, exec, s[4:5]
	s_cbranch_execnz .LBB26_183
; %bb.184:
	s_or_b64 exec, exec, s[4:5]
.LBB26_185:
	s_or_b64 exec, exec, s[12:13]
	v_mov_b32_e32 v61, 0
	ds_read_b32 v61, v61 offset:28
	s_waitcnt lgkmcnt(0)
	v_mul_f32_e32 v61, v62, v61
	buffer_store_dword v61, off, s[0:3], 0 offset:28
.LBB26_186:
	s_or_b64 exec, exec, s[8:9]
	buffer_load_dword v61, off, s[0:3], 0 offset:24
	v_cmp_lt_u32_e64 s[4:5], 6, v0
	s_waitcnt vmcnt(0)
	ds_write_b32 v56, v61
	s_waitcnt lgkmcnt(0)
	; wave barrier
	s_waitcnt lgkmcnt(0)
	s_and_saveexec_b64 s[8:9], s[4:5]
	s_cbranch_execz .LBB26_196
; %bb.187:
	s_andn2_b64 vcc, exec, s[10:11]
	s_cbranch_vccnz .LBB26_189
; %bb.188:
	buffer_load_dword v61, v57, s[0:3], 0 offen
	ds_read_b32 v62, v56
	s_waitcnt vmcnt(0) lgkmcnt(0)
	v_mul_f32_e32 v61, v61, v62
	s_cbranch_execz .LBB26_190
	s_branch .LBB26_191
.LBB26_189:
                                        ; implicit-def: $vgpr61
.LBB26_190:
	ds_read_b32 v61, v56
.LBB26_191:
	s_and_saveexec_b64 s[12:13], s[6:7]
	s_cbranch_execz .LBB26_195
; %bb.192:
	v_mov_b32_e32 v62, 0
	v_add_u32_e32 v62, 28, v62
	v_add_u32_e32 v63, -7, v0
	s_movk_i32 s14, 0x8c
	s_mov_b64 s[6:7], 0
.LBB26_193:                             ; =>This Inner Loop Header: Depth=1
	buffer_load_dword v64, v62, s[0:3], 0 offen
	v_mov_b32_e32 v65, s14
	ds_read_b32 v65, v65
	v_add_u32_e32 v63, -1, v63
	s_add_i32 s14, s14, 4
	v_cmp_eq_u32_e32 vcc, 0, v63
	v_add_u32_e32 v62, 4, v62
	s_or_b64 s[6:7], vcc, s[6:7]
	s_waitcnt vmcnt(0) lgkmcnt(0)
	v_fmac_f32_e32 v61, v64, v65
	s_andn2_b64 exec, exec, s[6:7]
	s_cbranch_execnz .LBB26_193
; %bb.194:
	s_or_b64 exec, exec, s[6:7]
.LBB26_195:
	s_or_b64 exec, exec, s[12:13]
	v_mov_b32_e32 v62, 0
	ds_read_b32 v62, v62 offset:24
	s_waitcnt lgkmcnt(0)
	v_mul_f32_e32 v61, v61, v62
	buffer_store_dword v61, off, s[0:3], 0 offset:24
.LBB26_196:
	s_or_b64 exec, exec, s[8:9]
	buffer_load_dword v61, off, s[0:3], 0 offset:20
	v_cmp_lt_u32_e64 s[6:7], 5, v0
	s_waitcnt vmcnt(0)
	ds_write_b32 v56, v61
	s_waitcnt lgkmcnt(0)
	; wave barrier
	s_waitcnt lgkmcnt(0)
	s_and_saveexec_b64 s[8:9], s[6:7]
	s_cbranch_execz .LBB26_206
; %bb.197:
	s_andn2_b64 vcc, exec, s[10:11]
	s_cbranch_vccnz .LBB26_199
; %bb.198:
	buffer_load_dword v61, v57, s[0:3], 0 offen
	ds_read_b32 v62, v56
	s_waitcnt vmcnt(0) lgkmcnt(0)
	v_mul_f32_e32 v61, v61, v62
	s_cbranch_execz .LBB26_200
	s_branch .LBB26_201
.LBB26_199:
                                        ; implicit-def: $vgpr61
.LBB26_200:
	ds_read_b32 v61, v56
.LBB26_201:
	s_and_saveexec_b64 s[12:13], s[4:5]
	s_cbranch_execz .LBB26_205
; %bb.202:
	v_add_u32_e32 v62, -6, v0
	s_movk_i32 s14, 0x88
	s_mov_b64 s[4:5], 0
.LBB26_203:                             ; =>This Inner Loop Header: Depth=1
	buffer_load_dword v63, v60, s[0:3], 0 offen
	v_mov_b32_e32 v64, s14
	ds_read_b32 v64, v64
	v_add_u32_e32 v62, -1, v62
	s_add_i32 s14, s14, 4
	v_cmp_eq_u32_e32 vcc, 0, v62
	v_add_u32_e32 v60, 4, v60
	s_or_b64 s[4:5], vcc, s[4:5]
	s_waitcnt vmcnt(0) lgkmcnt(0)
	v_fmac_f32_e32 v61, v63, v64
	s_andn2_b64 exec, exec, s[4:5]
	s_cbranch_execnz .LBB26_203
; %bb.204:
	s_or_b64 exec, exec, s[4:5]
.LBB26_205:
	s_or_b64 exec, exec, s[12:13]
	v_mov_b32_e32 v60, 0
	ds_read_b32 v60, v60 offset:20
	s_waitcnt lgkmcnt(0)
	v_mul_f32_e32 v60, v61, v60
	buffer_store_dword v60, off, s[0:3], 0 offset:20
.LBB26_206:
	s_or_b64 exec, exec, s[8:9]
	buffer_load_dword v60, off, s[0:3], 0 offset:16
	v_cmp_lt_u32_e64 s[4:5], 4, v0
	s_waitcnt vmcnt(0)
	ds_write_b32 v56, v60
	s_waitcnt lgkmcnt(0)
	; wave barrier
	s_waitcnt lgkmcnt(0)
	s_and_saveexec_b64 s[8:9], s[4:5]
	s_cbranch_execz .LBB26_216
; %bb.207:
	s_andn2_b64 vcc, exec, s[10:11]
	s_cbranch_vccnz .LBB26_209
; %bb.208:
	buffer_load_dword v60, v57, s[0:3], 0 offen
	ds_read_b32 v61, v56
	s_waitcnt vmcnt(0) lgkmcnt(0)
	v_mul_f32_e32 v60, v60, v61
	s_cbranch_execz .LBB26_210
	s_branch .LBB26_211
.LBB26_209:
                                        ; implicit-def: $vgpr60
.LBB26_210:
	ds_read_b32 v60, v56
.LBB26_211:
	s_and_saveexec_b64 s[12:13], s[6:7]
	s_cbranch_execz .LBB26_215
; %bb.212:
	v_mov_b32_e32 v61, 0
	v_add_u32_e32 v61, 20, v61
	v_add_u32_e32 v62, -5, v0
	s_movk_i32 s14, 0x84
	s_mov_b64 s[6:7], 0
.LBB26_213:                             ; =>This Inner Loop Header: Depth=1
	buffer_load_dword v63, v61, s[0:3], 0 offen
	v_mov_b32_e32 v64, s14
	ds_read_b32 v64, v64
	v_add_u32_e32 v62, -1, v62
	s_add_i32 s14, s14, 4
	v_cmp_eq_u32_e32 vcc, 0, v62
	v_add_u32_e32 v61, 4, v61
	s_or_b64 s[6:7], vcc, s[6:7]
	s_waitcnt vmcnt(0) lgkmcnt(0)
	v_fmac_f32_e32 v60, v63, v64
	s_andn2_b64 exec, exec, s[6:7]
	s_cbranch_execnz .LBB26_213
; %bb.214:
	s_or_b64 exec, exec, s[6:7]
.LBB26_215:
	s_or_b64 exec, exec, s[12:13]
	v_mov_b32_e32 v61, 0
	ds_read_b32 v61, v61 offset:16
	s_waitcnt lgkmcnt(0)
	v_mul_f32_e32 v60, v60, v61
	buffer_store_dword v60, off, s[0:3], 0 offset:16
.LBB26_216:
	s_or_b64 exec, exec, s[8:9]
	buffer_load_dword v60, off, s[0:3], 0 offset:12
	v_cmp_lt_u32_e64 s[6:7], 3, v0
	s_waitcnt vmcnt(0)
	ds_write_b32 v56, v60
	s_waitcnt lgkmcnt(0)
	; wave barrier
	s_waitcnt lgkmcnt(0)
	s_and_saveexec_b64 s[8:9], s[6:7]
	s_cbranch_execz .LBB26_226
; %bb.217:
	s_andn2_b64 vcc, exec, s[10:11]
	s_cbranch_vccnz .LBB26_219
; %bb.218:
	buffer_load_dword v60, v57, s[0:3], 0 offen
	ds_read_b32 v61, v56
	s_waitcnt vmcnt(0) lgkmcnt(0)
	v_mul_f32_e32 v60, v60, v61
	s_cbranch_execz .LBB26_220
	s_branch .LBB26_221
.LBB26_219:
                                        ; implicit-def: $vgpr60
.LBB26_220:
	ds_read_b32 v60, v56
.LBB26_221:
	s_and_saveexec_b64 s[12:13], s[4:5]
	s_cbranch_execz .LBB26_225
; %bb.222:
	v_add_u32_e32 v61, -4, v0
	s_movk_i32 s14, 0x80
	s_mov_b64 s[4:5], 0
.LBB26_223:                             ; =>This Inner Loop Header: Depth=1
	buffer_load_dword v62, v59, s[0:3], 0 offen
	v_mov_b32_e32 v63, s14
	ds_read_b32 v63, v63
	v_add_u32_e32 v61, -1, v61
	s_add_i32 s14, s14, 4
	v_cmp_eq_u32_e32 vcc, 0, v61
	v_add_u32_e32 v59, 4, v59
	s_or_b64 s[4:5], vcc, s[4:5]
	s_waitcnt vmcnt(0) lgkmcnt(0)
	v_fmac_f32_e32 v60, v62, v63
	s_andn2_b64 exec, exec, s[4:5]
	s_cbranch_execnz .LBB26_223
; %bb.224:
	s_or_b64 exec, exec, s[4:5]
.LBB26_225:
	s_or_b64 exec, exec, s[12:13]
	v_mov_b32_e32 v59, 0
	ds_read_b32 v59, v59 offset:12
	s_waitcnt lgkmcnt(0)
	v_mul_f32_e32 v59, v60, v59
	buffer_store_dword v59, off, s[0:3], 0 offset:12
.LBB26_226:
	s_or_b64 exec, exec, s[8:9]
	buffer_load_dword v59, off, s[0:3], 0 offset:8
	v_cmp_lt_u32_e64 s[4:5], 2, v0
	s_waitcnt vmcnt(0)
	ds_write_b32 v56, v59
	s_waitcnt lgkmcnt(0)
	; wave barrier
	s_waitcnt lgkmcnt(0)
	s_and_saveexec_b64 s[8:9], s[4:5]
	s_cbranch_execz .LBB26_236
; %bb.227:
	s_andn2_b64 vcc, exec, s[10:11]
	s_cbranch_vccnz .LBB26_229
; %bb.228:
	buffer_load_dword v59, v57, s[0:3], 0 offen
	ds_read_b32 v60, v56
	s_waitcnt vmcnt(0) lgkmcnt(0)
	v_mul_f32_e32 v59, v59, v60
	s_cbranch_execz .LBB26_230
	s_branch .LBB26_231
.LBB26_229:
                                        ; implicit-def: $vgpr59
.LBB26_230:
	ds_read_b32 v59, v56
.LBB26_231:
	s_and_saveexec_b64 s[12:13], s[6:7]
	s_cbranch_execz .LBB26_235
; %bb.232:
	v_mov_b32_e32 v60, 0
	v_or_b32_e32 v60, 12, v60
	v_add_u32_e32 v61, -3, v0
	s_movk_i32 s14, 0x7c
	s_mov_b64 s[6:7], 0
.LBB26_233:                             ; =>This Inner Loop Header: Depth=1
	buffer_load_dword v62, v60, s[0:3], 0 offen
	v_mov_b32_e32 v63, s14
	ds_read_b32 v63, v63
	v_add_u32_e32 v61, -1, v61
	s_add_i32 s14, s14, 4
	v_cmp_eq_u32_e32 vcc, 0, v61
	v_add_u32_e32 v60, 4, v60
	s_or_b64 s[6:7], vcc, s[6:7]
	s_waitcnt vmcnt(0) lgkmcnt(0)
	v_fmac_f32_e32 v59, v62, v63
	s_andn2_b64 exec, exec, s[6:7]
	s_cbranch_execnz .LBB26_233
; %bb.234:
	s_or_b64 exec, exec, s[6:7]
.LBB26_235:
	s_or_b64 exec, exec, s[12:13]
	v_mov_b32_e32 v60, 0
	ds_read_b32 v60, v60 offset:8
	s_waitcnt lgkmcnt(0)
	v_mul_f32_e32 v59, v59, v60
	buffer_store_dword v59, off, s[0:3], 0 offset:8
.LBB26_236:
	s_or_b64 exec, exec, s[8:9]
	buffer_load_dword v59, off, s[0:3], 0 offset:4
	v_cmp_lt_u32_e64 s[6:7], 1, v0
	s_waitcnt vmcnt(0)
	ds_write_b32 v56, v59
	s_waitcnt lgkmcnt(0)
	; wave barrier
	s_waitcnt lgkmcnt(0)
	s_and_saveexec_b64 s[8:9], s[6:7]
	s_cbranch_execz .LBB26_246
; %bb.237:
	s_andn2_b64 vcc, exec, s[10:11]
	s_cbranch_vccnz .LBB26_239
; %bb.238:
	buffer_load_dword v59, v57, s[0:3], 0 offen
	ds_read_b32 v60, v56
	s_waitcnt vmcnt(0) lgkmcnt(0)
	v_mul_f32_e32 v59, v59, v60
	s_cbranch_execz .LBB26_240
	s_branch .LBB26_241
.LBB26_239:
                                        ; implicit-def: $vgpr59
.LBB26_240:
	ds_read_b32 v59, v56
.LBB26_241:
	s_and_saveexec_b64 s[12:13], s[4:5]
	s_cbranch_execz .LBB26_245
; %bb.242:
	v_add_u32_e32 v60, -2, v0
	s_movk_i32 s14, 0x78
	s_mov_b64 s[4:5], 0
.LBB26_243:                             ; =>This Inner Loop Header: Depth=1
	buffer_load_dword v61, v58, s[0:3], 0 offen
	v_mov_b32_e32 v62, s14
	ds_read_b32 v62, v62
	v_add_u32_e32 v60, -1, v60
	s_add_i32 s14, s14, 4
	v_cmp_eq_u32_e32 vcc, 0, v60
	v_add_u32_e32 v58, 4, v58
	s_or_b64 s[4:5], vcc, s[4:5]
	s_waitcnt vmcnt(0) lgkmcnt(0)
	v_fmac_f32_e32 v59, v61, v62
	s_andn2_b64 exec, exec, s[4:5]
	s_cbranch_execnz .LBB26_243
; %bb.244:
	s_or_b64 exec, exec, s[4:5]
.LBB26_245:
	s_or_b64 exec, exec, s[12:13]
	v_mov_b32_e32 v58, 0
	ds_read_b32 v58, v58 offset:4
	s_waitcnt lgkmcnt(0)
	v_mul_f32_e32 v58, v59, v58
	buffer_store_dword v58, off, s[0:3], 0 offset:4
.LBB26_246:
	s_or_b64 exec, exec, s[8:9]
	buffer_load_dword v58, off, s[0:3], 0
	v_cmp_ne_u32_e32 vcc, 0, v0
	s_waitcnt vmcnt(0)
	ds_write_b32 v56, v58
	s_waitcnt lgkmcnt(0)
	; wave barrier
	s_waitcnt lgkmcnt(0)
	s_and_saveexec_b64 s[4:5], vcc
	s_cbranch_execz .LBB26_256
; %bb.247:
	s_andn2_b64 vcc, exec, s[10:11]
	s_cbranch_vccnz .LBB26_249
; %bb.248:
	buffer_load_dword v58, v57, s[0:3], 0 offen
	ds_read_b32 v59, v56
	s_waitcnt vmcnt(0) lgkmcnt(0)
	v_mul_f32_e32 v58, v58, v59
	s_cbranch_execz .LBB26_250
	s_branch .LBB26_251
.LBB26_249:
                                        ; implicit-def: $vgpr58
.LBB26_250:
	ds_read_b32 v58, v56
.LBB26_251:
	s_and_saveexec_b64 s[8:9], s[6:7]
	s_cbranch_execz .LBB26_255
; %bb.252:
	v_mov_b32_e32 v59, 0
	v_or_b32_e32 v59, 4, v59
	v_add_u32_e32 v60, -1, v0
	s_movk_i32 s12, 0x74
	s_mov_b64 s[6:7], 0
.LBB26_253:                             ; =>This Inner Loop Header: Depth=1
	buffer_load_dword v61, v59, s[0:3], 0 offen
	v_mov_b32_e32 v62, s12
	ds_read_b32 v62, v62
	v_add_u32_e32 v60, -1, v60
	s_add_i32 s12, s12, 4
	v_cmp_eq_u32_e32 vcc, 0, v60
	v_add_u32_e32 v59, 4, v59
	s_or_b64 s[6:7], vcc, s[6:7]
	s_waitcnt vmcnt(0) lgkmcnt(0)
	v_fmac_f32_e32 v58, v61, v62
	s_andn2_b64 exec, exec, s[6:7]
	s_cbranch_execnz .LBB26_253
; %bb.254:
	s_or_b64 exec, exec, s[6:7]
.LBB26_255:
	s_or_b64 exec, exec, s[8:9]
	v_mov_b32_e32 v59, 0
	ds_read_b32 v59, v59
	s_waitcnt lgkmcnt(0)
	v_mul_f32_e32 v58, v58, v59
	buffer_store_dword v58, off, s[0:3], 0
.LBB26_256:
	s_or_b64 exec, exec, s[4:5]
	s_mov_b64 s[4:5], 0
.LBB26_257:
	s_and_b64 vcc, exec, s[4:5]
	s_cbranch_vccz .LBB26_511
; %bb.258:
	buffer_load_dword v58, off, s[0:3], 0 offset:4
	v_cmp_eq_u32_e64 s[6:7], 0, v0
	s_waitcnt vmcnt(0)
	ds_write_b32 v56, v58
	s_waitcnt lgkmcnt(0)
	; wave barrier
	s_waitcnt lgkmcnt(0)
	s_and_saveexec_b64 s[4:5], s[6:7]
	s_cbranch_execz .LBB26_264
; %bb.259:
	s_and_b64 vcc, exec, s[10:11]
	s_cbranch_vccz .LBB26_261
; %bb.260:
	buffer_load_dword v58, v57, s[0:3], 0 offen
	ds_read_b32 v59, v56
	s_waitcnt vmcnt(0) lgkmcnt(0)
	v_mul_f32_e32 v58, v58, v59
	s_cbranch_execz .LBB26_262
	s_branch .LBB26_263
.LBB26_261:
                                        ; implicit-def: $vgpr58
.LBB26_262:
	ds_read_b32 v58, v56
.LBB26_263:
	v_mov_b32_e32 v59, 0
	ds_read_b32 v59, v59 offset:4
	s_waitcnt lgkmcnt(0)
	v_mul_f32_e32 v58, v58, v59
	buffer_store_dword v58, off, s[0:3], 0 offset:4
.LBB26_264:
	s_or_b64 exec, exec, s[4:5]
	buffer_load_dword v58, off, s[0:3], 0 offset:8
	v_cndmask_b32_e64 v59, 0, 1, s[10:11]
	v_cmp_gt_u32_e32 vcc, 2, v0
	v_cmp_ne_u32_e64 s[4:5], 1, v59
	s_waitcnt vmcnt(0)
	ds_write_b32 v56, v58
	s_waitcnt lgkmcnt(0)
	; wave barrier
	s_waitcnt lgkmcnt(0)
	s_and_saveexec_b64 s[8:9], vcc
	s_cbranch_execz .LBB26_272
; %bb.265:
	s_and_b64 vcc, exec, s[4:5]
	s_cbranch_vccnz .LBB26_267
; %bb.266:
	buffer_load_dword v58, v57, s[0:3], 0 offen
	ds_read_b32 v59, v56
	s_waitcnt vmcnt(0) lgkmcnt(0)
	v_mul_f32_e32 v58, v58, v59
	s_cbranch_execz .LBB26_268
	s_branch .LBB26_269
.LBB26_267:
                                        ; implicit-def: $vgpr58
.LBB26_268:
	ds_read_b32 v58, v56
.LBB26_269:
	s_and_saveexec_b64 s[10:11], s[6:7]
	s_cbranch_execz .LBB26_271
; %bb.270:
	buffer_load_dword v59, v57, s[0:3], 0 offen offset:4
	ds_read_b32 v60, v56 offset:4
	s_waitcnt vmcnt(0) lgkmcnt(0)
	v_fmac_f32_e32 v58, v59, v60
.LBB26_271:
	s_or_b64 exec, exec, s[10:11]
	v_mov_b32_e32 v59, 0
	ds_read_b32 v59, v59 offset:8
	s_waitcnt lgkmcnt(0)
	v_mul_f32_e32 v58, v58, v59
	buffer_store_dword v58, off, s[0:3], 0 offset:8
.LBB26_272:
	s_or_b64 exec, exec, s[8:9]
	buffer_load_dword v58, off, s[0:3], 0 offset:12
	v_cmp_gt_u32_e32 vcc, 3, v0
	s_waitcnt vmcnt(0)
	ds_write_b32 v56, v58
	s_waitcnt lgkmcnt(0)
	; wave barrier
	s_waitcnt lgkmcnt(0)
	s_and_saveexec_b64 s[8:9], vcc
	s_cbranch_execz .LBB26_280
; %bb.273:
	s_and_b64 vcc, exec, s[4:5]
	s_cbranch_vccnz .LBB26_275
; %bb.274:
	buffer_load_dword v58, v57, s[0:3], 0 offen
	ds_read_b32 v59, v56
	s_waitcnt vmcnt(0) lgkmcnt(0)
	v_mul_f32_e32 v58, v58, v59
	s_cbranch_execz .LBB26_276
	s_branch .LBB26_277
.LBB26_275:
                                        ; implicit-def: $vgpr58
.LBB26_276:
	ds_read_b32 v58, v56
.LBB26_277:
	v_cmp_ne_u32_e32 vcc, 2, v0
	s_and_saveexec_b64 s[10:11], vcc
	s_cbranch_execz .LBB26_279
; %bb.278:
	buffer_load_dword v59, v57, s[0:3], 0 offen offset:4
	buffer_load_dword v60, off, s[0:3], 0 offset:8
	v_mov_b32_e32 v61, 0
	ds_read_b32 v62, v56 offset:4
	ds_read_b32 v61, v61 offset:120
	s_waitcnt vmcnt(1) lgkmcnt(1)
	v_fmac_f32_e32 v58, v59, v62
	s_waitcnt vmcnt(0) lgkmcnt(0)
	v_fma_f32 v59, v60, v61, v58
	v_cndmask_b32_e64 v58, v58, v59, s[6:7]
.LBB26_279:
	s_or_b64 exec, exec, s[10:11]
	v_mov_b32_e32 v59, 0
	ds_read_b32 v59, v59 offset:12
	s_waitcnt lgkmcnt(0)
	v_mul_f32_e32 v58, v58, v59
	buffer_store_dword v58, off, s[0:3], 0 offset:12
.LBB26_280:
	s_or_b64 exec, exec, s[8:9]
	buffer_load_dword v58, off, s[0:3], 0 offset:16
	v_cmp_gt_u32_e32 vcc, 4, v0
	s_waitcnt vmcnt(0)
	ds_write_b32 v56, v58
	s_waitcnt lgkmcnt(0)
	; wave barrier
	s_waitcnt lgkmcnt(0)
	s_and_saveexec_b64 s[6:7], vcc
	s_cbranch_execz .LBB26_290
; %bb.281:
	s_and_b64 vcc, exec, s[4:5]
	s_cbranch_vccnz .LBB26_283
; %bb.282:
	buffer_load_dword v58, v57, s[0:3], 0 offen
	ds_read_b32 v59, v56
	s_waitcnt vmcnt(0) lgkmcnt(0)
	v_mul_f32_e32 v58, v58, v59
	s_cbranch_execz .LBB26_284
	s_branch .LBB26_285
.LBB26_283:
                                        ; implicit-def: $vgpr58
.LBB26_284:
	ds_read_b32 v58, v56
.LBB26_285:
	v_cmp_ne_u32_e32 vcc, 3, v0
	s_and_saveexec_b64 s[8:9], vcc
	s_cbranch_execz .LBB26_289
; %bb.286:
	v_mov_b32_e32 v60, 0
	v_add_u32_e32 v59, 0x74, v1
	v_add3_u32 v60, v1, v60, 4
	s_mov_b64 s[10:11], 0
	v_mov_b32_e32 v61, v0
.LBB26_287:                             ; =>This Inner Loop Header: Depth=1
	buffer_load_dword v62, v60, s[0:3], 0 offen
	ds_read_b32 v63, v59
	v_add_u32_e32 v61, 1, v61
	v_cmp_lt_u32_e32 vcc, 2, v61
	v_add_u32_e32 v59, 4, v59
	v_add_u32_e32 v60, 4, v60
	s_or_b64 s[10:11], vcc, s[10:11]
	s_waitcnt vmcnt(0) lgkmcnt(0)
	v_fmac_f32_e32 v58, v62, v63
	s_andn2_b64 exec, exec, s[10:11]
	s_cbranch_execnz .LBB26_287
; %bb.288:
	s_or_b64 exec, exec, s[10:11]
.LBB26_289:
	s_or_b64 exec, exec, s[8:9]
	v_mov_b32_e32 v59, 0
	ds_read_b32 v59, v59 offset:16
	s_waitcnt lgkmcnt(0)
	v_mul_f32_e32 v58, v58, v59
	buffer_store_dword v58, off, s[0:3], 0 offset:16
.LBB26_290:
	s_or_b64 exec, exec, s[6:7]
	buffer_load_dword v58, off, s[0:3], 0 offset:20
	v_cmp_gt_u32_e32 vcc, 5, v0
	s_waitcnt vmcnt(0)
	ds_write_b32 v56, v58
	s_waitcnt lgkmcnt(0)
	; wave barrier
	s_waitcnt lgkmcnt(0)
	s_and_saveexec_b64 s[6:7], vcc
	s_cbranch_execz .LBB26_300
; %bb.291:
	s_and_b64 vcc, exec, s[4:5]
	s_cbranch_vccnz .LBB26_293
; %bb.292:
	buffer_load_dword v58, v57, s[0:3], 0 offen
	ds_read_b32 v59, v56
	s_waitcnt vmcnt(0) lgkmcnt(0)
	v_mul_f32_e32 v58, v58, v59
	s_cbranch_execz .LBB26_294
	s_branch .LBB26_295
.LBB26_293:
                                        ; implicit-def: $vgpr58
.LBB26_294:
	ds_read_b32 v58, v56
.LBB26_295:
	v_cmp_ne_u32_e32 vcc, 4, v0
	s_and_saveexec_b64 s[8:9], vcc
	s_cbranch_execz .LBB26_299
; %bb.296:
	v_mov_b32_e32 v60, 0
	v_add_u32_e32 v59, 0x74, v1
	v_add3_u32 v60, v1, v60, 4
	s_mov_b64 s[10:11], 0
	v_mov_b32_e32 v61, v0
.LBB26_297:                             ; =>This Inner Loop Header: Depth=1
	buffer_load_dword v62, v60, s[0:3], 0 offen
	ds_read_b32 v63, v59
	v_add_u32_e32 v61, 1, v61
	v_cmp_lt_u32_e32 vcc, 3, v61
	v_add_u32_e32 v59, 4, v59
	v_add_u32_e32 v60, 4, v60
	s_or_b64 s[10:11], vcc, s[10:11]
	s_waitcnt vmcnt(0) lgkmcnt(0)
	v_fmac_f32_e32 v58, v62, v63
	s_andn2_b64 exec, exec, s[10:11]
	s_cbranch_execnz .LBB26_297
; %bb.298:
	s_or_b64 exec, exec, s[10:11]
.LBB26_299:
	s_or_b64 exec, exec, s[8:9]
	v_mov_b32_e32 v59, 0
	ds_read_b32 v59, v59 offset:20
	s_waitcnt lgkmcnt(0)
	v_mul_f32_e32 v58, v58, v59
	buffer_store_dword v58, off, s[0:3], 0 offset:20
.LBB26_300:
	;; [unrolled: 56-line block ×21, first 2 shown]
	s_or_b64 exec, exec, s[6:7]
	buffer_load_dword v58, off, s[0:3], 0 offset:100
	v_cmp_gt_u32_e64 s[6:7], 25, v0
	s_waitcnt vmcnt(0)
	ds_write_b32 v56, v58
	s_waitcnt lgkmcnt(0)
	; wave barrier
	s_waitcnt lgkmcnt(0)
	s_and_saveexec_b64 s[8:9], s[6:7]
	s_cbranch_execz .LBB26_500
; %bb.491:
	s_and_b64 vcc, exec, s[4:5]
	s_cbranch_vccnz .LBB26_493
; %bb.492:
	buffer_load_dword v58, v57, s[0:3], 0 offen
	ds_read_b32 v59, v56
	s_waitcnt vmcnt(0) lgkmcnt(0)
	v_mul_f32_e32 v58, v58, v59
	s_cbranch_execz .LBB26_494
	s_branch .LBB26_495
.LBB26_493:
                                        ; implicit-def: $vgpr58
.LBB26_494:
	ds_read_b32 v58, v56
.LBB26_495:
	v_cmp_ne_u32_e32 vcc, 24, v0
	s_and_saveexec_b64 s[10:11], vcc
	s_cbranch_execz .LBB26_499
; %bb.496:
	v_mov_b32_e32 v60, 0
	v_add_u32_e32 v59, 0x74, v1
	v_add3_u32 v60, v1, v60, 4
	s_mov_b64 s[12:13], 0
	v_mov_b32_e32 v61, v0
.LBB26_497:                             ; =>This Inner Loop Header: Depth=1
	buffer_load_dword v62, v60, s[0:3], 0 offen
	ds_read_b32 v63, v59
	v_add_u32_e32 v61, 1, v61
	v_cmp_lt_u32_e32 vcc, 23, v61
	v_add_u32_e32 v59, 4, v59
	v_add_u32_e32 v60, 4, v60
	s_or_b64 s[12:13], vcc, s[12:13]
	s_waitcnt vmcnt(0) lgkmcnt(0)
	v_fmac_f32_e32 v58, v62, v63
	s_andn2_b64 exec, exec, s[12:13]
	s_cbranch_execnz .LBB26_497
; %bb.498:
	s_or_b64 exec, exec, s[12:13]
.LBB26_499:
	s_or_b64 exec, exec, s[10:11]
	v_mov_b32_e32 v59, 0
	ds_read_b32 v59, v59 offset:100
	s_waitcnt lgkmcnt(0)
	v_mul_f32_e32 v58, v58, v59
	buffer_store_dword v58, off, s[0:3], 0 offset:100
.LBB26_500:
	s_or_b64 exec, exec, s[8:9]
	buffer_load_dword v58, off, s[0:3], 0 offset:104
	v_cmp_ne_u32_e32 vcc, 26, v0
	s_waitcnt vmcnt(0)
	ds_write_b32 v56, v58
	s_waitcnt lgkmcnt(0)
	; wave barrier
	s_waitcnt lgkmcnt(0)
	s_and_saveexec_b64 s[8:9], vcc
	s_cbranch_execz .LBB26_510
; %bb.501:
	s_and_b64 vcc, exec, s[4:5]
	s_cbranch_vccnz .LBB26_503
; %bb.502:
	buffer_load_dword v57, v57, s[0:3], 0 offen
	ds_read_b32 v58, v56
	s_waitcnt vmcnt(0) lgkmcnt(0)
	v_mul_f32_e32 v57, v57, v58
	s_cbranch_execz .LBB26_504
	s_branch .LBB26_505
.LBB26_503:
                                        ; implicit-def: $vgpr57
.LBB26_504:
	ds_read_b32 v57, v56
.LBB26_505:
	s_and_saveexec_b64 s[4:5], s[6:7]
	s_cbranch_execz .LBB26_509
; %bb.506:
	v_mov_b32_e32 v58, 0
	v_add_u32_e32 v56, 0x74, v1
	v_add3_u32 v1, v1, v58, 4
	s_mov_b64 s[6:7], 0
.LBB26_507:                             ; =>This Inner Loop Header: Depth=1
	buffer_load_dword v58, v1, s[0:3], 0 offen
	ds_read_b32 v59, v56
	v_add_u32_e32 v0, 1, v0
	v_cmp_lt_u32_e32 vcc, 24, v0
	v_add_u32_e32 v56, 4, v56
	v_add_u32_e32 v1, 4, v1
	s_or_b64 s[6:7], vcc, s[6:7]
	s_waitcnt vmcnt(0) lgkmcnt(0)
	v_fmac_f32_e32 v57, v58, v59
	s_andn2_b64 exec, exec, s[6:7]
	s_cbranch_execnz .LBB26_507
; %bb.508:
	s_or_b64 exec, exec, s[6:7]
.LBB26_509:
	s_or_b64 exec, exec, s[4:5]
	v_mov_b32_e32 v0, 0
	ds_read_b32 v0, v0 offset:104
	s_waitcnt lgkmcnt(0)
	v_mul_f32_e32 v0, v57, v0
	buffer_store_dword v0, off, s[0:3], 0 offset:104
.LBB26_510:
	s_or_b64 exec, exec, s[8:9]
.LBB26_511:
	buffer_load_dword v0, off, s[0:3], 0
	buffer_load_dword v1, off, s[0:3], 0 offset:4
	buffer_load_dword v56, off, s[0:3], 0 offset:8
	;; [unrolled: 1-line block ×15, first 2 shown]
	s_waitcnt vmcnt(15)
	global_store_dword v[4:5], v0, off
	buffer_load_dword v0, off, s[0:3], 0 offset:64
	s_nop 0
	buffer_load_dword v4, off, s[0:3], 0 offset:68
	buffer_load_dword v5, off, s[0:3], 0 offset:72
	;; [unrolled: 1-line block ×7, first 2 shown]
	s_waitcnt vmcnt(23)
	global_store_dword v[2:3], v1, off
	buffer_load_dword v1, off, s[0:3], 0 offset:96
	s_nop 0
	buffer_load_dword v2, off, s[0:3], 0 offset:100
	buffer_load_dword v3, off, s[0:3], 0 offset:104
	s_waitcnt vmcnt(26)
	global_store_dword v[6:7], v56, off
	s_waitcnt vmcnt(26)
	global_store_dword v[8:9], v57, off
	;; [unrolled: 2-line block ×25, first 2 shown]
.LBB26_512:
	s_endpgm
	.section	.rodata,"a",@progbits
	.p2align	6, 0x0
	.amdhsa_kernel _ZN9rocsolver6v33100L18trti2_kernel_smallILi27EfPfEEv13rocblas_fill_17rocblas_diagonal_T1_iil
		.amdhsa_group_segment_fixed_size 220
		.amdhsa_private_segment_fixed_size 112
		.amdhsa_kernarg_size 32
		.amdhsa_user_sgpr_count 8
		.amdhsa_user_sgpr_private_segment_buffer 1
		.amdhsa_user_sgpr_dispatch_ptr 0
		.amdhsa_user_sgpr_queue_ptr 0
		.amdhsa_user_sgpr_kernarg_segment_ptr 1
		.amdhsa_user_sgpr_dispatch_id 0
		.amdhsa_user_sgpr_flat_scratch_init 1
		.amdhsa_user_sgpr_kernarg_preload_length 0
		.amdhsa_user_sgpr_kernarg_preload_offset 0
		.amdhsa_user_sgpr_private_segment_size 0
		.amdhsa_uses_dynamic_stack 0
		.amdhsa_system_sgpr_private_segment_wavefront_offset 1
		.amdhsa_system_sgpr_workgroup_id_x 1
		.amdhsa_system_sgpr_workgroup_id_y 0
		.amdhsa_system_sgpr_workgroup_id_z 0
		.amdhsa_system_sgpr_workgroup_info 0
		.amdhsa_system_vgpr_workitem_id 0
		.amdhsa_next_free_vgpr 77
		.amdhsa_next_free_sgpr 20
		.amdhsa_accum_offset 80
		.amdhsa_reserve_vcc 1
		.amdhsa_reserve_flat_scratch 0
		.amdhsa_float_round_mode_32 0
		.amdhsa_float_round_mode_16_64 0
		.amdhsa_float_denorm_mode_32 3
		.amdhsa_float_denorm_mode_16_64 3
		.amdhsa_dx10_clamp 1
		.amdhsa_ieee_mode 1
		.amdhsa_fp16_overflow 0
		.amdhsa_tg_split 0
		.amdhsa_exception_fp_ieee_invalid_op 0
		.amdhsa_exception_fp_denorm_src 0
		.amdhsa_exception_fp_ieee_div_zero 0
		.amdhsa_exception_fp_ieee_overflow 0
		.amdhsa_exception_fp_ieee_underflow 0
		.amdhsa_exception_fp_ieee_inexact 0
		.amdhsa_exception_int_div_zero 0
	.end_amdhsa_kernel
	.section	.text._ZN9rocsolver6v33100L18trti2_kernel_smallILi27EfPfEEv13rocblas_fill_17rocblas_diagonal_T1_iil,"axG",@progbits,_ZN9rocsolver6v33100L18trti2_kernel_smallILi27EfPfEEv13rocblas_fill_17rocblas_diagonal_T1_iil,comdat
.Lfunc_end26:
	.size	_ZN9rocsolver6v33100L18trti2_kernel_smallILi27EfPfEEv13rocblas_fill_17rocblas_diagonal_T1_iil, .Lfunc_end26-_ZN9rocsolver6v33100L18trti2_kernel_smallILi27EfPfEEv13rocblas_fill_17rocblas_diagonal_T1_iil
                                        ; -- End function
	.section	.AMDGPU.csdata,"",@progbits
; Kernel info:
; codeLenInByte = 13064
; NumSgprs: 24
; NumVgprs: 77
; NumAgprs: 0
; TotalNumVgprs: 77
; ScratchSize: 112
; MemoryBound: 0
; FloatMode: 240
; IeeeMode: 1
; LDSByteSize: 220 bytes/workgroup (compile time only)
; SGPRBlocks: 2
; VGPRBlocks: 9
; NumSGPRsForWavesPerEU: 24
; NumVGPRsForWavesPerEU: 77
; AccumOffset: 80
; Occupancy: 6
; WaveLimiterHint : 0
; COMPUTE_PGM_RSRC2:SCRATCH_EN: 1
; COMPUTE_PGM_RSRC2:USER_SGPR: 8
; COMPUTE_PGM_RSRC2:TRAP_HANDLER: 0
; COMPUTE_PGM_RSRC2:TGID_X_EN: 1
; COMPUTE_PGM_RSRC2:TGID_Y_EN: 0
; COMPUTE_PGM_RSRC2:TGID_Z_EN: 0
; COMPUTE_PGM_RSRC2:TIDIG_COMP_CNT: 0
; COMPUTE_PGM_RSRC3_GFX90A:ACCUM_OFFSET: 19
; COMPUTE_PGM_RSRC3_GFX90A:TG_SPLIT: 0
	.section	.text._ZN9rocsolver6v33100L18trti2_kernel_smallILi28EfPfEEv13rocblas_fill_17rocblas_diagonal_T1_iil,"axG",@progbits,_ZN9rocsolver6v33100L18trti2_kernel_smallILi28EfPfEEv13rocblas_fill_17rocblas_diagonal_T1_iil,comdat
	.globl	_ZN9rocsolver6v33100L18trti2_kernel_smallILi28EfPfEEv13rocblas_fill_17rocblas_diagonal_T1_iil ; -- Begin function _ZN9rocsolver6v33100L18trti2_kernel_smallILi28EfPfEEv13rocblas_fill_17rocblas_diagonal_T1_iil
	.p2align	8
	.type	_ZN9rocsolver6v33100L18trti2_kernel_smallILi28EfPfEEv13rocblas_fill_17rocblas_diagonal_T1_iil,@function
_ZN9rocsolver6v33100L18trti2_kernel_smallILi28EfPfEEv13rocblas_fill_17rocblas_diagonal_T1_iil: ; @_ZN9rocsolver6v33100L18trti2_kernel_smallILi28EfPfEEv13rocblas_fill_17rocblas_diagonal_T1_iil
; %bb.0:
	s_add_u32 s0, s0, s9
	s_addc_u32 s1, s1, 0
	v_cmp_gt_u32_e32 vcc, 28, v0
	s_and_saveexec_b64 s[6:7], vcc
	s_cbranch_execz .LBB27_532
; %bb.1:
	s_load_dwordx8 s[12:19], s[4:5], 0x0
	s_ashr_i32 s6, s8, 31
	v_lshlrev_b32_e32 v1, 2, v0
	v_mov_b32_e32 v71, 0
	s_waitcnt lgkmcnt(0)
	s_mul_i32 s7, s8, s19
	s_mul_hi_u32 s9, s8, s18
	s_add_i32 s7, s9, s7
	s_mul_i32 s6, s6, s18
	s_add_i32 s7, s7, s6
	s_mul_i32 s6, s8, s18
	s_ashr_i32 s5, s16, 31
	s_lshl_b64 s[6:7], s[6:7], 2
	s_mov_b32 s4, s16
	s_add_u32 s6, s14, s6
	s_addc_u32 s7, s15, s7
	s_lshl_b64 s[4:5], s[4:5], 2
	s_add_u32 s4, s6, s4
	s_addc_u32 s5, s7, s5
	v_mov_b32_e32 v3, s5
	v_add_co_u32_e32 v2, vcc, s4, v1
	s_ashr_i32 s7, s17, 31
	s_mov_b32 s6, s17
	v_addc_co_u32_e32 v3, vcc, 0, v3, vcc
	s_lshl_b64 s[6:7], s[6:7], 2
	v_add_co_u32_e32 v4, vcc, s6, v2
	s_add_i32 s6, s17, s17
	v_add_u32_e32 v8, s6, v0
	v_mov_b32_e32 v5, s7
	v_ashrrev_i32_e32 v9, 31, v8
	v_addc_co_u32_e32 v5, vcc, v3, v5, vcc
	v_lshlrev_b64 v[6:7], 2, v[8:9]
	v_add_u32_e32 v10, s17, v8
	v_mov_b32_e32 v9, s5
	v_add_co_u32_e32 v6, vcc, s4, v6
	v_ashrrev_i32_e32 v11, 31, v10
	v_addc_co_u32_e32 v7, vcc, v9, v7, vcc
	v_lshlrev_b64 v[8:9], 2, v[10:11]
	v_add_u32_e32 v12, s17, v10
	v_mov_b32_e32 v11, s5
	v_add_co_u32_e32 v8, vcc, s4, v8
	v_ashrrev_i32_e32 v13, 31, v12
	v_addc_co_u32_e32 v9, vcc, v11, v9, vcc
	v_lshlrev_b64 v[10:11], 2, v[12:13]
	v_add_u32_e32 v14, s17, v12
	v_mov_b32_e32 v13, s5
	v_add_co_u32_e32 v10, vcc, s4, v10
	v_ashrrev_i32_e32 v15, 31, v14
	v_addc_co_u32_e32 v11, vcc, v13, v11, vcc
	v_lshlrev_b64 v[12:13], 2, v[14:15]
	v_add_u32_e32 v16, s17, v14
	v_mov_b32_e32 v15, s5
	v_add_co_u32_e32 v12, vcc, s4, v12
	v_ashrrev_i32_e32 v17, 31, v16
	global_load_dword v21, v1, s[4:5]
	v_addc_co_u32_e32 v13, vcc, v15, v13, vcc
	v_lshlrev_b64 v[14:15], 2, v[16:17]
	v_add_u32_e32 v18, s17, v16
	v_mov_b32_e32 v17, s5
	v_add_co_u32_e32 v14, vcc, s4, v14
	v_ashrrev_i32_e32 v19, 31, v18
	v_addc_co_u32_e32 v15, vcc, v17, v15, vcc
	v_lshlrev_b64 v[16:17], 2, v[18:19]
	v_mov_b32_e32 v19, s5
	v_add_co_u32_e32 v16, vcc, s4, v16
	global_load_dword v23, v[4:5], off
	global_load_dword v25, v[6:7], off
	;; [unrolled: 1-line block ×3, first 2 shown]
	v_addc_co_u32_e32 v17, vcc, v19, v17, vcc
	global_load_dword v29, v[10:11], off
	global_load_dword v31, v[12:13], off
	;; [unrolled: 1-line block ×4, first 2 shown]
	v_add_u32_e32 v20, s17, v18
	v_add_u32_e32 v22, s17, v20
	;; [unrolled: 1-line block ×20, first 2 shown]
	v_ashrrev_i32_e32 v19, 31, v18
	v_lshlrev_b64 v[18:19], 2, v[18:19]
	v_mov_b32_e32 v37, s5
	v_add_co_u32_e32 v18, vcc, s4, v18
	v_addc_co_u32_e32 v19, vcc, v37, v19, vcc
	global_load_dword v58, v[18:19], off
	v_mov_b32_e32 v39, s5
	v_mov_b32_e32 v41, s5
	;; [unrolled: 1-line block ×11, first 2 shown]
	s_cmpk_lg_i32 s13, 0x84
	s_cselect_b64 s[8:9], -1, 0
	s_cmpk_eq_i32 s13, 0x84
	s_waitcnt vmcnt(8)
	buffer_store_dword v21, off, s[0:3], 0
	v_ashrrev_i32_e32 v21, 31, v20
	v_lshlrev_b64 v[20:21], 2, v[20:21]
	v_add_co_u32_e32 v20, vcc, s4, v20
	v_addc_co_u32_e32 v21, vcc, v37, v21, vcc
	global_load_dword v59, v[20:21], off
	s_waitcnt vmcnt(9)
	buffer_store_dword v23, off, s[0:3], 0 offset:4
	s_waitcnt vmcnt(8)
	buffer_store_dword v27, off, s[0:3], 0 offset:12
	buffer_store_dword v25, off, s[0:3], 0 offset:8
	s_waitcnt vmcnt(9)
	buffer_store_dword v29, off, s[0:3], 0 offset:16
	s_waitcnt vmcnt(9)
	;; [unrolled: 2-line block ×4, first 2 shown]
	buffer_store_dword v35, off, s[0:3], 0 offset:28
	v_ashrrev_i32_e32 v23, 31, v22
	v_lshlrev_b64 v[22:23], 2, v[22:23]
	v_mov_b32_e32 v25, s5
	v_add_co_u32_e32 v22, vcc, s4, v22
	v_addc_co_u32_e32 v23, vcc, v25, v23, vcc
	v_ashrrev_i32_e32 v25, 31, v24
	v_lshlrev_b64 v[24:25], 2, v[24:25]
	v_mov_b32_e32 v27, s5
	v_add_co_u32_e32 v24, vcc, s4, v24
	v_addc_co_u32_e32 v25, vcc, v27, v25, vcc
	;; [unrolled: 5-line block ×6, first 2 shown]
	v_ashrrev_i32_e32 v35, 31, v34
	v_lshlrev_b64 v[34:35], 2, v[34:35]
	v_add_co_u32_e32 v34, vcc, s4, v34
	v_addc_co_u32_e32 v35, vcc, v37, v35, vcc
	v_ashrrev_i32_e32 v37, 31, v36
	v_lshlrev_b64 v[36:37], 2, v[36:37]
	v_add_co_u32_e32 v36, vcc, s4, v36
	v_addc_co_u32_e32 v37, vcc, v39, v37, vcc
	global_load_dword v60, v[22:23], off
	global_load_dword v61, v[24:25], off
	;; [unrolled: 1-line block ×8, first 2 shown]
	v_ashrrev_i32_e32 v39, 31, v38
	v_lshlrev_b64 v[38:39], 2, v[38:39]
	v_add_co_u32_e32 v38, vcc, s4, v38
	v_addc_co_u32_e32 v39, vcc, v41, v39, vcc
	v_ashrrev_i32_e32 v41, 31, v40
	v_lshlrev_b64 v[40:41], 2, v[40:41]
	v_add_co_u32_e32 v40, vcc, s4, v40
	v_addc_co_u32_e32 v41, vcc, v43, v41, vcc
	v_ashrrev_i32_e32 v43, 31, v42
	v_lshlrev_b64 v[42:43], 2, v[42:43]
	v_add_co_u32_e32 v42, vcc, s4, v42
	v_addc_co_u32_e32 v43, vcc, v45, v43, vcc
	v_ashrrev_i32_e32 v45, 31, v44
	v_lshlrev_b64 v[44:45], 2, v[44:45]
	v_add_co_u32_e32 v44, vcc, s4, v44
	v_addc_co_u32_e32 v45, vcc, v47, v45, vcc
	v_ashrrev_i32_e32 v47, 31, v46
	v_lshlrev_b64 v[46:47], 2, v[46:47]
	v_add_co_u32_e32 v46, vcc, s4, v46
	v_addc_co_u32_e32 v47, vcc, v49, v47, vcc
	v_ashrrev_i32_e32 v49, 31, v48
	v_lshlrev_b64 v[48:49], 2, v[48:49]
	v_add_co_u32_e32 v48, vcc, s4, v48
	v_addc_co_u32_e32 v49, vcc, v51, v49, vcc
	v_ashrrev_i32_e32 v51, 31, v50
	v_lshlrev_b64 v[50:51], 2, v[50:51]
	v_add_co_u32_e32 v50, vcc, s4, v50
	v_addc_co_u32_e32 v51, vcc, v53, v51, vcc
	v_ashrrev_i32_e32 v53, 31, v52
	v_lshlrev_b64 v[52:53], 2, v[52:53]
	v_add_co_u32_e32 v52, vcc, s4, v52
	v_addc_co_u32_e32 v53, vcc, v55, v53, vcc
	v_ashrrev_i32_e32 v55, 31, v54
	v_lshlrev_b64 v[54:55], 2, v[54:55]
	v_add_co_u32_e32 v54, vcc, s4, v54
	v_addc_co_u32_e32 v55, vcc, v57, v55, vcc
	v_ashrrev_i32_e32 v57, 31, v56
	v_lshlrev_b64 v[56:57], 2, v[56:57]
	v_add_co_u32_e32 v56, vcc, s4, v56
	v_addc_co_u32_e32 v57, vcc, v68, v57, vcc
	global_load_dword v68, v[38:39], off
	global_load_dword v69, v[40:41], off
	;; [unrolled: 1-line block ×7, first 2 shown]
	s_waitcnt vmcnt(22)
	buffer_store_dword v59, off, s[0:3], 0 offset:32
	global_load_dword v59, v[54:55], off
	s_nop 0
	global_load_dword v76, v[52:53], off
	s_waitcnt vmcnt(17)
	buffer_store_dword v60, off, s[0:3], 0 offset:36
	global_load_dword v60, v[56:57], off
	s_waitcnt vmcnt(17)
	buffer_store_dword v62, off, s[0:3], 0 offset:44
	buffer_store_dword v61, off, s[0:3], 0 offset:40
	s_waitcnt vmcnt(18)
	buffer_store_dword v63, off, s[0:3], 0 offset:48
	s_waitcnt vmcnt(18)
	;; [unrolled: 2-line block ×9, first 2 shown]
	buffer_store_dword v73, off, s[0:3], 0 offset:84
	buffer_store_dword v72, off, s[0:3], 0 offset:80
	s_waitcnt vmcnt(17)
	buffer_store_dword v75, off, s[0:3], 0 offset:92
	buffer_store_dword v74, off, s[0:3], 0 offset:88
	s_waitcnt vmcnt(17)
	buffer_store_dword v59, off, s[0:3], 0 offset:100
	s_waitcnt vmcnt(17)
	buffer_store_dword v76, off, s[0:3], 0 offset:96
	buffer_store_dword v58, off, s[0:3], 0 offset:108
	s_waitcnt vmcnt(17)
	buffer_store_dword v60, off, s[0:3], 0 offset:104
	v_mov_b32_e32 v58, -1.0
	s_cbranch_scc1 .LBB27_3
; %bb.2:
	v_lshl_add_u32 v58, v0, 2, v71
	buffer_load_dword v59, v58, s[0:3], 0 offen
	s_waitcnt vmcnt(0)
	v_div_scale_f32 v60, s[4:5], v59, v59, 1.0
	v_rcp_f32_e32 v61, v60
	v_div_scale_f32 v62, vcc, 1.0, v59, 1.0
	v_fma_f32 v63, -v60, v61, 1.0
	v_fmac_f32_e32 v61, v63, v61
	v_mul_f32_e32 v63, v62, v61
	v_fma_f32 v64, -v60, v63, v62
	v_fmac_f32_e32 v63, v64, v61
	v_fma_f32 v60, -v60, v63, v62
	v_div_fmas_f32 v60, v60, v61, v63
	v_div_fixup_f32 v59, v60, v59, 1.0
	buffer_store_dword v59, v58, s[0:3], 0 offen
	v_xor_b32_e32 v58, 0x80000000, v59
.LBB27_3:
	ds_write_b32 v1, v58
	s_cmpk_eq_i32 s12, 0x79
	v_add_u32_e32 v58, 0x70, v1
	v_add_u32_e32 v59, 0, v1
	s_mov_b64 s[4:5], -1
	s_cbranch_scc1 .LBB27_267
; %bb.4:
	buffer_load_dword v60, off, s[0:3], 0 offset:104
	v_cmp_eq_u32_e64 s[4:5], 27, v0
	s_waitcnt vmcnt(0)
	ds_write_b32 v58, v60
	s_waitcnt lgkmcnt(0)
	; wave barrier
	s_waitcnt lgkmcnt(0)
	s_and_saveexec_b64 s[6:7], s[4:5]
	s_cbranch_execz .LBB27_10
; %bb.5:
	s_and_b64 vcc, exec, s[8:9]
	s_cbranch_vccz .LBB27_7
; %bb.6:
	buffer_load_dword v60, v59, s[0:3], 0 offen
	ds_read_b32 v61, v58
	s_waitcnt vmcnt(0) lgkmcnt(0)
	v_mul_f32_e32 v60, v60, v61
	s_cbranch_execz .LBB27_8
	s_branch .LBB27_9
.LBB27_7:
                                        ; implicit-def: $vgpr60
.LBB27_8:
	ds_read_b32 v60, v58
.LBB27_9:
	v_mov_b32_e32 v61, 0
	ds_read_b32 v61, v61 offset:104
	s_waitcnt lgkmcnt(0)
	v_mul_f32_e32 v60, v60, v61
	buffer_store_dword v60, off, s[0:3], 0 offset:104
.LBB27_10:
	s_or_b64 exec, exec, s[6:7]
	buffer_load_dword v72, off, s[0:3], 0 offset:100
	v_or_b32_e32 v60, 8, v71
	v_add_u32_e32 v61, 16, v71
	v_add_u32_e32 v62, 24, v71
	;; [unrolled: 1-line block ×11, first 2 shown]
	v_cmp_lt_u32_e64 s[6:7], 25, v0
	s_waitcnt vmcnt(0)
	ds_write_b32 v58, v72
	s_waitcnt lgkmcnt(0)
	; wave barrier
	s_waitcnt lgkmcnt(0)
	s_and_saveexec_b64 s[10:11], s[6:7]
	s_cbranch_execz .LBB27_16
; %bb.11:
	s_andn2_b64 vcc, exec, s[8:9]
	s_cbranch_vccnz .LBB27_13
; %bb.12:
	buffer_load_dword v72, v59, s[0:3], 0 offen
	ds_read_b32 v73, v58
	s_waitcnt vmcnt(0) lgkmcnt(0)
	v_mul_f32_e32 v72, v72, v73
	s_cbranch_execz .LBB27_14
	s_branch .LBB27_15
.LBB27_13:
                                        ; implicit-def: $vgpr72
.LBB27_14:
	ds_read_b32 v72, v58
.LBB27_15:
	buffer_load_dword v73, off, s[0:3], 0 offset:104
	v_mov_b32_e32 v74, 0
	ds_read2_b32 v[74:75], v74 offset0:25 offset1:54
	s_waitcnt vmcnt(0) lgkmcnt(0)
	v_fma_f32 v73, v73, v75, v72
	v_cndmask_b32_e64 v72, v72, v73, s[4:5]
	v_mul_f32_e32 v72, v72, v74
	buffer_store_dword v72, off, s[0:3], 0 offset:100
.LBB27_16:
	s_or_b64 exec, exec, s[10:11]
	buffer_load_dword v72, off, s[0:3], 0 offset:96
	v_cmp_lt_u32_e64 s[4:5], 24, v0
	s_waitcnt vmcnt(0)
	ds_write_b32 v58, v72
	s_waitcnt lgkmcnt(0)
	; wave barrier
	s_waitcnt lgkmcnt(0)
	s_and_saveexec_b64 s[10:11], s[4:5]
	s_cbranch_execz .LBB27_26
; %bb.17:
	s_andn2_b64 vcc, exec, s[8:9]
	s_cbranch_vccnz .LBB27_19
; %bb.18:
	buffer_load_dword v72, v59, s[0:3], 0 offen
	ds_read_b32 v73, v58
	s_waitcnt vmcnt(0) lgkmcnt(0)
	v_mul_f32_e32 v72, v72, v73
	s_cbranch_execz .LBB27_20
	s_branch .LBB27_21
.LBB27_19:
                                        ; implicit-def: $vgpr72
.LBB27_20:
	ds_read_b32 v72, v58
.LBB27_21:
	s_and_saveexec_b64 s[12:13], s[6:7]
	s_cbranch_execz .LBB27_25
; %bb.22:
	v_mov_b32_e32 v73, 0
	v_add_u32_e32 v73, 0x64, v73
	v_subrev_u32_e32 v74, 25, v0
	s_movk_i32 s14, 0xd4
	s_mov_b64 s[6:7], 0
.LBB27_23:                              ; =>This Inner Loop Header: Depth=1
	buffer_load_dword v75, v73, s[0:3], 0 offen
	v_mov_b32_e32 v76, s14
	ds_read_b32 v76, v76
	v_add_u32_e32 v74, -1, v74
	s_add_i32 s14, s14, 4
	v_cmp_eq_u32_e32 vcc, 0, v74
	v_add_u32_e32 v73, 4, v73
	s_or_b64 s[6:7], vcc, s[6:7]
	s_waitcnt vmcnt(0) lgkmcnt(0)
	v_fmac_f32_e32 v72, v75, v76
	s_andn2_b64 exec, exec, s[6:7]
	s_cbranch_execnz .LBB27_23
; %bb.24:
	s_or_b64 exec, exec, s[6:7]
.LBB27_25:
	s_or_b64 exec, exec, s[12:13]
	v_mov_b32_e32 v73, 0
	ds_read_b32 v73, v73 offset:96
	s_waitcnt lgkmcnt(0)
	v_mul_f32_e32 v72, v72, v73
	buffer_store_dword v72, off, s[0:3], 0 offset:96
.LBB27_26:
	s_or_b64 exec, exec, s[10:11]
	buffer_load_dword v72, off, s[0:3], 0 offset:92
	v_cmp_lt_u32_e64 s[6:7], 23, v0
	s_waitcnt vmcnt(0)
	ds_write_b32 v58, v72
	s_waitcnt lgkmcnt(0)
	; wave barrier
	s_waitcnt lgkmcnt(0)
	s_and_saveexec_b64 s[10:11], s[6:7]
	s_cbranch_execz .LBB27_36
; %bb.27:
	s_andn2_b64 vcc, exec, s[8:9]
	s_cbranch_vccnz .LBB27_29
; %bb.28:
	buffer_load_dword v72, v59, s[0:3], 0 offen
	ds_read_b32 v73, v58
	s_waitcnt vmcnt(0) lgkmcnt(0)
	v_mul_f32_e32 v72, v72, v73
	s_cbranch_execz .LBB27_30
	s_branch .LBB27_31
.LBB27_29:
                                        ; implicit-def: $vgpr72
.LBB27_30:
	ds_read_b32 v72, v58
.LBB27_31:
	s_and_saveexec_b64 s[12:13], s[4:5]
	s_cbranch_execz .LBB27_35
; %bb.32:
	v_subrev_u32_e32 v73, 24, v0
	s_movk_i32 s14, 0xd0
	s_mov_b64 s[4:5], 0
.LBB27_33:                              ; =>This Inner Loop Header: Depth=1
	buffer_load_dword v74, v71, s[0:3], 0 offen
	v_mov_b32_e32 v75, s14
	ds_read_b32 v75, v75
	v_add_u32_e32 v73, -1, v73
	s_add_i32 s14, s14, 4
	v_cmp_eq_u32_e32 vcc, 0, v73
	v_add_u32_e32 v71, 4, v71
	s_or_b64 s[4:5], vcc, s[4:5]
	s_waitcnt vmcnt(0) lgkmcnt(0)
	v_fmac_f32_e32 v72, v74, v75
	s_andn2_b64 exec, exec, s[4:5]
	s_cbranch_execnz .LBB27_33
; %bb.34:
	s_or_b64 exec, exec, s[4:5]
.LBB27_35:
	s_or_b64 exec, exec, s[12:13]
	v_mov_b32_e32 v71, 0
	ds_read_b32 v71, v71 offset:92
	s_waitcnt lgkmcnt(0)
	v_mul_f32_e32 v71, v72, v71
	buffer_store_dword v71, off, s[0:3], 0 offset:92
.LBB27_36:
	s_or_b64 exec, exec, s[10:11]
	buffer_load_dword v71, off, s[0:3], 0 offset:88
	v_cmp_lt_u32_e64 s[4:5], 22, v0
	s_waitcnt vmcnt(0)
	ds_write_b32 v58, v71
	s_waitcnt lgkmcnt(0)
	; wave barrier
	s_waitcnt lgkmcnt(0)
	s_and_saveexec_b64 s[10:11], s[4:5]
	s_cbranch_execz .LBB27_46
; %bb.37:
	s_andn2_b64 vcc, exec, s[8:9]
	s_cbranch_vccnz .LBB27_39
; %bb.38:
	buffer_load_dword v71, v59, s[0:3], 0 offen
	ds_read_b32 v72, v58
	s_waitcnt vmcnt(0) lgkmcnt(0)
	v_mul_f32_e32 v71, v71, v72
	s_cbranch_execz .LBB27_40
	s_branch .LBB27_41
.LBB27_39:
                                        ; implicit-def: $vgpr71
.LBB27_40:
	ds_read_b32 v71, v58
.LBB27_41:
	s_and_saveexec_b64 s[12:13], s[6:7]
	s_cbranch_execz .LBB27_45
; %bb.42:
	v_mov_b32_e32 v72, 0
	v_add_u32_e32 v72, 0x5c, v72
	v_subrev_u32_e32 v73, 23, v0
	s_movk_i32 s14, 0xcc
	s_mov_b64 s[6:7], 0
.LBB27_43:                              ; =>This Inner Loop Header: Depth=1
	buffer_load_dword v74, v72, s[0:3], 0 offen
	v_mov_b32_e32 v75, s14
	ds_read_b32 v75, v75
	v_add_u32_e32 v73, -1, v73
	s_add_i32 s14, s14, 4
	v_cmp_eq_u32_e32 vcc, 0, v73
	v_add_u32_e32 v72, 4, v72
	s_or_b64 s[6:7], vcc, s[6:7]
	s_waitcnt vmcnt(0) lgkmcnt(0)
	v_fmac_f32_e32 v71, v74, v75
	s_andn2_b64 exec, exec, s[6:7]
	s_cbranch_execnz .LBB27_43
; %bb.44:
	s_or_b64 exec, exec, s[6:7]
.LBB27_45:
	s_or_b64 exec, exec, s[12:13]
	v_mov_b32_e32 v72, 0
	ds_read_b32 v72, v72 offset:88
	s_waitcnt lgkmcnt(0)
	v_mul_f32_e32 v71, v71, v72
	buffer_store_dword v71, off, s[0:3], 0 offset:88
.LBB27_46:
	s_or_b64 exec, exec, s[10:11]
	buffer_load_dword v71, off, s[0:3], 0 offset:84
	v_cmp_lt_u32_e64 s[6:7], 21, v0
	s_waitcnt vmcnt(0)
	ds_write_b32 v58, v71
	s_waitcnt lgkmcnt(0)
	; wave barrier
	s_waitcnt lgkmcnt(0)
	s_and_saveexec_b64 s[10:11], s[6:7]
	s_cbranch_execz .LBB27_56
; %bb.47:
	s_andn2_b64 vcc, exec, s[8:9]
	s_cbranch_vccnz .LBB27_49
; %bb.48:
	buffer_load_dword v71, v59, s[0:3], 0 offen
	ds_read_b32 v72, v58
	s_waitcnt vmcnt(0) lgkmcnt(0)
	v_mul_f32_e32 v71, v71, v72
	s_cbranch_execz .LBB27_50
	s_branch .LBB27_51
.LBB27_49:
                                        ; implicit-def: $vgpr71
.LBB27_50:
	ds_read_b32 v71, v58
.LBB27_51:
	s_and_saveexec_b64 s[12:13], s[4:5]
	s_cbranch_execz .LBB27_55
; %bb.52:
	v_subrev_u32_e32 v72, 22, v0
	s_movk_i32 s14, 0xc8
	s_mov_b64 s[4:5], 0
.LBB27_53:                              ; =>This Inner Loop Header: Depth=1
	buffer_load_dword v73, v70, s[0:3], 0 offen
	v_mov_b32_e32 v74, s14
	ds_read_b32 v74, v74
	v_add_u32_e32 v72, -1, v72
	s_add_i32 s14, s14, 4
	v_cmp_eq_u32_e32 vcc, 0, v72
	v_add_u32_e32 v70, 4, v70
	s_or_b64 s[4:5], vcc, s[4:5]
	s_waitcnt vmcnt(0) lgkmcnt(0)
	v_fmac_f32_e32 v71, v73, v74
	s_andn2_b64 exec, exec, s[4:5]
	s_cbranch_execnz .LBB27_53
; %bb.54:
	s_or_b64 exec, exec, s[4:5]
.LBB27_55:
	s_or_b64 exec, exec, s[12:13]
	v_mov_b32_e32 v70, 0
	ds_read_b32 v70, v70 offset:84
	s_waitcnt lgkmcnt(0)
	v_mul_f32_e32 v70, v71, v70
	buffer_store_dword v70, off, s[0:3], 0 offset:84
.LBB27_56:
	s_or_b64 exec, exec, s[10:11]
	buffer_load_dword v70, off, s[0:3], 0 offset:80
	v_cmp_lt_u32_e64 s[4:5], 20, v0
	s_waitcnt vmcnt(0)
	ds_write_b32 v58, v70
	s_waitcnt lgkmcnt(0)
	; wave barrier
	s_waitcnt lgkmcnt(0)
	s_and_saveexec_b64 s[10:11], s[4:5]
	s_cbranch_execz .LBB27_66
; %bb.57:
	s_andn2_b64 vcc, exec, s[8:9]
	s_cbranch_vccnz .LBB27_59
; %bb.58:
	buffer_load_dword v70, v59, s[0:3], 0 offen
	ds_read_b32 v71, v58
	s_waitcnt vmcnt(0) lgkmcnt(0)
	v_mul_f32_e32 v70, v70, v71
	s_cbranch_execz .LBB27_60
	s_branch .LBB27_61
.LBB27_59:
                                        ; implicit-def: $vgpr70
.LBB27_60:
	ds_read_b32 v70, v58
.LBB27_61:
	s_and_saveexec_b64 s[12:13], s[6:7]
	s_cbranch_execz .LBB27_65
; %bb.62:
	v_mov_b32_e32 v71, 0
	v_add_u32_e32 v71, 0x54, v71
	v_subrev_u32_e32 v72, 21, v0
	s_movk_i32 s14, 0xc4
	s_mov_b64 s[6:7], 0
.LBB27_63:                              ; =>This Inner Loop Header: Depth=1
	buffer_load_dword v73, v71, s[0:3], 0 offen
	v_mov_b32_e32 v74, s14
	ds_read_b32 v74, v74
	v_add_u32_e32 v72, -1, v72
	s_add_i32 s14, s14, 4
	v_cmp_eq_u32_e32 vcc, 0, v72
	v_add_u32_e32 v71, 4, v71
	s_or_b64 s[6:7], vcc, s[6:7]
	s_waitcnt vmcnt(0) lgkmcnt(0)
	v_fmac_f32_e32 v70, v73, v74
	s_andn2_b64 exec, exec, s[6:7]
	s_cbranch_execnz .LBB27_63
; %bb.64:
	s_or_b64 exec, exec, s[6:7]
.LBB27_65:
	s_or_b64 exec, exec, s[12:13]
	v_mov_b32_e32 v71, 0
	ds_read_b32 v71, v71 offset:80
	s_waitcnt lgkmcnt(0)
	v_mul_f32_e32 v70, v70, v71
	buffer_store_dword v70, off, s[0:3], 0 offset:80
.LBB27_66:
	s_or_b64 exec, exec, s[10:11]
	buffer_load_dword v70, off, s[0:3], 0 offset:76
	v_cmp_lt_u32_e64 s[6:7], 19, v0
	s_waitcnt vmcnt(0)
	ds_write_b32 v58, v70
	s_waitcnt lgkmcnt(0)
	; wave barrier
	s_waitcnt lgkmcnt(0)
	s_and_saveexec_b64 s[10:11], s[6:7]
	s_cbranch_execz .LBB27_76
; %bb.67:
	s_andn2_b64 vcc, exec, s[8:9]
	s_cbranch_vccnz .LBB27_69
; %bb.68:
	buffer_load_dword v70, v59, s[0:3], 0 offen
	ds_read_b32 v71, v58
	s_waitcnt vmcnt(0) lgkmcnt(0)
	v_mul_f32_e32 v70, v70, v71
	s_cbranch_execz .LBB27_70
	s_branch .LBB27_71
.LBB27_69:
                                        ; implicit-def: $vgpr70
.LBB27_70:
	ds_read_b32 v70, v58
.LBB27_71:
	s_and_saveexec_b64 s[12:13], s[4:5]
	s_cbranch_execz .LBB27_75
; %bb.72:
	v_subrev_u32_e32 v71, 20, v0
	s_movk_i32 s14, 0xc0
	s_mov_b64 s[4:5], 0
.LBB27_73:                              ; =>This Inner Loop Header: Depth=1
	buffer_load_dword v72, v69, s[0:3], 0 offen
	v_mov_b32_e32 v73, s14
	ds_read_b32 v73, v73
	v_add_u32_e32 v71, -1, v71
	s_add_i32 s14, s14, 4
	v_cmp_eq_u32_e32 vcc, 0, v71
	v_add_u32_e32 v69, 4, v69
	s_or_b64 s[4:5], vcc, s[4:5]
	s_waitcnt vmcnt(0) lgkmcnt(0)
	v_fmac_f32_e32 v70, v72, v73
	s_andn2_b64 exec, exec, s[4:5]
	s_cbranch_execnz .LBB27_73
; %bb.74:
	s_or_b64 exec, exec, s[4:5]
.LBB27_75:
	s_or_b64 exec, exec, s[12:13]
	v_mov_b32_e32 v69, 0
	ds_read_b32 v69, v69 offset:76
	s_waitcnt lgkmcnt(0)
	v_mul_f32_e32 v69, v70, v69
	buffer_store_dword v69, off, s[0:3], 0 offset:76
.LBB27_76:
	s_or_b64 exec, exec, s[10:11]
	buffer_load_dword v69, off, s[0:3], 0 offset:72
	v_cmp_lt_u32_e64 s[4:5], 18, v0
	s_waitcnt vmcnt(0)
	ds_write_b32 v58, v69
	s_waitcnt lgkmcnt(0)
	; wave barrier
	s_waitcnt lgkmcnt(0)
	s_and_saveexec_b64 s[10:11], s[4:5]
	s_cbranch_execz .LBB27_86
; %bb.77:
	s_andn2_b64 vcc, exec, s[8:9]
	s_cbranch_vccnz .LBB27_79
; %bb.78:
	buffer_load_dword v69, v59, s[0:3], 0 offen
	ds_read_b32 v70, v58
	s_waitcnt vmcnt(0) lgkmcnt(0)
	v_mul_f32_e32 v69, v69, v70
	s_cbranch_execz .LBB27_80
	s_branch .LBB27_81
.LBB27_79:
                                        ; implicit-def: $vgpr69
.LBB27_80:
	ds_read_b32 v69, v58
.LBB27_81:
	s_and_saveexec_b64 s[12:13], s[6:7]
	s_cbranch_execz .LBB27_85
; %bb.82:
	v_mov_b32_e32 v70, 0
	v_add_u32_e32 v70, 0x4c, v70
	v_subrev_u32_e32 v71, 19, v0
	s_movk_i32 s14, 0xbc
	s_mov_b64 s[6:7], 0
.LBB27_83:                              ; =>This Inner Loop Header: Depth=1
	buffer_load_dword v72, v70, s[0:3], 0 offen
	v_mov_b32_e32 v73, s14
	ds_read_b32 v73, v73
	v_add_u32_e32 v71, -1, v71
	s_add_i32 s14, s14, 4
	v_cmp_eq_u32_e32 vcc, 0, v71
	v_add_u32_e32 v70, 4, v70
	s_or_b64 s[6:7], vcc, s[6:7]
	s_waitcnt vmcnt(0) lgkmcnt(0)
	v_fmac_f32_e32 v69, v72, v73
	s_andn2_b64 exec, exec, s[6:7]
	s_cbranch_execnz .LBB27_83
; %bb.84:
	s_or_b64 exec, exec, s[6:7]
.LBB27_85:
	s_or_b64 exec, exec, s[12:13]
	v_mov_b32_e32 v70, 0
	ds_read_b32 v70, v70 offset:72
	s_waitcnt lgkmcnt(0)
	v_mul_f32_e32 v69, v69, v70
	buffer_store_dword v69, off, s[0:3], 0 offset:72
.LBB27_86:
	s_or_b64 exec, exec, s[10:11]
	buffer_load_dword v69, off, s[0:3], 0 offset:68
	v_cmp_lt_u32_e64 s[6:7], 17, v0
	s_waitcnt vmcnt(0)
	ds_write_b32 v58, v69
	s_waitcnt lgkmcnt(0)
	; wave barrier
	s_waitcnt lgkmcnt(0)
	s_and_saveexec_b64 s[10:11], s[6:7]
	s_cbranch_execz .LBB27_96
; %bb.87:
	s_andn2_b64 vcc, exec, s[8:9]
	s_cbranch_vccnz .LBB27_89
; %bb.88:
	buffer_load_dword v69, v59, s[0:3], 0 offen
	ds_read_b32 v70, v58
	s_waitcnt vmcnt(0) lgkmcnt(0)
	v_mul_f32_e32 v69, v69, v70
	s_cbranch_execz .LBB27_90
	s_branch .LBB27_91
.LBB27_89:
                                        ; implicit-def: $vgpr69
.LBB27_90:
	ds_read_b32 v69, v58
.LBB27_91:
	s_and_saveexec_b64 s[12:13], s[4:5]
	s_cbranch_execz .LBB27_95
; %bb.92:
	v_subrev_u32_e32 v70, 18, v0
	s_movk_i32 s14, 0xb8
	s_mov_b64 s[4:5], 0
.LBB27_93:                              ; =>This Inner Loop Header: Depth=1
	buffer_load_dword v71, v68, s[0:3], 0 offen
	v_mov_b32_e32 v72, s14
	ds_read_b32 v72, v72
	v_add_u32_e32 v70, -1, v70
	s_add_i32 s14, s14, 4
	v_cmp_eq_u32_e32 vcc, 0, v70
	v_add_u32_e32 v68, 4, v68
	s_or_b64 s[4:5], vcc, s[4:5]
	s_waitcnt vmcnt(0) lgkmcnt(0)
	v_fmac_f32_e32 v69, v71, v72
	s_andn2_b64 exec, exec, s[4:5]
	s_cbranch_execnz .LBB27_93
; %bb.94:
	s_or_b64 exec, exec, s[4:5]
.LBB27_95:
	s_or_b64 exec, exec, s[12:13]
	v_mov_b32_e32 v68, 0
	ds_read_b32 v68, v68 offset:68
	s_waitcnt lgkmcnt(0)
	v_mul_f32_e32 v68, v69, v68
	buffer_store_dword v68, off, s[0:3], 0 offset:68
.LBB27_96:
	s_or_b64 exec, exec, s[10:11]
	buffer_load_dword v68, off, s[0:3], 0 offset:64
	v_cmp_lt_u32_e64 s[4:5], 16, v0
	s_waitcnt vmcnt(0)
	ds_write_b32 v58, v68
	s_waitcnt lgkmcnt(0)
	; wave barrier
	s_waitcnt lgkmcnt(0)
	s_and_saveexec_b64 s[10:11], s[4:5]
	s_cbranch_execz .LBB27_106
; %bb.97:
	s_andn2_b64 vcc, exec, s[8:9]
	s_cbranch_vccnz .LBB27_99
; %bb.98:
	buffer_load_dword v68, v59, s[0:3], 0 offen
	ds_read_b32 v69, v58
	s_waitcnt vmcnt(0) lgkmcnt(0)
	v_mul_f32_e32 v68, v68, v69
	s_cbranch_execz .LBB27_100
	s_branch .LBB27_101
.LBB27_99:
                                        ; implicit-def: $vgpr68
.LBB27_100:
	ds_read_b32 v68, v58
.LBB27_101:
	s_and_saveexec_b64 s[12:13], s[6:7]
	s_cbranch_execz .LBB27_105
; %bb.102:
	v_mov_b32_e32 v69, 0
	v_add_u32_e32 v69, 0x44, v69
	v_subrev_u32_e32 v70, 17, v0
	s_movk_i32 s14, 0xb4
	s_mov_b64 s[6:7], 0
.LBB27_103:                             ; =>This Inner Loop Header: Depth=1
	buffer_load_dword v71, v69, s[0:3], 0 offen
	v_mov_b32_e32 v72, s14
	ds_read_b32 v72, v72
	v_add_u32_e32 v70, -1, v70
	s_add_i32 s14, s14, 4
	v_cmp_eq_u32_e32 vcc, 0, v70
	v_add_u32_e32 v69, 4, v69
	s_or_b64 s[6:7], vcc, s[6:7]
	s_waitcnt vmcnt(0) lgkmcnt(0)
	v_fmac_f32_e32 v68, v71, v72
	s_andn2_b64 exec, exec, s[6:7]
	s_cbranch_execnz .LBB27_103
; %bb.104:
	s_or_b64 exec, exec, s[6:7]
.LBB27_105:
	s_or_b64 exec, exec, s[12:13]
	v_mov_b32_e32 v69, 0
	ds_read_b32 v69, v69 offset:64
	s_waitcnt lgkmcnt(0)
	v_mul_f32_e32 v68, v68, v69
	buffer_store_dword v68, off, s[0:3], 0 offset:64
.LBB27_106:
	s_or_b64 exec, exec, s[10:11]
	buffer_load_dword v68, off, s[0:3], 0 offset:60
	v_cmp_lt_u32_e64 s[6:7], 15, v0
	s_waitcnt vmcnt(0)
	ds_write_b32 v58, v68
	s_waitcnt lgkmcnt(0)
	; wave barrier
	s_waitcnt lgkmcnt(0)
	s_and_saveexec_b64 s[10:11], s[6:7]
	s_cbranch_execz .LBB27_116
; %bb.107:
	s_andn2_b64 vcc, exec, s[8:9]
	s_cbranch_vccnz .LBB27_109
; %bb.108:
	buffer_load_dword v68, v59, s[0:3], 0 offen
	ds_read_b32 v69, v58
	s_waitcnt vmcnt(0) lgkmcnt(0)
	v_mul_f32_e32 v68, v68, v69
	s_cbranch_execz .LBB27_110
	s_branch .LBB27_111
.LBB27_109:
                                        ; implicit-def: $vgpr68
.LBB27_110:
	ds_read_b32 v68, v58
.LBB27_111:
	s_and_saveexec_b64 s[12:13], s[4:5]
	s_cbranch_execz .LBB27_115
; %bb.112:
	v_add_u32_e32 v69, -16, v0
	s_movk_i32 s14, 0xb0
	s_mov_b64 s[4:5], 0
.LBB27_113:                             ; =>This Inner Loop Header: Depth=1
	buffer_load_dword v70, v67, s[0:3], 0 offen
	v_mov_b32_e32 v71, s14
	ds_read_b32 v71, v71
	v_add_u32_e32 v69, -1, v69
	s_add_i32 s14, s14, 4
	v_cmp_eq_u32_e32 vcc, 0, v69
	v_add_u32_e32 v67, 4, v67
	s_or_b64 s[4:5], vcc, s[4:5]
	s_waitcnt vmcnt(0) lgkmcnt(0)
	v_fmac_f32_e32 v68, v70, v71
	s_andn2_b64 exec, exec, s[4:5]
	s_cbranch_execnz .LBB27_113
; %bb.114:
	s_or_b64 exec, exec, s[4:5]
.LBB27_115:
	s_or_b64 exec, exec, s[12:13]
	v_mov_b32_e32 v67, 0
	ds_read_b32 v67, v67 offset:60
	s_waitcnt lgkmcnt(0)
	v_mul_f32_e32 v67, v68, v67
	buffer_store_dword v67, off, s[0:3], 0 offset:60
.LBB27_116:
	s_or_b64 exec, exec, s[10:11]
	buffer_load_dword v67, off, s[0:3], 0 offset:56
	v_cmp_lt_u32_e64 s[4:5], 14, v0
	s_waitcnt vmcnt(0)
	ds_write_b32 v58, v67
	s_waitcnt lgkmcnt(0)
	; wave barrier
	s_waitcnt lgkmcnt(0)
	s_and_saveexec_b64 s[10:11], s[4:5]
	s_cbranch_execz .LBB27_126
; %bb.117:
	s_andn2_b64 vcc, exec, s[8:9]
	s_cbranch_vccnz .LBB27_119
; %bb.118:
	buffer_load_dword v67, v59, s[0:3], 0 offen
	ds_read_b32 v68, v58
	s_waitcnt vmcnt(0) lgkmcnt(0)
	v_mul_f32_e32 v67, v67, v68
	s_cbranch_execz .LBB27_120
	s_branch .LBB27_121
.LBB27_119:
                                        ; implicit-def: $vgpr67
.LBB27_120:
	ds_read_b32 v67, v58
.LBB27_121:
	s_and_saveexec_b64 s[12:13], s[6:7]
	s_cbranch_execz .LBB27_125
; %bb.122:
	v_mov_b32_e32 v68, 0
	v_add_u32_e32 v68, 60, v68
	v_add_u32_e32 v69, -15, v0
	s_movk_i32 s14, 0xac
	s_mov_b64 s[6:7], 0
.LBB27_123:                             ; =>This Inner Loop Header: Depth=1
	buffer_load_dword v70, v68, s[0:3], 0 offen
	v_mov_b32_e32 v71, s14
	ds_read_b32 v71, v71
	v_add_u32_e32 v69, -1, v69
	s_add_i32 s14, s14, 4
	v_cmp_eq_u32_e32 vcc, 0, v69
	v_add_u32_e32 v68, 4, v68
	s_or_b64 s[6:7], vcc, s[6:7]
	s_waitcnt vmcnt(0) lgkmcnt(0)
	v_fmac_f32_e32 v67, v70, v71
	s_andn2_b64 exec, exec, s[6:7]
	s_cbranch_execnz .LBB27_123
; %bb.124:
	s_or_b64 exec, exec, s[6:7]
.LBB27_125:
	s_or_b64 exec, exec, s[12:13]
	v_mov_b32_e32 v68, 0
	ds_read_b32 v68, v68 offset:56
	s_waitcnt lgkmcnt(0)
	v_mul_f32_e32 v67, v67, v68
	buffer_store_dword v67, off, s[0:3], 0 offset:56
.LBB27_126:
	s_or_b64 exec, exec, s[10:11]
	buffer_load_dword v67, off, s[0:3], 0 offset:52
	v_cmp_lt_u32_e64 s[6:7], 13, v0
	s_waitcnt vmcnt(0)
	ds_write_b32 v58, v67
	s_waitcnt lgkmcnt(0)
	; wave barrier
	s_waitcnt lgkmcnt(0)
	s_and_saveexec_b64 s[10:11], s[6:7]
	s_cbranch_execz .LBB27_136
; %bb.127:
	s_andn2_b64 vcc, exec, s[8:9]
	s_cbranch_vccnz .LBB27_129
; %bb.128:
	buffer_load_dword v67, v59, s[0:3], 0 offen
	ds_read_b32 v68, v58
	s_waitcnt vmcnt(0) lgkmcnt(0)
	v_mul_f32_e32 v67, v67, v68
	s_cbranch_execz .LBB27_130
	s_branch .LBB27_131
.LBB27_129:
                                        ; implicit-def: $vgpr67
.LBB27_130:
	ds_read_b32 v67, v58
.LBB27_131:
	s_and_saveexec_b64 s[12:13], s[4:5]
	s_cbranch_execz .LBB27_135
; %bb.132:
	v_add_u32_e32 v68, -14, v0
	s_movk_i32 s14, 0xa8
	s_mov_b64 s[4:5], 0
.LBB27_133:                             ; =>This Inner Loop Header: Depth=1
	buffer_load_dword v69, v66, s[0:3], 0 offen
	v_mov_b32_e32 v70, s14
	ds_read_b32 v70, v70
	v_add_u32_e32 v68, -1, v68
	s_add_i32 s14, s14, 4
	v_cmp_eq_u32_e32 vcc, 0, v68
	v_add_u32_e32 v66, 4, v66
	s_or_b64 s[4:5], vcc, s[4:5]
	s_waitcnt vmcnt(0) lgkmcnt(0)
	v_fmac_f32_e32 v67, v69, v70
	s_andn2_b64 exec, exec, s[4:5]
	s_cbranch_execnz .LBB27_133
; %bb.134:
	s_or_b64 exec, exec, s[4:5]
.LBB27_135:
	s_or_b64 exec, exec, s[12:13]
	v_mov_b32_e32 v66, 0
	ds_read_b32 v66, v66 offset:52
	s_waitcnt lgkmcnt(0)
	v_mul_f32_e32 v66, v67, v66
	buffer_store_dword v66, off, s[0:3], 0 offset:52
.LBB27_136:
	s_or_b64 exec, exec, s[10:11]
	buffer_load_dword v66, off, s[0:3], 0 offset:48
	v_cmp_lt_u32_e64 s[4:5], 12, v0
	s_waitcnt vmcnt(0)
	ds_write_b32 v58, v66
	s_waitcnt lgkmcnt(0)
	; wave barrier
	s_waitcnt lgkmcnt(0)
	s_and_saveexec_b64 s[10:11], s[4:5]
	s_cbranch_execz .LBB27_146
; %bb.137:
	s_andn2_b64 vcc, exec, s[8:9]
	s_cbranch_vccnz .LBB27_139
; %bb.138:
	buffer_load_dword v66, v59, s[0:3], 0 offen
	ds_read_b32 v67, v58
	s_waitcnt vmcnt(0) lgkmcnt(0)
	v_mul_f32_e32 v66, v66, v67
	s_cbranch_execz .LBB27_140
	s_branch .LBB27_141
.LBB27_139:
                                        ; implicit-def: $vgpr66
.LBB27_140:
	ds_read_b32 v66, v58
.LBB27_141:
	s_and_saveexec_b64 s[12:13], s[6:7]
	s_cbranch_execz .LBB27_145
; %bb.142:
	v_mov_b32_e32 v67, 0
	v_add_u32_e32 v67, 52, v67
	v_add_u32_e32 v68, -13, v0
	s_movk_i32 s14, 0xa4
	s_mov_b64 s[6:7], 0
.LBB27_143:                             ; =>This Inner Loop Header: Depth=1
	buffer_load_dword v69, v67, s[0:3], 0 offen
	v_mov_b32_e32 v70, s14
	ds_read_b32 v70, v70
	v_add_u32_e32 v68, -1, v68
	s_add_i32 s14, s14, 4
	v_cmp_eq_u32_e32 vcc, 0, v68
	v_add_u32_e32 v67, 4, v67
	s_or_b64 s[6:7], vcc, s[6:7]
	s_waitcnt vmcnt(0) lgkmcnt(0)
	v_fmac_f32_e32 v66, v69, v70
	s_andn2_b64 exec, exec, s[6:7]
	s_cbranch_execnz .LBB27_143
; %bb.144:
	s_or_b64 exec, exec, s[6:7]
.LBB27_145:
	s_or_b64 exec, exec, s[12:13]
	v_mov_b32_e32 v67, 0
	ds_read_b32 v67, v67 offset:48
	s_waitcnt lgkmcnt(0)
	v_mul_f32_e32 v66, v66, v67
	buffer_store_dword v66, off, s[0:3], 0 offset:48
.LBB27_146:
	s_or_b64 exec, exec, s[10:11]
	buffer_load_dword v66, off, s[0:3], 0 offset:44
	v_cmp_lt_u32_e64 s[6:7], 11, v0
	s_waitcnt vmcnt(0)
	ds_write_b32 v58, v66
	s_waitcnt lgkmcnt(0)
	; wave barrier
	s_waitcnt lgkmcnt(0)
	s_and_saveexec_b64 s[10:11], s[6:7]
	s_cbranch_execz .LBB27_156
; %bb.147:
	s_andn2_b64 vcc, exec, s[8:9]
	s_cbranch_vccnz .LBB27_149
; %bb.148:
	buffer_load_dword v66, v59, s[0:3], 0 offen
	ds_read_b32 v67, v58
	s_waitcnt vmcnt(0) lgkmcnt(0)
	v_mul_f32_e32 v66, v66, v67
	s_cbranch_execz .LBB27_150
	s_branch .LBB27_151
.LBB27_149:
                                        ; implicit-def: $vgpr66
.LBB27_150:
	ds_read_b32 v66, v58
.LBB27_151:
	s_and_saveexec_b64 s[12:13], s[4:5]
	s_cbranch_execz .LBB27_155
; %bb.152:
	v_add_u32_e32 v67, -12, v0
	s_movk_i32 s14, 0xa0
	s_mov_b64 s[4:5], 0
.LBB27_153:                             ; =>This Inner Loop Header: Depth=1
	buffer_load_dword v68, v65, s[0:3], 0 offen
	v_mov_b32_e32 v69, s14
	ds_read_b32 v69, v69
	v_add_u32_e32 v67, -1, v67
	s_add_i32 s14, s14, 4
	v_cmp_eq_u32_e32 vcc, 0, v67
	v_add_u32_e32 v65, 4, v65
	s_or_b64 s[4:5], vcc, s[4:5]
	s_waitcnt vmcnt(0) lgkmcnt(0)
	v_fmac_f32_e32 v66, v68, v69
	s_andn2_b64 exec, exec, s[4:5]
	s_cbranch_execnz .LBB27_153
; %bb.154:
	s_or_b64 exec, exec, s[4:5]
.LBB27_155:
	s_or_b64 exec, exec, s[12:13]
	v_mov_b32_e32 v65, 0
	ds_read_b32 v65, v65 offset:44
	s_waitcnt lgkmcnt(0)
	v_mul_f32_e32 v65, v66, v65
	buffer_store_dword v65, off, s[0:3], 0 offset:44
.LBB27_156:
	s_or_b64 exec, exec, s[10:11]
	buffer_load_dword v65, off, s[0:3], 0 offset:40
	v_cmp_lt_u32_e64 s[4:5], 10, v0
	s_waitcnt vmcnt(0)
	ds_write_b32 v58, v65
	s_waitcnt lgkmcnt(0)
	; wave barrier
	s_waitcnt lgkmcnt(0)
	s_and_saveexec_b64 s[10:11], s[4:5]
	s_cbranch_execz .LBB27_166
; %bb.157:
	s_andn2_b64 vcc, exec, s[8:9]
	s_cbranch_vccnz .LBB27_159
; %bb.158:
	buffer_load_dword v65, v59, s[0:3], 0 offen
	ds_read_b32 v66, v58
	s_waitcnt vmcnt(0) lgkmcnt(0)
	v_mul_f32_e32 v65, v65, v66
	s_cbranch_execz .LBB27_160
	s_branch .LBB27_161
.LBB27_159:
                                        ; implicit-def: $vgpr65
.LBB27_160:
	ds_read_b32 v65, v58
.LBB27_161:
	s_and_saveexec_b64 s[12:13], s[6:7]
	s_cbranch_execz .LBB27_165
; %bb.162:
	v_mov_b32_e32 v66, 0
	v_add_u32_e32 v66, 44, v66
	v_add_u32_e32 v67, -11, v0
	s_movk_i32 s14, 0x9c
	s_mov_b64 s[6:7], 0
.LBB27_163:                             ; =>This Inner Loop Header: Depth=1
	buffer_load_dword v68, v66, s[0:3], 0 offen
	v_mov_b32_e32 v69, s14
	ds_read_b32 v69, v69
	v_add_u32_e32 v67, -1, v67
	s_add_i32 s14, s14, 4
	v_cmp_eq_u32_e32 vcc, 0, v67
	v_add_u32_e32 v66, 4, v66
	s_or_b64 s[6:7], vcc, s[6:7]
	s_waitcnt vmcnt(0) lgkmcnt(0)
	v_fmac_f32_e32 v65, v68, v69
	s_andn2_b64 exec, exec, s[6:7]
	s_cbranch_execnz .LBB27_163
; %bb.164:
	s_or_b64 exec, exec, s[6:7]
.LBB27_165:
	s_or_b64 exec, exec, s[12:13]
	v_mov_b32_e32 v66, 0
	ds_read_b32 v66, v66 offset:40
	s_waitcnt lgkmcnt(0)
	v_mul_f32_e32 v65, v65, v66
	buffer_store_dword v65, off, s[0:3], 0 offset:40
.LBB27_166:
	s_or_b64 exec, exec, s[10:11]
	buffer_load_dword v65, off, s[0:3], 0 offset:36
	v_cmp_lt_u32_e64 s[6:7], 9, v0
	s_waitcnt vmcnt(0)
	ds_write_b32 v58, v65
	s_waitcnt lgkmcnt(0)
	; wave barrier
	s_waitcnt lgkmcnt(0)
	s_and_saveexec_b64 s[10:11], s[6:7]
	s_cbranch_execz .LBB27_176
; %bb.167:
	s_andn2_b64 vcc, exec, s[8:9]
	s_cbranch_vccnz .LBB27_169
; %bb.168:
	buffer_load_dword v65, v59, s[0:3], 0 offen
	ds_read_b32 v66, v58
	s_waitcnt vmcnt(0) lgkmcnt(0)
	v_mul_f32_e32 v65, v65, v66
	s_cbranch_execz .LBB27_170
	s_branch .LBB27_171
.LBB27_169:
                                        ; implicit-def: $vgpr65
.LBB27_170:
	ds_read_b32 v65, v58
.LBB27_171:
	s_and_saveexec_b64 s[12:13], s[4:5]
	s_cbranch_execz .LBB27_175
; %bb.172:
	v_add_u32_e32 v66, -10, v0
	s_movk_i32 s14, 0x98
	s_mov_b64 s[4:5], 0
.LBB27_173:                             ; =>This Inner Loop Header: Depth=1
	buffer_load_dword v67, v64, s[0:3], 0 offen
	v_mov_b32_e32 v68, s14
	ds_read_b32 v68, v68
	v_add_u32_e32 v66, -1, v66
	s_add_i32 s14, s14, 4
	v_cmp_eq_u32_e32 vcc, 0, v66
	v_add_u32_e32 v64, 4, v64
	s_or_b64 s[4:5], vcc, s[4:5]
	s_waitcnt vmcnt(0) lgkmcnt(0)
	v_fmac_f32_e32 v65, v67, v68
	s_andn2_b64 exec, exec, s[4:5]
	s_cbranch_execnz .LBB27_173
; %bb.174:
	s_or_b64 exec, exec, s[4:5]
.LBB27_175:
	s_or_b64 exec, exec, s[12:13]
	v_mov_b32_e32 v64, 0
	ds_read_b32 v64, v64 offset:36
	s_waitcnt lgkmcnt(0)
	v_mul_f32_e32 v64, v65, v64
	buffer_store_dword v64, off, s[0:3], 0 offset:36
.LBB27_176:
	s_or_b64 exec, exec, s[10:11]
	buffer_load_dword v64, off, s[0:3], 0 offset:32
	v_cmp_lt_u32_e64 s[4:5], 8, v0
	s_waitcnt vmcnt(0)
	ds_write_b32 v58, v64
	s_waitcnt lgkmcnt(0)
	; wave barrier
	s_waitcnt lgkmcnt(0)
	s_and_saveexec_b64 s[10:11], s[4:5]
	s_cbranch_execz .LBB27_186
; %bb.177:
	s_andn2_b64 vcc, exec, s[8:9]
	s_cbranch_vccnz .LBB27_179
; %bb.178:
	buffer_load_dword v64, v59, s[0:3], 0 offen
	ds_read_b32 v65, v58
	s_waitcnt vmcnt(0) lgkmcnt(0)
	v_mul_f32_e32 v64, v64, v65
	s_cbranch_execz .LBB27_180
	s_branch .LBB27_181
.LBB27_179:
                                        ; implicit-def: $vgpr64
.LBB27_180:
	ds_read_b32 v64, v58
.LBB27_181:
	s_and_saveexec_b64 s[12:13], s[6:7]
	s_cbranch_execz .LBB27_185
; %bb.182:
	v_mov_b32_e32 v65, 0
	v_add_u32_e32 v65, 36, v65
	v_add_u32_e32 v66, -9, v0
	s_movk_i32 s14, 0x94
	s_mov_b64 s[6:7], 0
.LBB27_183:                             ; =>This Inner Loop Header: Depth=1
	buffer_load_dword v67, v65, s[0:3], 0 offen
	v_mov_b32_e32 v68, s14
	ds_read_b32 v68, v68
	v_add_u32_e32 v66, -1, v66
	s_add_i32 s14, s14, 4
	v_cmp_eq_u32_e32 vcc, 0, v66
	v_add_u32_e32 v65, 4, v65
	s_or_b64 s[6:7], vcc, s[6:7]
	s_waitcnt vmcnt(0) lgkmcnt(0)
	v_fmac_f32_e32 v64, v67, v68
	s_andn2_b64 exec, exec, s[6:7]
	s_cbranch_execnz .LBB27_183
; %bb.184:
	s_or_b64 exec, exec, s[6:7]
.LBB27_185:
	s_or_b64 exec, exec, s[12:13]
	v_mov_b32_e32 v65, 0
	ds_read_b32 v65, v65 offset:32
	s_waitcnt lgkmcnt(0)
	v_mul_f32_e32 v64, v64, v65
	buffer_store_dword v64, off, s[0:3], 0 offset:32
.LBB27_186:
	s_or_b64 exec, exec, s[10:11]
	buffer_load_dword v64, off, s[0:3], 0 offset:28
	v_cmp_lt_u32_e64 s[6:7], 7, v0
	s_waitcnt vmcnt(0)
	ds_write_b32 v58, v64
	s_waitcnt lgkmcnt(0)
	; wave barrier
	s_waitcnt lgkmcnt(0)
	s_and_saveexec_b64 s[10:11], s[6:7]
	s_cbranch_execz .LBB27_196
; %bb.187:
	s_andn2_b64 vcc, exec, s[8:9]
	s_cbranch_vccnz .LBB27_189
; %bb.188:
	buffer_load_dword v64, v59, s[0:3], 0 offen
	ds_read_b32 v65, v58
	s_waitcnt vmcnt(0) lgkmcnt(0)
	v_mul_f32_e32 v64, v64, v65
	s_cbranch_execz .LBB27_190
	s_branch .LBB27_191
.LBB27_189:
                                        ; implicit-def: $vgpr64
.LBB27_190:
	ds_read_b32 v64, v58
.LBB27_191:
	s_and_saveexec_b64 s[12:13], s[4:5]
	s_cbranch_execz .LBB27_195
; %bb.192:
	v_add_u32_e32 v65, -8, v0
	s_movk_i32 s14, 0x90
	s_mov_b64 s[4:5], 0
.LBB27_193:                             ; =>This Inner Loop Header: Depth=1
	buffer_load_dword v66, v63, s[0:3], 0 offen
	v_mov_b32_e32 v67, s14
	ds_read_b32 v67, v67
	v_add_u32_e32 v65, -1, v65
	s_add_i32 s14, s14, 4
	v_cmp_eq_u32_e32 vcc, 0, v65
	v_add_u32_e32 v63, 4, v63
	s_or_b64 s[4:5], vcc, s[4:5]
	s_waitcnt vmcnt(0) lgkmcnt(0)
	v_fmac_f32_e32 v64, v66, v67
	s_andn2_b64 exec, exec, s[4:5]
	s_cbranch_execnz .LBB27_193
; %bb.194:
	s_or_b64 exec, exec, s[4:5]
.LBB27_195:
	s_or_b64 exec, exec, s[12:13]
	v_mov_b32_e32 v63, 0
	ds_read_b32 v63, v63 offset:28
	s_waitcnt lgkmcnt(0)
	v_mul_f32_e32 v63, v64, v63
	buffer_store_dword v63, off, s[0:3], 0 offset:28
.LBB27_196:
	s_or_b64 exec, exec, s[10:11]
	buffer_load_dword v63, off, s[0:3], 0 offset:24
	v_cmp_lt_u32_e64 s[4:5], 6, v0
	s_waitcnt vmcnt(0)
	ds_write_b32 v58, v63
	s_waitcnt lgkmcnt(0)
	; wave barrier
	s_waitcnt lgkmcnt(0)
	s_and_saveexec_b64 s[10:11], s[4:5]
	s_cbranch_execz .LBB27_206
; %bb.197:
	s_andn2_b64 vcc, exec, s[8:9]
	s_cbranch_vccnz .LBB27_199
; %bb.198:
	buffer_load_dword v63, v59, s[0:3], 0 offen
	ds_read_b32 v64, v58
	s_waitcnt vmcnt(0) lgkmcnt(0)
	v_mul_f32_e32 v63, v63, v64
	s_cbranch_execz .LBB27_200
	s_branch .LBB27_201
.LBB27_199:
                                        ; implicit-def: $vgpr63
.LBB27_200:
	ds_read_b32 v63, v58
.LBB27_201:
	s_and_saveexec_b64 s[12:13], s[6:7]
	s_cbranch_execz .LBB27_205
; %bb.202:
	v_mov_b32_e32 v64, 0
	v_add_u32_e32 v64, 28, v64
	v_add_u32_e32 v65, -7, v0
	s_movk_i32 s14, 0x8c
	s_mov_b64 s[6:7], 0
.LBB27_203:                             ; =>This Inner Loop Header: Depth=1
	buffer_load_dword v66, v64, s[0:3], 0 offen
	v_mov_b32_e32 v67, s14
	ds_read_b32 v67, v67
	v_add_u32_e32 v65, -1, v65
	s_add_i32 s14, s14, 4
	v_cmp_eq_u32_e32 vcc, 0, v65
	v_add_u32_e32 v64, 4, v64
	s_or_b64 s[6:7], vcc, s[6:7]
	s_waitcnt vmcnt(0) lgkmcnt(0)
	v_fmac_f32_e32 v63, v66, v67
	s_andn2_b64 exec, exec, s[6:7]
	s_cbranch_execnz .LBB27_203
; %bb.204:
	s_or_b64 exec, exec, s[6:7]
.LBB27_205:
	s_or_b64 exec, exec, s[12:13]
	v_mov_b32_e32 v64, 0
	ds_read_b32 v64, v64 offset:24
	s_waitcnt lgkmcnt(0)
	v_mul_f32_e32 v63, v63, v64
	buffer_store_dword v63, off, s[0:3], 0 offset:24
.LBB27_206:
	s_or_b64 exec, exec, s[10:11]
	buffer_load_dword v63, off, s[0:3], 0 offset:20
	v_cmp_lt_u32_e64 s[6:7], 5, v0
	s_waitcnt vmcnt(0)
	ds_write_b32 v58, v63
	s_waitcnt lgkmcnt(0)
	; wave barrier
	s_waitcnt lgkmcnt(0)
	s_and_saveexec_b64 s[10:11], s[6:7]
	s_cbranch_execz .LBB27_216
; %bb.207:
	s_andn2_b64 vcc, exec, s[8:9]
	s_cbranch_vccnz .LBB27_209
; %bb.208:
	buffer_load_dword v63, v59, s[0:3], 0 offen
	ds_read_b32 v64, v58
	s_waitcnt vmcnt(0) lgkmcnt(0)
	v_mul_f32_e32 v63, v63, v64
	s_cbranch_execz .LBB27_210
	s_branch .LBB27_211
.LBB27_209:
                                        ; implicit-def: $vgpr63
.LBB27_210:
	ds_read_b32 v63, v58
.LBB27_211:
	s_and_saveexec_b64 s[12:13], s[4:5]
	s_cbranch_execz .LBB27_215
; %bb.212:
	v_add_u32_e32 v64, -6, v0
	s_movk_i32 s14, 0x88
	s_mov_b64 s[4:5], 0
.LBB27_213:                             ; =>This Inner Loop Header: Depth=1
	buffer_load_dword v65, v62, s[0:3], 0 offen
	v_mov_b32_e32 v66, s14
	ds_read_b32 v66, v66
	v_add_u32_e32 v64, -1, v64
	s_add_i32 s14, s14, 4
	v_cmp_eq_u32_e32 vcc, 0, v64
	v_add_u32_e32 v62, 4, v62
	s_or_b64 s[4:5], vcc, s[4:5]
	s_waitcnt vmcnt(0) lgkmcnt(0)
	v_fmac_f32_e32 v63, v65, v66
	s_andn2_b64 exec, exec, s[4:5]
	s_cbranch_execnz .LBB27_213
; %bb.214:
	s_or_b64 exec, exec, s[4:5]
.LBB27_215:
	s_or_b64 exec, exec, s[12:13]
	v_mov_b32_e32 v62, 0
	ds_read_b32 v62, v62 offset:20
	s_waitcnt lgkmcnt(0)
	v_mul_f32_e32 v62, v63, v62
	buffer_store_dword v62, off, s[0:3], 0 offset:20
.LBB27_216:
	s_or_b64 exec, exec, s[10:11]
	buffer_load_dword v62, off, s[0:3], 0 offset:16
	v_cmp_lt_u32_e64 s[4:5], 4, v0
	s_waitcnt vmcnt(0)
	ds_write_b32 v58, v62
	s_waitcnt lgkmcnt(0)
	; wave barrier
	s_waitcnt lgkmcnt(0)
	s_and_saveexec_b64 s[10:11], s[4:5]
	s_cbranch_execz .LBB27_226
; %bb.217:
	s_andn2_b64 vcc, exec, s[8:9]
	s_cbranch_vccnz .LBB27_219
; %bb.218:
	buffer_load_dword v62, v59, s[0:3], 0 offen
	ds_read_b32 v63, v58
	s_waitcnt vmcnt(0) lgkmcnt(0)
	v_mul_f32_e32 v62, v62, v63
	s_cbranch_execz .LBB27_220
	s_branch .LBB27_221
.LBB27_219:
                                        ; implicit-def: $vgpr62
.LBB27_220:
	ds_read_b32 v62, v58
.LBB27_221:
	s_and_saveexec_b64 s[12:13], s[6:7]
	s_cbranch_execz .LBB27_225
; %bb.222:
	v_mov_b32_e32 v63, 0
	v_add_u32_e32 v63, 20, v63
	v_add_u32_e32 v64, -5, v0
	s_movk_i32 s14, 0x84
	s_mov_b64 s[6:7], 0
.LBB27_223:                             ; =>This Inner Loop Header: Depth=1
	buffer_load_dword v65, v63, s[0:3], 0 offen
	v_mov_b32_e32 v66, s14
	ds_read_b32 v66, v66
	v_add_u32_e32 v64, -1, v64
	s_add_i32 s14, s14, 4
	v_cmp_eq_u32_e32 vcc, 0, v64
	v_add_u32_e32 v63, 4, v63
	s_or_b64 s[6:7], vcc, s[6:7]
	s_waitcnt vmcnt(0) lgkmcnt(0)
	v_fmac_f32_e32 v62, v65, v66
	s_andn2_b64 exec, exec, s[6:7]
	s_cbranch_execnz .LBB27_223
; %bb.224:
	s_or_b64 exec, exec, s[6:7]
.LBB27_225:
	s_or_b64 exec, exec, s[12:13]
	v_mov_b32_e32 v63, 0
	ds_read_b32 v63, v63 offset:16
	s_waitcnt lgkmcnt(0)
	v_mul_f32_e32 v62, v62, v63
	buffer_store_dword v62, off, s[0:3], 0 offset:16
.LBB27_226:
	s_or_b64 exec, exec, s[10:11]
	buffer_load_dword v62, off, s[0:3], 0 offset:12
	v_cmp_lt_u32_e64 s[6:7], 3, v0
	s_waitcnt vmcnt(0)
	ds_write_b32 v58, v62
	s_waitcnt lgkmcnt(0)
	; wave barrier
	s_waitcnt lgkmcnt(0)
	s_and_saveexec_b64 s[10:11], s[6:7]
	s_cbranch_execz .LBB27_236
; %bb.227:
	s_andn2_b64 vcc, exec, s[8:9]
	s_cbranch_vccnz .LBB27_229
; %bb.228:
	buffer_load_dword v62, v59, s[0:3], 0 offen
	ds_read_b32 v63, v58
	s_waitcnt vmcnt(0) lgkmcnt(0)
	v_mul_f32_e32 v62, v62, v63
	s_cbranch_execz .LBB27_230
	s_branch .LBB27_231
.LBB27_229:
                                        ; implicit-def: $vgpr62
.LBB27_230:
	ds_read_b32 v62, v58
.LBB27_231:
	s_and_saveexec_b64 s[12:13], s[4:5]
	s_cbranch_execz .LBB27_235
; %bb.232:
	v_add_u32_e32 v63, -4, v0
	s_movk_i32 s14, 0x80
	s_mov_b64 s[4:5], 0
.LBB27_233:                             ; =>This Inner Loop Header: Depth=1
	buffer_load_dword v64, v61, s[0:3], 0 offen
	v_mov_b32_e32 v65, s14
	ds_read_b32 v65, v65
	v_add_u32_e32 v63, -1, v63
	s_add_i32 s14, s14, 4
	v_cmp_eq_u32_e32 vcc, 0, v63
	v_add_u32_e32 v61, 4, v61
	s_or_b64 s[4:5], vcc, s[4:5]
	s_waitcnt vmcnt(0) lgkmcnt(0)
	v_fmac_f32_e32 v62, v64, v65
	s_andn2_b64 exec, exec, s[4:5]
	s_cbranch_execnz .LBB27_233
; %bb.234:
	s_or_b64 exec, exec, s[4:5]
.LBB27_235:
	s_or_b64 exec, exec, s[12:13]
	v_mov_b32_e32 v61, 0
	ds_read_b32 v61, v61 offset:12
	s_waitcnt lgkmcnt(0)
	v_mul_f32_e32 v61, v62, v61
	buffer_store_dword v61, off, s[0:3], 0 offset:12
.LBB27_236:
	s_or_b64 exec, exec, s[10:11]
	buffer_load_dword v61, off, s[0:3], 0 offset:8
	v_cmp_lt_u32_e64 s[4:5], 2, v0
	s_waitcnt vmcnt(0)
	ds_write_b32 v58, v61
	s_waitcnt lgkmcnt(0)
	; wave barrier
	s_waitcnt lgkmcnt(0)
	s_and_saveexec_b64 s[10:11], s[4:5]
	s_cbranch_execz .LBB27_246
; %bb.237:
	s_andn2_b64 vcc, exec, s[8:9]
	s_cbranch_vccnz .LBB27_239
; %bb.238:
	buffer_load_dword v61, v59, s[0:3], 0 offen
	ds_read_b32 v62, v58
	s_waitcnt vmcnt(0) lgkmcnt(0)
	v_mul_f32_e32 v61, v61, v62
	s_cbranch_execz .LBB27_240
	s_branch .LBB27_241
.LBB27_239:
                                        ; implicit-def: $vgpr61
.LBB27_240:
	ds_read_b32 v61, v58
.LBB27_241:
	s_and_saveexec_b64 s[12:13], s[6:7]
	s_cbranch_execz .LBB27_245
; %bb.242:
	v_mov_b32_e32 v62, 0
	v_or_b32_e32 v62, 12, v62
	v_add_u32_e32 v63, -3, v0
	s_movk_i32 s14, 0x7c
	s_mov_b64 s[6:7], 0
.LBB27_243:                             ; =>This Inner Loop Header: Depth=1
	buffer_load_dword v64, v62, s[0:3], 0 offen
	v_mov_b32_e32 v65, s14
	ds_read_b32 v65, v65
	v_add_u32_e32 v63, -1, v63
	s_add_i32 s14, s14, 4
	v_cmp_eq_u32_e32 vcc, 0, v63
	v_add_u32_e32 v62, 4, v62
	s_or_b64 s[6:7], vcc, s[6:7]
	s_waitcnt vmcnt(0) lgkmcnt(0)
	v_fmac_f32_e32 v61, v64, v65
	s_andn2_b64 exec, exec, s[6:7]
	s_cbranch_execnz .LBB27_243
; %bb.244:
	s_or_b64 exec, exec, s[6:7]
.LBB27_245:
	s_or_b64 exec, exec, s[12:13]
	v_mov_b32_e32 v62, 0
	ds_read_b32 v62, v62 offset:8
	s_waitcnt lgkmcnt(0)
	v_mul_f32_e32 v61, v61, v62
	buffer_store_dword v61, off, s[0:3], 0 offset:8
.LBB27_246:
	s_or_b64 exec, exec, s[10:11]
	buffer_load_dword v61, off, s[0:3], 0 offset:4
	v_cmp_lt_u32_e64 s[6:7], 1, v0
	s_waitcnt vmcnt(0)
	ds_write_b32 v58, v61
	s_waitcnt lgkmcnt(0)
	; wave barrier
	s_waitcnt lgkmcnt(0)
	s_and_saveexec_b64 s[10:11], s[6:7]
	s_cbranch_execz .LBB27_256
; %bb.247:
	s_andn2_b64 vcc, exec, s[8:9]
	s_cbranch_vccnz .LBB27_249
; %bb.248:
	buffer_load_dword v61, v59, s[0:3], 0 offen
	ds_read_b32 v62, v58
	s_waitcnt vmcnt(0) lgkmcnt(0)
	v_mul_f32_e32 v61, v61, v62
	s_cbranch_execz .LBB27_250
	s_branch .LBB27_251
.LBB27_249:
                                        ; implicit-def: $vgpr61
.LBB27_250:
	ds_read_b32 v61, v58
.LBB27_251:
	s_and_saveexec_b64 s[12:13], s[4:5]
	s_cbranch_execz .LBB27_255
; %bb.252:
	v_add_u32_e32 v62, -2, v0
	s_movk_i32 s14, 0x78
	s_mov_b64 s[4:5], 0
.LBB27_253:                             ; =>This Inner Loop Header: Depth=1
	buffer_load_dword v63, v60, s[0:3], 0 offen
	v_mov_b32_e32 v64, s14
	ds_read_b32 v64, v64
	v_add_u32_e32 v62, -1, v62
	s_add_i32 s14, s14, 4
	v_cmp_eq_u32_e32 vcc, 0, v62
	v_add_u32_e32 v60, 4, v60
	s_or_b64 s[4:5], vcc, s[4:5]
	s_waitcnt vmcnt(0) lgkmcnt(0)
	v_fmac_f32_e32 v61, v63, v64
	s_andn2_b64 exec, exec, s[4:5]
	s_cbranch_execnz .LBB27_253
; %bb.254:
	s_or_b64 exec, exec, s[4:5]
.LBB27_255:
	s_or_b64 exec, exec, s[12:13]
	v_mov_b32_e32 v60, 0
	ds_read_b32 v60, v60 offset:4
	s_waitcnt lgkmcnt(0)
	v_mul_f32_e32 v60, v61, v60
	buffer_store_dword v60, off, s[0:3], 0 offset:4
.LBB27_256:
	s_or_b64 exec, exec, s[10:11]
	buffer_load_dword v60, off, s[0:3], 0
	v_cmp_ne_u32_e32 vcc, 0, v0
	s_waitcnt vmcnt(0)
	ds_write_b32 v58, v60
	s_waitcnt lgkmcnt(0)
	; wave barrier
	s_waitcnt lgkmcnt(0)
	s_and_saveexec_b64 s[4:5], vcc
	s_cbranch_execz .LBB27_266
; %bb.257:
	s_andn2_b64 vcc, exec, s[8:9]
	s_cbranch_vccnz .LBB27_259
; %bb.258:
	buffer_load_dword v60, v59, s[0:3], 0 offen
	ds_read_b32 v61, v58
	s_waitcnt vmcnt(0) lgkmcnt(0)
	v_mul_f32_e32 v60, v60, v61
	s_cbranch_execz .LBB27_260
	s_branch .LBB27_261
.LBB27_259:
                                        ; implicit-def: $vgpr60
.LBB27_260:
	ds_read_b32 v60, v58
.LBB27_261:
	s_and_saveexec_b64 s[10:11], s[6:7]
	s_cbranch_execz .LBB27_265
; %bb.262:
	v_mov_b32_e32 v61, 0
	v_or_b32_e32 v61, 4, v61
	v_add_u32_e32 v62, -1, v0
	s_movk_i32 s12, 0x74
	s_mov_b64 s[6:7], 0
.LBB27_263:                             ; =>This Inner Loop Header: Depth=1
	buffer_load_dword v63, v61, s[0:3], 0 offen
	v_mov_b32_e32 v64, s12
	ds_read_b32 v64, v64
	v_add_u32_e32 v62, -1, v62
	s_add_i32 s12, s12, 4
	v_cmp_eq_u32_e32 vcc, 0, v62
	v_add_u32_e32 v61, 4, v61
	s_or_b64 s[6:7], vcc, s[6:7]
	s_waitcnt vmcnt(0) lgkmcnt(0)
	v_fmac_f32_e32 v60, v63, v64
	s_andn2_b64 exec, exec, s[6:7]
	s_cbranch_execnz .LBB27_263
; %bb.264:
	s_or_b64 exec, exec, s[6:7]
.LBB27_265:
	s_or_b64 exec, exec, s[10:11]
	v_mov_b32_e32 v61, 0
	ds_read_b32 v61, v61
	s_waitcnt lgkmcnt(0)
	v_mul_f32_e32 v60, v60, v61
	buffer_store_dword v60, off, s[0:3], 0
.LBB27_266:
	s_or_b64 exec, exec, s[4:5]
	s_mov_b64 s[4:5], 0
.LBB27_267:
	s_and_b64 vcc, exec, s[4:5]
	s_cbranch_vccz .LBB27_531
; %bb.268:
	buffer_load_dword v60, off, s[0:3], 0 offset:4
	v_cmp_eq_u32_e64 s[6:7], 0, v0
	s_waitcnt vmcnt(0)
	ds_write_b32 v58, v60
	s_waitcnt lgkmcnt(0)
	; wave barrier
	s_waitcnt lgkmcnt(0)
	s_and_saveexec_b64 s[4:5], s[6:7]
	s_cbranch_execz .LBB27_274
; %bb.269:
	s_and_b64 vcc, exec, s[8:9]
	s_cbranch_vccz .LBB27_271
; %bb.270:
	buffer_load_dword v60, v59, s[0:3], 0 offen
	ds_read_b32 v61, v58
	s_waitcnt vmcnt(0) lgkmcnt(0)
	v_mul_f32_e32 v60, v60, v61
	s_cbranch_execz .LBB27_272
	s_branch .LBB27_273
.LBB27_271:
                                        ; implicit-def: $vgpr60
.LBB27_272:
	ds_read_b32 v60, v58
.LBB27_273:
	v_mov_b32_e32 v61, 0
	ds_read_b32 v61, v61 offset:4
	s_waitcnt lgkmcnt(0)
	v_mul_f32_e32 v60, v60, v61
	buffer_store_dword v60, off, s[0:3], 0 offset:4
.LBB27_274:
	s_or_b64 exec, exec, s[4:5]
	buffer_load_dword v60, off, s[0:3], 0 offset:8
	v_cndmask_b32_e64 v61, 0, 1, s[8:9]
	v_cmp_gt_u32_e32 vcc, 2, v0
	v_cmp_ne_u32_e64 s[4:5], 1, v61
	s_waitcnt vmcnt(0)
	ds_write_b32 v58, v60
	s_waitcnt lgkmcnt(0)
	; wave barrier
	s_waitcnt lgkmcnt(0)
	s_and_saveexec_b64 s[8:9], vcc
	s_cbranch_execz .LBB27_282
; %bb.275:
	s_and_b64 vcc, exec, s[4:5]
	s_cbranch_vccnz .LBB27_277
; %bb.276:
	buffer_load_dword v60, v59, s[0:3], 0 offen
	ds_read_b32 v61, v58
	s_waitcnt vmcnt(0) lgkmcnt(0)
	v_mul_f32_e32 v60, v60, v61
	s_cbranch_execz .LBB27_278
	s_branch .LBB27_279
.LBB27_277:
                                        ; implicit-def: $vgpr60
.LBB27_278:
	ds_read_b32 v60, v58
.LBB27_279:
	s_and_saveexec_b64 s[10:11], s[6:7]
	s_cbranch_execz .LBB27_281
; %bb.280:
	buffer_load_dword v61, v59, s[0:3], 0 offen offset:4
	ds_read_b32 v62, v58 offset:4
	s_waitcnt vmcnt(0) lgkmcnt(0)
	v_fmac_f32_e32 v60, v61, v62
.LBB27_281:
	s_or_b64 exec, exec, s[10:11]
	v_mov_b32_e32 v61, 0
	ds_read_b32 v61, v61 offset:8
	s_waitcnt lgkmcnt(0)
	v_mul_f32_e32 v60, v60, v61
	buffer_store_dword v60, off, s[0:3], 0 offset:8
.LBB27_282:
	s_or_b64 exec, exec, s[8:9]
	buffer_load_dword v60, off, s[0:3], 0 offset:12
	v_cmp_gt_u32_e32 vcc, 3, v0
	s_waitcnt vmcnt(0)
	ds_write_b32 v58, v60
	s_waitcnt lgkmcnt(0)
	; wave barrier
	s_waitcnt lgkmcnt(0)
	s_and_saveexec_b64 s[8:9], vcc
	s_cbranch_execz .LBB27_290
; %bb.283:
	s_and_b64 vcc, exec, s[4:5]
	s_cbranch_vccnz .LBB27_285
; %bb.284:
	buffer_load_dword v60, v59, s[0:3], 0 offen
	ds_read_b32 v61, v58
	s_waitcnt vmcnt(0) lgkmcnt(0)
	v_mul_f32_e32 v60, v60, v61
	s_cbranch_execz .LBB27_286
	s_branch .LBB27_287
.LBB27_285:
                                        ; implicit-def: $vgpr60
.LBB27_286:
	ds_read_b32 v60, v58
.LBB27_287:
	v_cmp_ne_u32_e32 vcc, 2, v0
	s_and_saveexec_b64 s[10:11], vcc
	s_cbranch_execz .LBB27_289
; %bb.288:
	buffer_load_dword v61, v59, s[0:3], 0 offen offset:4
	buffer_load_dword v62, off, s[0:3], 0 offset:8
	v_mov_b32_e32 v63, 0
	ds_read_b32 v64, v58 offset:4
	ds_read_b32 v63, v63 offset:120
	s_waitcnt vmcnt(1) lgkmcnt(1)
	v_fmac_f32_e32 v60, v61, v64
	s_waitcnt vmcnt(0) lgkmcnt(0)
	v_fma_f32 v61, v62, v63, v60
	v_cndmask_b32_e64 v60, v60, v61, s[6:7]
.LBB27_289:
	s_or_b64 exec, exec, s[10:11]
	v_mov_b32_e32 v61, 0
	ds_read_b32 v61, v61 offset:12
	s_waitcnt lgkmcnt(0)
	v_mul_f32_e32 v60, v60, v61
	buffer_store_dword v60, off, s[0:3], 0 offset:12
.LBB27_290:
	s_or_b64 exec, exec, s[8:9]
	buffer_load_dword v60, off, s[0:3], 0 offset:16
	v_cmp_gt_u32_e32 vcc, 4, v0
	s_waitcnt vmcnt(0)
	ds_write_b32 v58, v60
	s_waitcnt lgkmcnt(0)
	; wave barrier
	s_waitcnt lgkmcnt(0)
	s_and_saveexec_b64 s[6:7], vcc
	s_cbranch_execz .LBB27_300
; %bb.291:
	s_and_b64 vcc, exec, s[4:5]
	s_cbranch_vccnz .LBB27_293
; %bb.292:
	buffer_load_dword v60, v59, s[0:3], 0 offen
	ds_read_b32 v61, v58
	s_waitcnt vmcnt(0) lgkmcnt(0)
	v_mul_f32_e32 v60, v60, v61
	s_cbranch_execz .LBB27_294
	s_branch .LBB27_295
.LBB27_293:
                                        ; implicit-def: $vgpr60
.LBB27_294:
	ds_read_b32 v60, v58
.LBB27_295:
	v_cmp_ne_u32_e32 vcc, 3, v0
	s_and_saveexec_b64 s[8:9], vcc
	s_cbranch_execz .LBB27_299
; %bb.296:
	v_mov_b32_e32 v62, 0
	v_add_u32_e32 v61, 0x74, v1
	v_add3_u32 v62, v1, v62, 4
	s_mov_b64 s[10:11], 0
	v_mov_b32_e32 v63, v0
.LBB27_297:                             ; =>This Inner Loop Header: Depth=1
	buffer_load_dword v64, v62, s[0:3], 0 offen
	ds_read_b32 v65, v61
	v_add_u32_e32 v63, 1, v63
	v_cmp_lt_u32_e32 vcc, 2, v63
	v_add_u32_e32 v61, 4, v61
	v_add_u32_e32 v62, 4, v62
	s_or_b64 s[10:11], vcc, s[10:11]
	s_waitcnt vmcnt(0) lgkmcnt(0)
	v_fmac_f32_e32 v60, v64, v65
	s_andn2_b64 exec, exec, s[10:11]
	s_cbranch_execnz .LBB27_297
; %bb.298:
	s_or_b64 exec, exec, s[10:11]
.LBB27_299:
	s_or_b64 exec, exec, s[8:9]
	v_mov_b32_e32 v61, 0
	ds_read_b32 v61, v61 offset:16
	s_waitcnt lgkmcnt(0)
	v_mul_f32_e32 v60, v60, v61
	buffer_store_dword v60, off, s[0:3], 0 offset:16
.LBB27_300:
	s_or_b64 exec, exec, s[6:7]
	buffer_load_dword v60, off, s[0:3], 0 offset:20
	v_cmp_gt_u32_e32 vcc, 5, v0
	s_waitcnt vmcnt(0)
	ds_write_b32 v58, v60
	s_waitcnt lgkmcnt(0)
	; wave barrier
	s_waitcnt lgkmcnt(0)
	s_and_saveexec_b64 s[6:7], vcc
	s_cbranch_execz .LBB27_310
; %bb.301:
	s_and_b64 vcc, exec, s[4:5]
	s_cbranch_vccnz .LBB27_303
; %bb.302:
	buffer_load_dword v60, v59, s[0:3], 0 offen
	ds_read_b32 v61, v58
	s_waitcnt vmcnt(0) lgkmcnt(0)
	v_mul_f32_e32 v60, v60, v61
	s_cbranch_execz .LBB27_304
	s_branch .LBB27_305
.LBB27_303:
                                        ; implicit-def: $vgpr60
.LBB27_304:
	ds_read_b32 v60, v58
.LBB27_305:
	v_cmp_ne_u32_e32 vcc, 4, v0
	s_and_saveexec_b64 s[8:9], vcc
	s_cbranch_execz .LBB27_309
; %bb.306:
	v_mov_b32_e32 v62, 0
	v_add_u32_e32 v61, 0x74, v1
	v_add3_u32 v62, v1, v62, 4
	s_mov_b64 s[10:11], 0
	v_mov_b32_e32 v63, v0
.LBB27_307:                             ; =>This Inner Loop Header: Depth=1
	buffer_load_dword v64, v62, s[0:3], 0 offen
	ds_read_b32 v65, v61
	v_add_u32_e32 v63, 1, v63
	v_cmp_lt_u32_e32 vcc, 3, v63
	v_add_u32_e32 v61, 4, v61
	v_add_u32_e32 v62, 4, v62
	s_or_b64 s[10:11], vcc, s[10:11]
	s_waitcnt vmcnt(0) lgkmcnt(0)
	v_fmac_f32_e32 v60, v64, v65
	s_andn2_b64 exec, exec, s[10:11]
	s_cbranch_execnz .LBB27_307
; %bb.308:
	s_or_b64 exec, exec, s[10:11]
.LBB27_309:
	s_or_b64 exec, exec, s[8:9]
	v_mov_b32_e32 v61, 0
	ds_read_b32 v61, v61 offset:20
	s_waitcnt lgkmcnt(0)
	v_mul_f32_e32 v60, v60, v61
	buffer_store_dword v60, off, s[0:3], 0 offset:20
.LBB27_310:
	;; [unrolled: 56-line block ×22, first 2 shown]
	s_or_b64 exec, exec, s[6:7]
	buffer_load_dword v60, off, s[0:3], 0 offset:104
	v_cmp_gt_u32_e64 s[6:7], 26, v0
	s_waitcnt vmcnt(0)
	ds_write_b32 v58, v60
	s_waitcnt lgkmcnt(0)
	; wave barrier
	s_waitcnt lgkmcnt(0)
	s_and_saveexec_b64 s[8:9], s[6:7]
	s_cbranch_execz .LBB27_520
; %bb.511:
	s_and_b64 vcc, exec, s[4:5]
	s_cbranch_vccnz .LBB27_513
; %bb.512:
	buffer_load_dword v60, v59, s[0:3], 0 offen
	ds_read_b32 v61, v58
	s_waitcnt vmcnt(0) lgkmcnt(0)
	v_mul_f32_e32 v60, v60, v61
	s_cbranch_execz .LBB27_514
	s_branch .LBB27_515
.LBB27_513:
                                        ; implicit-def: $vgpr60
.LBB27_514:
	ds_read_b32 v60, v58
.LBB27_515:
	v_cmp_ne_u32_e32 vcc, 25, v0
	s_and_saveexec_b64 s[10:11], vcc
	s_cbranch_execz .LBB27_519
; %bb.516:
	v_mov_b32_e32 v62, 0
	v_add_u32_e32 v61, 0x74, v1
	v_add3_u32 v62, v1, v62, 4
	s_mov_b64 s[12:13], 0
	v_mov_b32_e32 v63, v0
.LBB27_517:                             ; =>This Inner Loop Header: Depth=1
	buffer_load_dword v64, v62, s[0:3], 0 offen
	ds_read_b32 v65, v61
	v_add_u32_e32 v63, 1, v63
	v_cmp_lt_u32_e32 vcc, 24, v63
	v_add_u32_e32 v61, 4, v61
	v_add_u32_e32 v62, 4, v62
	s_or_b64 s[12:13], vcc, s[12:13]
	s_waitcnt vmcnt(0) lgkmcnt(0)
	v_fmac_f32_e32 v60, v64, v65
	s_andn2_b64 exec, exec, s[12:13]
	s_cbranch_execnz .LBB27_517
; %bb.518:
	s_or_b64 exec, exec, s[12:13]
.LBB27_519:
	s_or_b64 exec, exec, s[10:11]
	v_mov_b32_e32 v61, 0
	ds_read_b32 v61, v61 offset:104
	s_waitcnt lgkmcnt(0)
	v_mul_f32_e32 v60, v60, v61
	buffer_store_dword v60, off, s[0:3], 0 offset:104
.LBB27_520:
	s_or_b64 exec, exec, s[8:9]
	buffer_load_dword v60, off, s[0:3], 0 offset:108
	v_cmp_ne_u32_e32 vcc, 27, v0
	s_waitcnt vmcnt(0)
	ds_write_b32 v58, v60
	s_waitcnt lgkmcnt(0)
	; wave barrier
	s_waitcnt lgkmcnt(0)
	s_and_saveexec_b64 s[8:9], vcc
	s_cbranch_execz .LBB27_530
; %bb.521:
	s_and_b64 vcc, exec, s[4:5]
	s_cbranch_vccnz .LBB27_523
; %bb.522:
	buffer_load_dword v59, v59, s[0:3], 0 offen
	ds_read_b32 v60, v58
	s_waitcnt vmcnt(0) lgkmcnt(0)
	v_mul_f32_e32 v59, v59, v60
	s_cbranch_execz .LBB27_524
	s_branch .LBB27_525
.LBB27_523:
                                        ; implicit-def: $vgpr59
.LBB27_524:
	ds_read_b32 v59, v58
.LBB27_525:
	s_and_saveexec_b64 s[4:5], s[6:7]
	s_cbranch_execz .LBB27_529
; %bb.526:
	v_mov_b32_e32 v60, 0
	v_add_u32_e32 v58, 0x74, v1
	v_add3_u32 v1, v1, v60, 4
	s_mov_b64 s[6:7], 0
.LBB27_527:                             ; =>This Inner Loop Header: Depth=1
	buffer_load_dword v60, v1, s[0:3], 0 offen
	ds_read_b32 v61, v58
	v_add_u32_e32 v0, 1, v0
	v_cmp_lt_u32_e32 vcc, 25, v0
	v_add_u32_e32 v58, 4, v58
	v_add_u32_e32 v1, 4, v1
	s_or_b64 s[6:7], vcc, s[6:7]
	s_waitcnt vmcnt(0) lgkmcnt(0)
	v_fmac_f32_e32 v59, v60, v61
	s_andn2_b64 exec, exec, s[6:7]
	s_cbranch_execnz .LBB27_527
; %bb.528:
	s_or_b64 exec, exec, s[6:7]
.LBB27_529:
	s_or_b64 exec, exec, s[4:5]
	v_mov_b32_e32 v0, 0
	ds_read_b32 v0, v0 offset:108
	s_waitcnt lgkmcnt(0)
	v_mul_f32_e32 v0, v59, v0
	buffer_store_dword v0, off, s[0:3], 0 offset:108
.LBB27_530:
	s_or_b64 exec, exec, s[8:9]
.LBB27_531:
	buffer_load_dword v0, off, s[0:3], 0
	buffer_load_dword v1, off, s[0:3], 0 offset:4
	buffer_load_dword v58, off, s[0:3], 0 offset:8
	;; [unrolled: 1-line block ×15, first 2 shown]
	s_waitcnt vmcnt(15)
	global_store_dword v[2:3], v0, off
	s_waitcnt vmcnt(15)
	global_store_dword v[4:5], v1, off
	buffer_load_dword v0, off, s[0:3], 0 offset:64
	s_nop 0
	buffer_load_dword v1, off, s[0:3], 0 offset:68
	buffer_load_dword v2, off, s[0:3], 0 offset:72
	;; [unrolled: 1-line block ×7, first 2 shown]
	s_waitcnt vmcnt(23)
	global_store_dword v[6:7], v58, off
	buffer_load_dword v6, off, s[0:3], 0 offset:96
	s_nop 0
	buffer_load_dword v7, off, s[0:3], 0 offset:100
	buffer_load_dword v58, off, s[0:3], 0 offset:104
	;; [unrolled: 1-line block ×3, first 2 shown]
	s_waitcnt vmcnt(27)
	global_store_dword v[8:9], v59, off
	s_waitcnt vmcnt(27)
	global_store_dword v[10:11], v60, off
	;; [unrolled: 2-line block ×25, first 2 shown]
.LBB27_532:
	s_endpgm
	.section	.rodata,"a",@progbits
	.p2align	6, 0x0
	.amdhsa_kernel _ZN9rocsolver6v33100L18trti2_kernel_smallILi28EfPfEEv13rocblas_fill_17rocblas_diagonal_T1_iil
		.amdhsa_group_segment_fixed_size 224
		.amdhsa_private_segment_fixed_size 128
		.amdhsa_kernarg_size 32
		.amdhsa_user_sgpr_count 8
		.amdhsa_user_sgpr_private_segment_buffer 1
		.amdhsa_user_sgpr_dispatch_ptr 0
		.amdhsa_user_sgpr_queue_ptr 0
		.amdhsa_user_sgpr_kernarg_segment_ptr 1
		.amdhsa_user_sgpr_dispatch_id 0
		.amdhsa_user_sgpr_flat_scratch_init 1
		.amdhsa_user_sgpr_kernarg_preload_length 0
		.amdhsa_user_sgpr_kernarg_preload_offset 0
		.amdhsa_user_sgpr_private_segment_size 0
		.amdhsa_uses_dynamic_stack 0
		.amdhsa_system_sgpr_private_segment_wavefront_offset 1
		.amdhsa_system_sgpr_workgroup_id_x 1
		.amdhsa_system_sgpr_workgroup_id_y 0
		.amdhsa_system_sgpr_workgroup_id_z 0
		.amdhsa_system_sgpr_workgroup_info 0
		.amdhsa_system_vgpr_workitem_id 0
		.amdhsa_next_free_vgpr 77
		.amdhsa_next_free_sgpr 20
		.amdhsa_accum_offset 80
		.amdhsa_reserve_vcc 1
		.amdhsa_reserve_flat_scratch 0
		.amdhsa_float_round_mode_32 0
		.amdhsa_float_round_mode_16_64 0
		.amdhsa_float_denorm_mode_32 3
		.amdhsa_float_denorm_mode_16_64 3
		.amdhsa_dx10_clamp 1
		.amdhsa_ieee_mode 1
		.amdhsa_fp16_overflow 0
		.amdhsa_tg_split 0
		.amdhsa_exception_fp_ieee_invalid_op 0
		.amdhsa_exception_fp_denorm_src 0
		.amdhsa_exception_fp_ieee_div_zero 0
		.amdhsa_exception_fp_ieee_overflow 0
		.amdhsa_exception_fp_ieee_underflow 0
		.amdhsa_exception_fp_ieee_inexact 0
		.amdhsa_exception_int_div_zero 0
	.end_amdhsa_kernel
	.section	.text._ZN9rocsolver6v33100L18trti2_kernel_smallILi28EfPfEEv13rocblas_fill_17rocblas_diagonal_T1_iil,"axG",@progbits,_ZN9rocsolver6v33100L18trti2_kernel_smallILi28EfPfEEv13rocblas_fill_17rocblas_diagonal_T1_iil,comdat
.Lfunc_end27:
	.size	_ZN9rocsolver6v33100L18trti2_kernel_smallILi28EfPfEEv13rocblas_fill_17rocblas_diagonal_T1_iil, .Lfunc_end27-_ZN9rocsolver6v33100L18trti2_kernel_smallILi28EfPfEEv13rocblas_fill_17rocblas_diagonal_T1_iil
                                        ; -- End function
	.section	.AMDGPU.csdata,"",@progbits
; Kernel info:
; codeLenInByte = 13576
; NumSgprs: 24
; NumVgprs: 77
; NumAgprs: 0
; TotalNumVgprs: 77
; ScratchSize: 128
; MemoryBound: 0
; FloatMode: 240
; IeeeMode: 1
; LDSByteSize: 224 bytes/workgroup (compile time only)
; SGPRBlocks: 2
; VGPRBlocks: 9
; NumSGPRsForWavesPerEU: 24
; NumVGPRsForWavesPerEU: 77
; AccumOffset: 80
; Occupancy: 6
; WaveLimiterHint : 0
; COMPUTE_PGM_RSRC2:SCRATCH_EN: 1
; COMPUTE_PGM_RSRC2:USER_SGPR: 8
; COMPUTE_PGM_RSRC2:TRAP_HANDLER: 0
; COMPUTE_PGM_RSRC2:TGID_X_EN: 1
; COMPUTE_PGM_RSRC2:TGID_Y_EN: 0
; COMPUTE_PGM_RSRC2:TGID_Z_EN: 0
; COMPUTE_PGM_RSRC2:TIDIG_COMP_CNT: 0
; COMPUTE_PGM_RSRC3_GFX90A:ACCUM_OFFSET: 19
; COMPUTE_PGM_RSRC3_GFX90A:TG_SPLIT: 0
	.section	.text._ZN9rocsolver6v33100L18trti2_kernel_smallILi29EfPfEEv13rocblas_fill_17rocblas_diagonal_T1_iil,"axG",@progbits,_ZN9rocsolver6v33100L18trti2_kernel_smallILi29EfPfEEv13rocblas_fill_17rocblas_diagonal_T1_iil,comdat
	.globl	_ZN9rocsolver6v33100L18trti2_kernel_smallILi29EfPfEEv13rocblas_fill_17rocblas_diagonal_T1_iil ; -- Begin function _ZN9rocsolver6v33100L18trti2_kernel_smallILi29EfPfEEv13rocblas_fill_17rocblas_diagonal_T1_iil
	.p2align	8
	.type	_ZN9rocsolver6v33100L18trti2_kernel_smallILi29EfPfEEv13rocblas_fill_17rocblas_diagonal_T1_iil,@function
_ZN9rocsolver6v33100L18trti2_kernel_smallILi29EfPfEEv13rocblas_fill_17rocblas_diagonal_T1_iil: ; @_ZN9rocsolver6v33100L18trti2_kernel_smallILi29EfPfEEv13rocblas_fill_17rocblas_diagonal_T1_iil
; %bb.0:
	s_add_u32 s0, s0, s9
	s_addc_u32 s1, s1, 0
	v_cmp_gt_u32_e32 vcc, 29, v0
	s_and_saveexec_b64 s[6:7], vcc
	s_cbranch_execz .LBB28_552
; %bb.1:
	s_load_dwordx8 s[12:19], s[4:5], 0x0
	s_ashr_i32 s6, s8, 31
	v_lshlrev_b32_e32 v1, 2, v0
	v_mov_b32_e32 v74, 0
	s_waitcnt lgkmcnt(0)
	s_mul_i32 s7, s8, s19
	s_mul_hi_u32 s9, s8, s18
	s_add_i32 s7, s9, s7
	s_mul_i32 s6, s6, s18
	s_add_i32 s7, s7, s6
	s_mul_i32 s6, s8, s18
	s_ashr_i32 s5, s16, 31
	s_lshl_b64 s[6:7], s[6:7], 2
	s_mov_b32 s4, s16
	s_add_u32 s6, s14, s6
	s_addc_u32 s7, s15, s7
	s_lshl_b64 s[4:5], s[4:5], 2
	s_add_u32 s4, s6, s4
	s_addc_u32 s5, s7, s5
	v_mov_b32_e32 v3, s5
	v_add_co_u32_e32 v2, vcc, s4, v1
	s_ashr_i32 s7, s17, 31
	s_mov_b32 s6, s17
	v_addc_co_u32_e32 v3, vcc, 0, v3, vcc
	s_lshl_b64 s[6:7], s[6:7], 2
	v_add_co_u32_e32 v4, vcc, s6, v2
	s_add_i32 s6, s17, s17
	v_add_u32_e32 v8, s6, v0
	v_mov_b32_e32 v5, s7
	v_ashrrev_i32_e32 v9, 31, v8
	v_addc_co_u32_e32 v5, vcc, v3, v5, vcc
	v_lshlrev_b64 v[6:7], 2, v[8:9]
	v_add_u32_e32 v10, s17, v8
	v_mov_b32_e32 v9, s5
	v_add_co_u32_e32 v6, vcc, s4, v6
	v_ashrrev_i32_e32 v11, 31, v10
	v_addc_co_u32_e32 v7, vcc, v9, v7, vcc
	v_lshlrev_b64 v[8:9], 2, v[10:11]
	v_add_u32_e32 v12, s17, v10
	v_mov_b32_e32 v11, s5
	v_add_co_u32_e32 v8, vcc, s4, v8
	v_ashrrev_i32_e32 v13, 31, v12
	v_addc_co_u32_e32 v9, vcc, v11, v9, vcc
	v_lshlrev_b64 v[10:11], 2, v[12:13]
	v_add_u32_e32 v14, s17, v12
	v_mov_b32_e32 v13, s5
	v_add_co_u32_e32 v10, vcc, s4, v10
	v_ashrrev_i32_e32 v15, 31, v14
	v_addc_co_u32_e32 v11, vcc, v13, v11, vcc
	v_lshlrev_b64 v[12:13], 2, v[14:15]
	v_add_u32_e32 v16, s17, v14
	v_mov_b32_e32 v15, s5
	v_add_co_u32_e32 v12, vcc, s4, v12
	v_ashrrev_i32_e32 v17, 31, v16
	v_addc_co_u32_e32 v13, vcc, v15, v13, vcc
	v_lshlrev_b64 v[14:15], 2, v[16:17]
	v_add_u32_e32 v18, s17, v16
	v_mov_b32_e32 v17, s5
	v_add_co_u32_e32 v14, vcc, s4, v14
	v_ashrrev_i32_e32 v19, 31, v18
	v_addc_co_u32_e32 v15, vcc, v17, v15, vcc
	v_lshlrev_b64 v[16:17], 2, v[18:19]
	v_add_u32_e32 v20, s17, v18
	v_mov_b32_e32 v19, s5
	v_add_co_u32_e32 v16, vcc, s4, v16
	v_ashrrev_i32_e32 v21, 31, v20
	v_addc_co_u32_e32 v17, vcc, v19, v17, vcc
	v_lshlrev_b64 v[18:19], 2, v[20:21]
	v_mov_b32_e32 v21, s5
	v_add_co_u32_e32 v18, vcc, s4, v18
	global_load_dword v31, v1, s[4:5]
	global_load_dword v33, v[4:5], off
	global_load_dword v35, v[6:7], off
	;; [unrolled: 1-line block ×3, first 2 shown]
	v_addc_co_u32_e32 v19, vcc, v21, v19, vcc
	global_load_dword v39, v[10:11], off
	global_load_dword v41, v[12:13], off
	;; [unrolled: 1-line block ×5, first 2 shown]
	v_add_u32_e32 v22, s17, v20
	v_ashrrev_i32_e32 v23, 31, v22
	v_lshlrev_b64 v[20:21], 2, v[22:23]
	v_add_u32_e32 v24, s17, v22
	v_mov_b32_e32 v23, s5
	v_add_co_u32_e32 v20, vcc, s4, v20
	v_ashrrev_i32_e32 v25, 31, v24
	v_addc_co_u32_e32 v21, vcc, v23, v21, vcc
	v_lshlrev_b64 v[22:23], 2, v[24:25]
	v_add_u32_e32 v26, s17, v24
	v_mov_b32_e32 v25, s5
	v_add_co_u32_e32 v22, vcc, s4, v22
	v_ashrrev_i32_e32 v27, 31, v26
	v_addc_co_u32_e32 v23, vcc, v25, v23, vcc
	v_lshlrev_b64 v[24:25], 2, v[26:27]
	v_mov_b32_e32 v27, s5
	v_add_co_u32_e32 v24, vcc, s4, v24
	v_add_u32_e32 v30, s17, v26
	v_addc_co_u32_e32 v25, vcc, v27, v25, vcc
	global_load_dword v49, v[20:21], off
	global_load_dword v60, v[22:23], off
	;; [unrolled: 1-line block ×3, first 2 shown]
	v_add_u32_e32 v32, s17, v30
	v_add_u32_e32 v34, s17, v32
	;; [unrolled: 1-line block ×15, first 2 shown]
	v_ashrrev_i32_e32 v29, 31, v28
	v_lshlrev_b64 v[26:27], 2, v[28:29]
	v_mov_b32_e32 v29, s5
	v_add_co_u32_e32 v26, vcc, s4, v26
	v_add_u32_e32 v28, s17, v28
	v_addc_co_u32_e32 v27, vcc, v29, v27, vcc
	v_ashrrev_i32_e32 v29, 31, v28
	v_lshlrev_b64 v[28:29], 2, v[28:29]
	v_mov_b32_e32 v53, s5
	v_add_co_u32_e32 v28, vcc, s4, v28
	v_addc_co_u32_e32 v29, vcc, v53, v29, vcc
	global_load_dword v61, v[26:27], off
	global_load_dword v62, v[28:29], off
	s_waitcnt vmcnt(13)
	buffer_store_dword v31, off, s[0:3], 0
	s_waitcnt vmcnt(13)
	buffer_store_dword v33, off, s[0:3], 0 offset:4
	s_waitcnt vmcnt(12)
	buffer_store_dword v37, off, s[0:3], 0 offset:12
	buffer_store_dword v35, off, s[0:3], 0 offset:8
	s_waitcnt vmcnt(13)
	buffer_store_dword v39, off, s[0:3], 0 offset:16
	s_waitcnt vmcnt(13)
	;; [unrolled: 2-line block ×5, first 2 shown]
	buffer_store_dword v47, off, s[0:3], 0 offset:32
	v_ashrrev_i32_e32 v31, 31, v30
	v_lshlrev_b64 v[30:31], 2, v[30:31]
	v_mov_b32_e32 v33, s5
	v_add_co_u32_e32 v30, vcc, s4, v30
	v_addc_co_u32_e32 v31, vcc, v33, v31, vcc
	v_ashrrev_i32_e32 v33, 31, v32
	v_lshlrev_b64 v[32:33], 2, v[32:33]
	v_mov_b32_e32 v35, s5
	v_add_co_u32_e32 v32, vcc, s4, v32
	v_addc_co_u32_e32 v33, vcc, v35, v33, vcc
	v_ashrrev_i32_e32 v35, 31, v34
	v_lshlrev_b64 v[34:35], 2, v[34:35]
	v_mov_b32_e32 v37, s5
	v_add_co_u32_e32 v34, vcc, s4, v34
	v_addc_co_u32_e32 v35, vcc, v37, v35, vcc
	v_ashrrev_i32_e32 v37, 31, v36
	v_lshlrev_b64 v[36:37], 2, v[36:37]
	v_mov_b32_e32 v39, s5
	v_add_co_u32_e32 v36, vcc, s4, v36
	v_addc_co_u32_e32 v37, vcc, v39, v37, vcc
	v_ashrrev_i32_e32 v39, 31, v38
	v_lshlrev_b64 v[38:39], 2, v[38:39]
	v_mov_b32_e32 v41, s5
	v_add_co_u32_e32 v38, vcc, s4, v38
	v_addc_co_u32_e32 v39, vcc, v41, v39, vcc
	global_load_dword v63, v[30:31], off
	global_load_dword v64, v[32:33], off
	;; [unrolled: 1-line block ×5, first 2 shown]
	v_ashrrev_i32_e32 v41, 31, v40
	v_lshlrev_b64 v[40:41], 2, v[40:41]
	v_mov_b32_e32 v43, s5
	v_add_co_u32_e32 v40, vcc, s4, v40
	v_addc_co_u32_e32 v41, vcc, v43, v41, vcc
	v_ashrrev_i32_e32 v43, 31, v42
	v_lshlrev_b64 v[42:43], 2, v[42:43]
	v_mov_b32_e32 v45, s5
	v_add_co_u32_e32 v42, vcc, s4, v42
	v_addc_co_u32_e32 v43, vcc, v45, v43, vcc
	;; [unrolled: 5-line block ×3, first 2 shown]
	v_ashrrev_i32_e32 v47, 31, v46
	v_lshlrev_b64 v[46:47], 2, v[46:47]
	s_waitcnt vmcnt(18)
	buffer_store_dword v49, off, s[0:3], 0 offset:36
	s_waitcnt vmcnt(17)
	buffer_store_dword v51, off, s[0:3], 0 offset:44
	v_mov_b32_e32 v49, s5
	v_add_co_u32_e32 v46, vcc, s4, v46
	v_addc_co_u32_e32 v47, vcc, v49, v47, vcc
	v_ashrrev_i32_e32 v49, 31, v48
	v_lshlrev_b64 v[48:49], 2, v[48:49]
	v_mov_b32_e32 v51, s5
	v_add_co_u32_e32 v48, vcc, s4, v48
	v_addc_co_u32_e32 v49, vcc, v51, v49, vcc
	v_ashrrev_i32_e32 v51, 31, v50
	v_lshlrev_b64 v[50:51], 2, v[50:51]
	v_add_co_u32_e32 v50, vcc, s4, v50
	v_addc_co_u32_e32 v51, vcc, v53, v51, vcc
	v_ashrrev_i32_e32 v53, 31, v52
	v_lshlrev_b64 v[52:53], 2, v[52:53]
	v_mov_b32_e32 v55, s5
	v_add_co_u32_e32 v52, vcc, s4, v52
	v_addc_co_u32_e32 v53, vcc, v55, v53, vcc
	v_ashrrev_i32_e32 v55, 31, v54
	v_lshlrev_b64 v[54:55], 2, v[54:55]
	v_mov_b32_e32 v57, s5
	;; [unrolled: 5-line block ×4, first 2 shown]
	v_add_co_u32_e32 v58, vcc, s4, v58
	v_addc_co_u32_e32 v59, vcc, v68, v59, vcc
	global_load_dword v68, v[40:41], off
	global_load_dword v69, v[42:43], off
	;; [unrolled: 1-line block ×7, first 2 shown]
	s_cmpk_lg_i32 s13, 0x84
	buffer_store_dword v60, off, s[0:3], 0 offset:40
	global_load_dword v60, v[56:57], off
	s_nop 0
	global_load_dword v76, v[54:55], off
	s_cselect_b64 s[10:11], -1, 0
	s_waitcnt vmcnt(16)
	buffer_store_dword v63, off, s[0:3], 0 offset:48
	global_load_dword v63, v[58:59], off
	s_cmpk_eq_i32 s13, 0x84
	s_waitcnt vmcnt(17)
	buffer_store_dword v64, off, s[0:3], 0 offset:52
	s_waitcnt vmcnt(17)
	buffer_store_dword v65, off, s[0:3], 0 offset:56
	;; [unrolled: 2-line block ×8, first 2 shown]
	buffer_store_dword v71, off, s[0:3], 0 offset:80
	s_waitcnt vmcnt(14)
	buffer_store_dword v75, off, s[0:3], 0 offset:92
	buffer_store_dword v73, off, s[0:3], 0 offset:88
	s_waitcnt vmcnt(14)
	buffer_store_dword v60, off, s[0:3], 0 offset:100
	s_waitcnt vmcnt(14)
	buffer_store_dword v76, off, s[0:3], 0 offset:96
	buffer_store_dword v61, off, s[0:3], 0 offset:108
	s_waitcnt vmcnt(14)
	buffer_store_dword v63, off, s[0:3], 0 offset:104
	buffer_store_dword v62, off, s[0:3], 0 offset:112
	v_mov_b32_e32 v60, -1.0
	s_cbranch_scc1 .LBB28_3
; %bb.2:
	v_lshl_add_u32 v60, v0, 2, v74
	buffer_load_dword v61, v60, s[0:3], 0 offen
	s_waitcnt vmcnt(0)
	v_div_scale_f32 v62, s[4:5], v61, v61, 1.0
	v_rcp_f32_e32 v63, v62
	v_div_scale_f32 v64, vcc, 1.0, v61, 1.0
	v_fma_f32 v65, -v62, v63, 1.0
	v_fmac_f32_e32 v63, v65, v63
	v_mul_f32_e32 v65, v64, v63
	v_fma_f32 v66, -v62, v65, v64
	v_fmac_f32_e32 v65, v66, v63
	v_fma_f32 v62, -v62, v65, v64
	v_div_fmas_f32 v62, v62, v63, v65
	v_div_fixup_f32 v61, v62, v61, 1.0
	buffer_store_dword v61, v60, s[0:3], 0 offen
	v_xor_b32_e32 v60, 0x80000000, v61
.LBB28_3:
	ds_write_b32 v1, v60
	s_cmpk_eq_i32 s12, 0x79
	v_add_u32_e32 v60, 0x80, v1
	v_add_u32_e32 v61, 0, v1
	s_mov_b64 s[4:5], -1
	s_cbranch_scc1 .LBB28_277
; %bb.4:
	buffer_load_dword v62, off, s[0:3], 0 offset:108
	v_cmp_eq_u32_e64 s[4:5], 28, v0
	s_waitcnt vmcnt(0)
	ds_write_b32 v60, v62
	s_waitcnt lgkmcnt(0)
	; wave barrier
	s_waitcnt lgkmcnt(0)
	s_and_saveexec_b64 s[6:7], s[4:5]
	s_cbranch_execz .LBB28_10
; %bb.5:
	s_and_b64 vcc, exec, s[10:11]
	s_cbranch_vccz .LBB28_7
; %bb.6:
	buffer_load_dword v62, v61, s[0:3], 0 offen
	ds_read_b32 v63, v60
	s_waitcnt vmcnt(0) lgkmcnt(0)
	v_mul_f32_e32 v62, v62, v63
	s_cbranch_execz .LBB28_8
	s_branch .LBB28_9
.LBB28_7:
                                        ; implicit-def: $vgpr62
.LBB28_8:
	ds_read_b32 v62, v60
.LBB28_9:
	v_mov_b32_e32 v63, 0
	ds_read_b32 v63, v63 offset:108
	s_waitcnt lgkmcnt(0)
	v_mul_f32_e32 v62, v62, v63
	buffer_store_dword v62, off, s[0:3], 0 offset:108
.LBB28_10:
	s_or_b64 exec, exec, s[6:7]
	buffer_load_dword v75, off, s[0:3], 0 offset:104
	v_or_b32_e32 v62, 8, v74
	v_add_u32_e32 v63, 16, v74
	v_add_u32_e32 v64, 24, v74
	;; [unrolled: 1-line block ×12, first 2 shown]
	v_cmp_lt_u32_e64 s[8:9], 26, v0
	s_waitcnt vmcnt(0)
	ds_write_b32 v60, v75
	s_waitcnt lgkmcnt(0)
	; wave barrier
	s_waitcnt lgkmcnt(0)
	s_and_saveexec_b64 s[6:7], s[8:9]
	s_cbranch_execz .LBB28_16
; %bb.11:
	s_andn2_b64 vcc, exec, s[10:11]
	s_cbranch_vccnz .LBB28_13
; %bb.12:
	buffer_load_dword v75, v61, s[0:3], 0 offen
	ds_read_b32 v76, v60
	s_waitcnt vmcnt(0) lgkmcnt(0)
	v_mul_f32_e32 v75, v75, v76
	s_cbranch_execz .LBB28_14
	s_branch .LBB28_15
.LBB28_13:
                                        ; implicit-def: $vgpr75
.LBB28_14:
	ds_read_b32 v75, v60
.LBB28_15:
	buffer_load_dword v78, off, s[0:3], 0 offset:108
	v_mov_b32_e32 v76, 0
	ds_read2_b32 v[76:77], v76 offset0:26 offset1:59
	s_waitcnt vmcnt(0) lgkmcnt(0)
	v_fma_f32 v77, v78, v77, v75
	v_cndmask_b32_e64 v75, v75, v77, s[4:5]
	v_mul_f32_e32 v75, v75, v76
	buffer_store_dword v75, off, s[0:3], 0 offset:104
.LBB28_16:
	s_or_b64 exec, exec, s[6:7]
	buffer_load_dword v75, off, s[0:3], 0 offset:100
	v_cmp_lt_u32_e64 s[6:7], 25, v0
	s_waitcnt vmcnt(0)
	ds_write_b32 v60, v75
	s_waitcnt lgkmcnt(0)
	; wave barrier
	s_waitcnt lgkmcnt(0)
	s_and_saveexec_b64 s[4:5], s[6:7]
	s_cbranch_execz .LBB28_26
; %bb.17:
	s_andn2_b64 vcc, exec, s[10:11]
	s_cbranch_vccnz .LBB28_19
; %bb.18:
	buffer_load_dword v75, v61, s[0:3], 0 offen
	ds_read_b32 v76, v60
	s_waitcnt vmcnt(0) lgkmcnt(0)
	v_mul_f32_e32 v75, v75, v76
	s_cbranch_execz .LBB28_20
	s_branch .LBB28_21
.LBB28_19:
                                        ; implicit-def: $vgpr75
.LBB28_20:
	ds_read_b32 v75, v60
.LBB28_21:
	s_and_saveexec_b64 s[12:13], s[8:9]
	s_cbranch_execz .LBB28_25
; %bb.22:
	v_subrev_u32_e32 v76, 26, v0
	s_movk_i32 s14, 0xe8
	s_mov_b64 s[8:9], 0
.LBB28_23:                              ; =>This Inner Loop Header: Depth=1
	buffer_load_dword v77, v74, s[0:3], 0 offen
	v_mov_b32_e32 v78, s14
	ds_read_b32 v78, v78
	v_add_u32_e32 v76, -1, v76
	s_add_i32 s14, s14, 4
	v_cmp_eq_u32_e32 vcc, 0, v76
	v_add_u32_e32 v74, 4, v74
	s_or_b64 s[8:9], vcc, s[8:9]
	s_waitcnt vmcnt(0) lgkmcnt(0)
	v_fmac_f32_e32 v75, v77, v78
	s_andn2_b64 exec, exec, s[8:9]
	s_cbranch_execnz .LBB28_23
; %bb.24:
	s_or_b64 exec, exec, s[8:9]
.LBB28_25:
	s_or_b64 exec, exec, s[12:13]
	v_mov_b32_e32 v74, 0
	ds_read_b32 v74, v74 offset:100
	s_waitcnt lgkmcnt(0)
	v_mul_f32_e32 v74, v75, v74
	buffer_store_dword v74, off, s[0:3], 0 offset:100
.LBB28_26:
	s_or_b64 exec, exec, s[4:5]
	buffer_load_dword v74, off, s[0:3], 0 offset:96
	v_cmp_lt_u32_e64 s[4:5], 24, v0
	s_waitcnt vmcnt(0)
	ds_write_b32 v60, v74
	s_waitcnt lgkmcnt(0)
	; wave barrier
	s_waitcnt lgkmcnt(0)
	s_and_saveexec_b64 s[8:9], s[4:5]
	s_cbranch_execz .LBB28_36
; %bb.27:
	s_andn2_b64 vcc, exec, s[10:11]
	s_cbranch_vccnz .LBB28_29
; %bb.28:
	buffer_load_dword v74, v61, s[0:3], 0 offen
	ds_read_b32 v75, v60
	s_waitcnt vmcnt(0) lgkmcnt(0)
	v_mul_f32_e32 v74, v74, v75
	s_cbranch_execz .LBB28_30
	s_branch .LBB28_31
.LBB28_29:
                                        ; implicit-def: $vgpr74
.LBB28_30:
	ds_read_b32 v74, v60
.LBB28_31:
	s_and_saveexec_b64 s[12:13], s[6:7]
	s_cbranch_execz .LBB28_35
; %bb.32:
	v_mov_b32_e32 v75, 0
	v_add_u32_e32 v75, 0x64, v75
	v_subrev_u32_e32 v76, 25, v0
	s_movk_i32 s14, 0xe4
	s_mov_b64 s[6:7], 0
.LBB28_33:                              ; =>This Inner Loop Header: Depth=1
	buffer_load_dword v77, v75, s[0:3], 0 offen
	v_mov_b32_e32 v78, s14
	ds_read_b32 v78, v78
	v_add_u32_e32 v76, -1, v76
	s_add_i32 s14, s14, 4
	v_cmp_eq_u32_e32 vcc, 0, v76
	v_add_u32_e32 v75, 4, v75
	s_or_b64 s[6:7], vcc, s[6:7]
	s_waitcnt vmcnt(0) lgkmcnt(0)
	v_fmac_f32_e32 v74, v77, v78
	s_andn2_b64 exec, exec, s[6:7]
	s_cbranch_execnz .LBB28_33
; %bb.34:
	s_or_b64 exec, exec, s[6:7]
.LBB28_35:
	s_or_b64 exec, exec, s[12:13]
	v_mov_b32_e32 v75, 0
	ds_read_b32 v75, v75 offset:96
	s_waitcnt lgkmcnt(0)
	v_mul_f32_e32 v74, v74, v75
	buffer_store_dword v74, off, s[0:3], 0 offset:96
.LBB28_36:
	s_or_b64 exec, exec, s[8:9]
	buffer_load_dword v74, off, s[0:3], 0 offset:92
	v_cmp_lt_u32_e64 s[6:7], 23, v0
	s_waitcnt vmcnt(0)
	ds_write_b32 v60, v74
	s_waitcnt lgkmcnt(0)
	; wave barrier
	s_waitcnt lgkmcnt(0)
	s_and_saveexec_b64 s[8:9], s[6:7]
	s_cbranch_execz .LBB28_46
; %bb.37:
	s_andn2_b64 vcc, exec, s[10:11]
	s_cbranch_vccnz .LBB28_39
; %bb.38:
	buffer_load_dword v74, v61, s[0:3], 0 offen
	ds_read_b32 v75, v60
	s_waitcnt vmcnt(0) lgkmcnt(0)
	v_mul_f32_e32 v74, v74, v75
	s_cbranch_execz .LBB28_40
	s_branch .LBB28_41
.LBB28_39:
                                        ; implicit-def: $vgpr74
.LBB28_40:
	ds_read_b32 v74, v60
.LBB28_41:
	s_and_saveexec_b64 s[12:13], s[4:5]
	s_cbranch_execz .LBB28_45
; %bb.42:
	v_subrev_u32_e32 v75, 24, v0
	s_movk_i32 s14, 0xe0
	s_mov_b64 s[4:5], 0
.LBB28_43:                              ; =>This Inner Loop Header: Depth=1
	buffer_load_dword v76, v73, s[0:3], 0 offen
	v_mov_b32_e32 v77, s14
	ds_read_b32 v77, v77
	v_add_u32_e32 v75, -1, v75
	s_add_i32 s14, s14, 4
	v_cmp_eq_u32_e32 vcc, 0, v75
	v_add_u32_e32 v73, 4, v73
	s_or_b64 s[4:5], vcc, s[4:5]
	s_waitcnt vmcnt(0) lgkmcnt(0)
	v_fmac_f32_e32 v74, v76, v77
	s_andn2_b64 exec, exec, s[4:5]
	s_cbranch_execnz .LBB28_43
; %bb.44:
	s_or_b64 exec, exec, s[4:5]
.LBB28_45:
	s_or_b64 exec, exec, s[12:13]
	v_mov_b32_e32 v73, 0
	ds_read_b32 v73, v73 offset:92
	s_waitcnt lgkmcnt(0)
	v_mul_f32_e32 v73, v74, v73
	buffer_store_dword v73, off, s[0:3], 0 offset:92
.LBB28_46:
	s_or_b64 exec, exec, s[8:9]
	buffer_load_dword v73, off, s[0:3], 0 offset:88
	v_cmp_lt_u32_e64 s[4:5], 22, v0
	s_waitcnt vmcnt(0)
	ds_write_b32 v60, v73
	s_waitcnt lgkmcnt(0)
	; wave barrier
	s_waitcnt lgkmcnt(0)
	s_and_saveexec_b64 s[8:9], s[4:5]
	s_cbranch_execz .LBB28_56
; %bb.47:
	s_andn2_b64 vcc, exec, s[10:11]
	s_cbranch_vccnz .LBB28_49
; %bb.48:
	buffer_load_dword v73, v61, s[0:3], 0 offen
	ds_read_b32 v74, v60
	s_waitcnt vmcnt(0) lgkmcnt(0)
	v_mul_f32_e32 v73, v73, v74
	s_cbranch_execz .LBB28_50
	s_branch .LBB28_51
.LBB28_49:
                                        ; implicit-def: $vgpr73
.LBB28_50:
	ds_read_b32 v73, v60
.LBB28_51:
	s_and_saveexec_b64 s[12:13], s[6:7]
	s_cbranch_execz .LBB28_55
; %bb.52:
	v_mov_b32_e32 v74, 0
	v_add_u32_e32 v74, 0x5c, v74
	v_subrev_u32_e32 v75, 23, v0
	s_movk_i32 s14, 0xdc
	s_mov_b64 s[6:7], 0
.LBB28_53:                              ; =>This Inner Loop Header: Depth=1
	buffer_load_dword v76, v74, s[0:3], 0 offen
	v_mov_b32_e32 v77, s14
	ds_read_b32 v77, v77
	v_add_u32_e32 v75, -1, v75
	s_add_i32 s14, s14, 4
	v_cmp_eq_u32_e32 vcc, 0, v75
	v_add_u32_e32 v74, 4, v74
	s_or_b64 s[6:7], vcc, s[6:7]
	s_waitcnt vmcnt(0) lgkmcnt(0)
	v_fmac_f32_e32 v73, v76, v77
	s_andn2_b64 exec, exec, s[6:7]
	s_cbranch_execnz .LBB28_53
; %bb.54:
	s_or_b64 exec, exec, s[6:7]
.LBB28_55:
	s_or_b64 exec, exec, s[12:13]
	v_mov_b32_e32 v74, 0
	ds_read_b32 v74, v74 offset:88
	s_waitcnt lgkmcnt(0)
	v_mul_f32_e32 v73, v73, v74
	buffer_store_dword v73, off, s[0:3], 0 offset:88
.LBB28_56:
	s_or_b64 exec, exec, s[8:9]
	buffer_load_dword v73, off, s[0:3], 0 offset:84
	v_cmp_lt_u32_e64 s[6:7], 21, v0
	s_waitcnt vmcnt(0)
	ds_write_b32 v60, v73
	s_waitcnt lgkmcnt(0)
	; wave barrier
	s_waitcnt lgkmcnt(0)
	s_and_saveexec_b64 s[8:9], s[6:7]
	s_cbranch_execz .LBB28_66
; %bb.57:
	s_andn2_b64 vcc, exec, s[10:11]
	s_cbranch_vccnz .LBB28_59
; %bb.58:
	buffer_load_dword v73, v61, s[0:3], 0 offen
	ds_read_b32 v74, v60
	s_waitcnt vmcnt(0) lgkmcnt(0)
	v_mul_f32_e32 v73, v73, v74
	s_cbranch_execz .LBB28_60
	s_branch .LBB28_61
.LBB28_59:
                                        ; implicit-def: $vgpr73
.LBB28_60:
	ds_read_b32 v73, v60
.LBB28_61:
	s_and_saveexec_b64 s[12:13], s[4:5]
	s_cbranch_execz .LBB28_65
; %bb.62:
	v_subrev_u32_e32 v74, 22, v0
	s_movk_i32 s14, 0xd8
	s_mov_b64 s[4:5], 0
.LBB28_63:                              ; =>This Inner Loop Header: Depth=1
	buffer_load_dword v75, v72, s[0:3], 0 offen
	v_mov_b32_e32 v76, s14
	ds_read_b32 v76, v76
	v_add_u32_e32 v74, -1, v74
	s_add_i32 s14, s14, 4
	v_cmp_eq_u32_e32 vcc, 0, v74
	v_add_u32_e32 v72, 4, v72
	s_or_b64 s[4:5], vcc, s[4:5]
	s_waitcnt vmcnt(0) lgkmcnt(0)
	v_fmac_f32_e32 v73, v75, v76
	s_andn2_b64 exec, exec, s[4:5]
	s_cbranch_execnz .LBB28_63
; %bb.64:
	s_or_b64 exec, exec, s[4:5]
.LBB28_65:
	s_or_b64 exec, exec, s[12:13]
	v_mov_b32_e32 v72, 0
	ds_read_b32 v72, v72 offset:84
	s_waitcnt lgkmcnt(0)
	v_mul_f32_e32 v72, v73, v72
	buffer_store_dword v72, off, s[0:3], 0 offset:84
.LBB28_66:
	s_or_b64 exec, exec, s[8:9]
	buffer_load_dword v72, off, s[0:3], 0 offset:80
	v_cmp_lt_u32_e64 s[4:5], 20, v0
	s_waitcnt vmcnt(0)
	ds_write_b32 v60, v72
	s_waitcnt lgkmcnt(0)
	; wave barrier
	s_waitcnt lgkmcnt(0)
	s_and_saveexec_b64 s[8:9], s[4:5]
	s_cbranch_execz .LBB28_76
; %bb.67:
	s_andn2_b64 vcc, exec, s[10:11]
	s_cbranch_vccnz .LBB28_69
; %bb.68:
	buffer_load_dword v72, v61, s[0:3], 0 offen
	ds_read_b32 v73, v60
	s_waitcnt vmcnt(0) lgkmcnt(0)
	v_mul_f32_e32 v72, v72, v73
	s_cbranch_execz .LBB28_70
	s_branch .LBB28_71
.LBB28_69:
                                        ; implicit-def: $vgpr72
.LBB28_70:
	ds_read_b32 v72, v60
.LBB28_71:
	s_and_saveexec_b64 s[12:13], s[6:7]
	s_cbranch_execz .LBB28_75
; %bb.72:
	v_mov_b32_e32 v73, 0
	v_add_u32_e32 v73, 0x54, v73
	v_subrev_u32_e32 v74, 21, v0
	s_movk_i32 s14, 0xd4
	s_mov_b64 s[6:7], 0
.LBB28_73:                              ; =>This Inner Loop Header: Depth=1
	buffer_load_dword v75, v73, s[0:3], 0 offen
	v_mov_b32_e32 v76, s14
	ds_read_b32 v76, v76
	v_add_u32_e32 v74, -1, v74
	s_add_i32 s14, s14, 4
	v_cmp_eq_u32_e32 vcc, 0, v74
	v_add_u32_e32 v73, 4, v73
	s_or_b64 s[6:7], vcc, s[6:7]
	s_waitcnt vmcnt(0) lgkmcnt(0)
	v_fmac_f32_e32 v72, v75, v76
	s_andn2_b64 exec, exec, s[6:7]
	s_cbranch_execnz .LBB28_73
; %bb.74:
	s_or_b64 exec, exec, s[6:7]
.LBB28_75:
	s_or_b64 exec, exec, s[12:13]
	v_mov_b32_e32 v73, 0
	ds_read_b32 v73, v73 offset:80
	s_waitcnt lgkmcnt(0)
	v_mul_f32_e32 v72, v72, v73
	buffer_store_dword v72, off, s[0:3], 0 offset:80
.LBB28_76:
	s_or_b64 exec, exec, s[8:9]
	buffer_load_dword v72, off, s[0:3], 0 offset:76
	v_cmp_lt_u32_e64 s[6:7], 19, v0
	s_waitcnt vmcnt(0)
	ds_write_b32 v60, v72
	s_waitcnt lgkmcnt(0)
	; wave barrier
	s_waitcnt lgkmcnt(0)
	s_and_saveexec_b64 s[8:9], s[6:7]
	s_cbranch_execz .LBB28_86
; %bb.77:
	s_andn2_b64 vcc, exec, s[10:11]
	s_cbranch_vccnz .LBB28_79
; %bb.78:
	buffer_load_dword v72, v61, s[0:3], 0 offen
	ds_read_b32 v73, v60
	s_waitcnt vmcnt(0) lgkmcnt(0)
	v_mul_f32_e32 v72, v72, v73
	s_cbranch_execz .LBB28_80
	s_branch .LBB28_81
.LBB28_79:
                                        ; implicit-def: $vgpr72
.LBB28_80:
	ds_read_b32 v72, v60
.LBB28_81:
	s_and_saveexec_b64 s[12:13], s[4:5]
	s_cbranch_execz .LBB28_85
; %bb.82:
	v_subrev_u32_e32 v73, 20, v0
	s_movk_i32 s14, 0xd0
	s_mov_b64 s[4:5], 0
.LBB28_83:                              ; =>This Inner Loop Header: Depth=1
	buffer_load_dword v74, v71, s[0:3], 0 offen
	v_mov_b32_e32 v75, s14
	ds_read_b32 v75, v75
	v_add_u32_e32 v73, -1, v73
	s_add_i32 s14, s14, 4
	v_cmp_eq_u32_e32 vcc, 0, v73
	v_add_u32_e32 v71, 4, v71
	s_or_b64 s[4:5], vcc, s[4:5]
	s_waitcnt vmcnt(0) lgkmcnt(0)
	v_fmac_f32_e32 v72, v74, v75
	s_andn2_b64 exec, exec, s[4:5]
	s_cbranch_execnz .LBB28_83
; %bb.84:
	s_or_b64 exec, exec, s[4:5]
.LBB28_85:
	s_or_b64 exec, exec, s[12:13]
	v_mov_b32_e32 v71, 0
	ds_read_b32 v71, v71 offset:76
	s_waitcnt lgkmcnt(0)
	v_mul_f32_e32 v71, v72, v71
	buffer_store_dword v71, off, s[0:3], 0 offset:76
.LBB28_86:
	s_or_b64 exec, exec, s[8:9]
	buffer_load_dword v71, off, s[0:3], 0 offset:72
	v_cmp_lt_u32_e64 s[4:5], 18, v0
	s_waitcnt vmcnt(0)
	ds_write_b32 v60, v71
	s_waitcnt lgkmcnt(0)
	; wave barrier
	s_waitcnt lgkmcnt(0)
	s_and_saveexec_b64 s[8:9], s[4:5]
	s_cbranch_execz .LBB28_96
; %bb.87:
	s_andn2_b64 vcc, exec, s[10:11]
	s_cbranch_vccnz .LBB28_89
; %bb.88:
	buffer_load_dword v71, v61, s[0:3], 0 offen
	ds_read_b32 v72, v60
	s_waitcnt vmcnt(0) lgkmcnt(0)
	v_mul_f32_e32 v71, v71, v72
	s_cbranch_execz .LBB28_90
	s_branch .LBB28_91
.LBB28_89:
                                        ; implicit-def: $vgpr71
.LBB28_90:
	ds_read_b32 v71, v60
.LBB28_91:
	s_and_saveexec_b64 s[12:13], s[6:7]
	s_cbranch_execz .LBB28_95
; %bb.92:
	v_mov_b32_e32 v72, 0
	v_add_u32_e32 v72, 0x4c, v72
	v_subrev_u32_e32 v73, 19, v0
	s_movk_i32 s14, 0xcc
	s_mov_b64 s[6:7], 0
.LBB28_93:                              ; =>This Inner Loop Header: Depth=1
	buffer_load_dword v74, v72, s[0:3], 0 offen
	v_mov_b32_e32 v75, s14
	ds_read_b32 v75, v75
	v_add_u32_e32 v73, -1, v73
	s_add_i32 s14, s14, 4
	v_cmp_eq_u32_e32 vcc, 0, v73
	v_add_u32_e32 v72, 4, v72
	s_or_b64 s[6:7], vcc, s[6:7]
	s_waitcnt vmcnt(0) lgkmcnt(0)
	v_fmac_f32_e32 v71, v74, v75
	s_andn2_b64 exec, exec, s[6:7]
	s_cbranch_execnz .LBB28_93
; %bb.94:
	s_or_b64 exec, exec, s[6:7]
.LBB28_95:
	s_or_b64 exec, exec, s[12:13]
	v_mov_b32_e32 v72, 0
	ds_read_b32 v72, v72 offset:72
	s_waitcnt lgkmcnt(0)
	v_mul_f32_e32 v71, v71, v72
	buffer_store_dword v71, off, s[0:3], 0 offset:72
.LBB28_96:
	s_or_b64 exec, exec, s[8:9]
	buffer_load_dword v71, off, s[0:3], 0 offset:68
	v_cmp_lt_u32_e64 s[6:7], 17, v0
	s_waitcnt vmcnt(0)
	ds_write_b32 v60, v71
	s_waitcnt lgkmcnt(0)
	; wave barrier
	s_waitcnt lgkmcnt(0)
	s_and_saveexec_b64 s[8:9], s[6:7]
	s_cbranch_execz .LBB28_106
; %bb.97:
	s_andn2_b64 vcc, exec, s[10:11]
	s_cbranch_vccnz .LBB28_99
; %bb.98:
	buffer_load_dword v71, v61, s[0:3], 0 offen
	ds_read_b32 v72, v60
	s_waitcnt vmcnt(0) lgkmcnt(0)
	v_mul_f32_e32 v71, v71, v72
	s_cbranch_execz .LBB28_100
	s_branch .LBB28_101
.LBB28_99:
                                        ; implicit-def: $vgpr71
.LBB28_100:
	ds_read_b32 v71, v60
.LBB28_101:
	s_and_saveexec_b64 s[12:13], s[4:5]
	s_cbranch_execz .LBB28_105
; %bb.102:
	v_subrev_u32_e32 v72, 18, v0
	s_movk_i32 s14, 0xc8
	s_mov_b64 s[4:5], 0
.LBB28_103:                             ; =>This Inner Loop Header: Depth=1
	buffer_load_dword v73, v70, s[0:3], 0 offen
	v_mov_b32_e32 v74, s14
	ds_read_b32 v74, v74
	v_add_u32_e32 v72, -1, v72
	s_add_i32 s14, s14, 4
	v_cmp_eq_u32_e32 vcc, 0, v72
	v_add_u32_e32 v70, 4, v70
	s_or_b64 s[4:5], vcc, s[4:5]
	s_waitcnt vmcnt(0) lgkmcnt(0)
	v_fmac_f32_e32 v71, v73, v74
	s_andn2_b64 exec, exec, s[4:5]
	s_cbranch_execnz .LBB28_103
; %bb.104:
	s_or_b64 exec, exec, s[4:5]
.LBB28_105:
	s_or_b64 exec, exec, s[12:13]
	v_mov_b32_e32 v70, 0
	ds_read_b32 v70, v70 offset:68
	s_waitcnt lgkmcnt(0)
	v_mul_f32_e32 v70, v71, v70
	buffer_store_dword v70, off, s[0:3], 0 offset:68
.LBB28_106:
	s_or_b64 exec, exec, s[8:9]
	buffer_load_dword v70, off, s[0:3], 0 offset:64
	v_cmp_lt_u32_e64 s[4:5], 16, v0
	s_waitcnt vmcnt(0)
	ds_write_b32 v60, v70
	s_waitcnt lgkmcnt(0)
	; wave barrier
	s_waitcnt lgkmcnt(0)
	s_and_saveexec_b64 s[8:9], s[4:5]
	s_cbranch_execz .LBB28_116
; %bb.107:
	s_andn2_b64 vcc, exec, s[10:11]
	s_cbranch_vccnz .LBB28_109
; %bb.108:
	buffer_load_dword v70, v61, s[0:3], 0 offen
	ds_read_b32 v71, v60
	s_waitcnt vmcnt(0) lgkmcnt(0)
	v_mul_f32_e32 v70, v70, v71
	s_cbranch_execz .LBB28_110
	s_branch .LBB28_111
.LBB28_109:
                                        ; implicit-def: $vgpr70
.LBB28_110:
	ds_read_b32 v70, v60
.LBB28_111:
	s_and_saveexec_b64 s[12:13], s[6:7]
	s_cbranch_execz .LBB28_115
; %bb.112:
	v_mov_b32_e32 v71, 0
	v_add_u32_e32 v71, 0x44, v71
	v_subrev_u32_e32 v72, 17, v0
	s_movk_i32 s14, 0xc4
	s_mov_b64 s[6:7], 0
.LBB28_113:                             ; =>This Inner Loop Header: Depth=1
	buffer_load_dword v73, v71, s[0:3], 0 offen
	v_mov_b32_e32 v74, s14
	ds_read_b32 v74, v74
	v_add_u32_e32 v72, -1, v72
	s_add_i32 s14, s14, 4
	v_cmp_eq_u32_e32 vcc, 0, v72
	v_add_u32_e32 v71, 4, v71
	s_or_b64 s[6:7], vcc, s[6:7]
	s_waitcnt vmcnt(0) lgkmcnt(0)
	v_fmac_f32_e32 v70, v73, v74
	s_andn2_b64 exec, exec, s[6:7]
	s_cbranch_execnz .LBB28_113
; %bb.114:
	s_or_b64 exec, exec, s[6:7]
.LBB28_115:
	s_or_b64 exec, exec, s[12:13]
	v_mov_b32_e32 v71, 0
	ds_read_b32 v71, v71 offset:64
	s_waitcnt lgkmcnt(0)
	v_mul_f32_e32 v70, v70, v71
	buffer_store_dword v70, off, s[0:3], 0 offset:64
.LBB28_116:
	s_or_b64 exec, exec, s[8:9]
	buffer_load_dword v70, off, s[0:3], 0 offset:60
	v_cmp_lt_u32_e64 s[6:7], 15, v0
	s_waitcnt vmcnt(0)
	ds_write_b32 v60, v70
	s_waitcnt lgkmcnt(0)
	; wave barrier
	s_waitcnt lgkmcnt(0)
	s_and_saveexec_b64 s[8:9], s[6:7]
	s_cbranch_execz .LBB28_126
; %bb.117:
	s_andn2_b64 vcc, exec, s[10:11]
	s_cbranch_vccnz .LBB28_119
; %bb.118:
	buffer_load_dword v70, v61, s[0:3], 0 offen
	ds_read_b32 v71, v60
	s_waitcnt vmcnt(0) lgkmcnt(0)
	v_mul_f32_e32 v70, v70, v71
	s_cbranch_execz .LBB28_120
	s_branch .LBB28_121
.LBB28_119:
                                        ; implicit-def: $vgpr70
.LBB28_120:
	ds_read_b32 v70, v60
.LBB28_121:
	s_and_saveexec_b64 s[12:13], s[4:5]
	s_cbranch_execz .LBB28_125
; %bb.122:
	v_add_u32_e32 v71, -16, v0
	s_movk_i32 s14, 0xc0
	s_mov_b64 s[4:5], 0
.LBB28_123:                             ; =>This Inner Loop Header: Depth=1
	buffer_load_dword v72, v69, s[0:3], 0 offen
	v_mov_b32_e32 v73, s14
	ds_read_b32 v73, v73
	v_add_u32_e32 v71, -1, v71
	s_add_i32 s14, s14, 4
	v_cmp_eq_u32_e32 vcc, 0, v71
	v_add_u32_e32 v69, 4, v69
	s_or_b64 s[4:5], vcc, s[4:5]
	s_waitcnt vmcnt(0) lgkmcnt(0)
	v_fmac_f32_e32 v70, v72, v73
	s_andn2_b64 exec, exec, s[4:5]
	s_cbranch_execnz .LBB28_123
; %bb.124:
	s_or_b64 exec, exec, s[4:5]
.LBB28_125:
	s_or_b64 exec, exec, s[12:13]
	v_mov_b32_e32 v69, 0
	ds_read_b32 v69, v69 offset:60
	s_waitcnt lgkmcnt(0)
	v_mul_f32_e32 v69, v70, v69
	buffer_store_dword v69, off, s[0:3], 0 offset:60
.LBB28_126:
	s_or_b64 exec, exec, s[8:9]
	buffer_load_dword v69, off, s[0:3], 0 offset:56
	v_cmp_lt_u32_e64 s[4:5], 14, v0
	s_waitcnt vmcnt(0)
	ds_write_b32 v60, v69
	s_waitcnt lgkmcnt(0)
	; wave barrier
	s_waitcnt lgkmcnt(0)
	s_and_saveexec_b64 s[8:9], s[4:5]
	s_cbranch_execz .LBB28_136
; %bb.127:
	s_andn2_b64 vcc, exec, s[10:11]
	s_cbranch_vccnz .LBB28_129
; %bb.128:
	buffer_load_dword v69, v61, s[0:3], 0 offen
	ds_read_b32 v70, v60
	s_waitcnt vmcnt(0) lgkmcnt(0)
	v_mul_f32_e32 v69, v69, v70
	s_cbranch_execz .LBB28_130
	s_branch .LBB28_131
.LBB28_129:
                                        ; implicit-def: $vgpr69
.LBB28_130:
	ds_read_b32 v69, v60
.LBB28_131:
	s_and_saveexec_b64 s[12:13], s[6:7]
	s_cbranch_execz .LBB28_135
; %bb.132:
	v_mov_b32_e32 v70, 0
	v_add_u32_e32 v70, 60, v70
	v_add_u32_e32 v71, -15, v0
	s_movk_i32 s14, 0xbc
	s_mov_b64 s[6:7], 0
.LBB28_133:                             ; =>This Inner Loop Header: Depth=1
	buffer_load_dword v72, v70, s[0:3], 0 offen
	v_mov_b32_e32 v73, s14
	ds_read_b32 v73, v73
	v_add_u32_e32 v71, -1, v71
	s_add_i32 s14, s14, 4
	v_cmp_eq_u32_e32 vcc, 0, v71
	v_add_u32_e32 v70, 4, v70
	s_or_b64 s[6:7], vcc, s[6:7]
	s_waitcnt vmcnt(0) lgkmcnt(0)
	v_fmac_f32_e32 v69, v72, v73
	s_andn2_b64 exec, exec, s[6:7]
	s_cbranch_execnz .LBB28_133
; %bb.134:
	s_or_b64 exec, exec, s[6:7]
.LBB28_135:
	s_or_b64 exec, exec, s[12:13]
	v_mov_b32_e32 v70, 0
	ds_read_b32 v70, v70 offset:56
	s_waitcnt lgkmcnt(0)
	v_mul_f32_e32 v69, v69, v70
	buffer_store_dword v69, off, s[0:3], 0 offset:56
.LBB28_136:
	s_or_b64 exec, exec, s[8:9]
	buffer_load_dword v69, off, s[0:3], 0 offset:52
	v_cmp_lt_u32_e64 s[6:7], 13, v0
	s_waitcnt vmcnt(0)
	ds_write_b32 v60, v69
	s_waitcnt lgkmcnt(0)
	; wave barrier
	s_waitcnt lgkmcnt(0)
	s_and_saveexec_b64 s[8:9], s[6:7]
	s_cbranch_execz .LBB28_146
; %bb.137:
	s_andn2_b64 vcc, exec, s[10:11]
	s_cbranch_vccnz .LBB28_139
; %bb.138:
	buffer_load_dword v69, v61, s[0:3], 0 offen
	ds_read_b32 v70, v60
	s_waitcnt vmcnt(0) lgkmcnt(0)
	v_mul_f32_e32 v69, v69, v70
	s_cbranch_execz .LBB28_140
	s_branch .LBB28_141
.LBB28_139:
                                        ; implicit-def: $vgpr69
.LBB28_140:
	ds_read_b32 v69, v60
.LBB28_141:
	s_and_saveexec_b64 s[12:13], s[4:5]
	s_cbranch_execz .LBB28_145
; %bb.142:
	v_add_u32_e32 v70, -14, v0
	s_movk_i32 s14, 0xb8
	s_mov_b64 s[4:5], 0
.LBB28_143:                             ; =>This Inner Loop Header: Depth=1
	buffer_load_dword v71, v68, s[0:3], 0 offen
	v_mov_b32_e32 v72, s14
	ds_read_b32 v72, v72
	v_add_u32_e32 v70, -1, v70
	s_add_i32 s14, s14, 4
	v_cmp_eq_u32_e32 vcc, 0, v70
	v_add_u32_e32 v68, 4, v68
	s_or_b64 s[4:5], vcc, s[4:5]
	s_waitcnt vmcnt(0) lgkmcnt(0)
	v_fmac_f32_e32 v69, v71, v72
	s_andn2_b64 exec, exec, s[4:5]
	s_cbranch_execnz .LBB28_143
; %bb.144:
	s_or_b64 exec, exec, s[4:5]
.LBB28_145:
	s_or_b64 exec, exec, s[12:13]
	v_mov_b32_e32 v68, 0
	ds_read_b32 v68, v68 offset:52
	s_waitcnt lgkmcnt(0)
	v_mul_f32_e32 v68, v69, v68
	buffer_store_dword v68, off, s[0:3], 0 offset:52
.LBB28_146:
	s_or_b64 exec, exec, s[8:9]
	buffer_load_dword v68, off, s[0:3], 0 offset:48
	v_cmp_lt_u32_e64 s[4:5], 12, v0
	s_waitcnt vmcnt(0)
	ds_write_b32 v60, v68
	s_waitcnt lgkmcnt(0)
	; wave barrier
	s_waitcnt lgkmcnt(0)
	s_and_saveexec_b64 s[8:9], s[4:5]
	s_cbranch_execz .LBB28_156
; %bb.147:
	s_andn2_b64 vcc, exec, s[10:11]
	s_cbranch_vccnz .LBB28_149
; %bb.148:
	buffer_load_dword v68, v61, s[0:3], 0 offen
	ds_read_b32 v69, v60
	s_waitcnt vmcnt(0) lgkmcnt(0)
	v_mul_f32_e32 v68, v68, v69
	s_cbranch_execz .LBB28_150
	s_branch .LBB28_151
.LBB28_149:
                                        ; implicit-def: $vgpr68
.LBB28_150:
	ds_read_b32 v68, v60
.LBB28_151:
	s_and_saveexec_b64 s[12:13], s[6:7]
	s_cbranch_execz .LBB28_155
; %bb.152:
	v_mov_b32_e32 v69, 0
	v_add_u32_e32 v69, 52, v69
	v_add_u32_e32 v70, -13, v0
	s_movk_i32 s14, 0xb4
	s_mov_b64 s[6:7], 0
.LBB28_153:                             ; =>This Inner Loop Header: Depth=1
	buffer_load_dword v71, v69, s[0:3], 0 offen
	v_mov_b32_e32 v72, s14
	ds_read_b32 v72, v72
	v_add_u32_e32 v70, -1, v70
	s_add_i32 s14, s14, 4
	v_cmp_eq_u32_e32 vcc, 0, v70
	v_add_u32_e32 v69, 4, v69
	s_or_b64 s[6:7], vcc, s[6:7]
	s_waitcnt vmcnt(0) lgkmcnt(0)
	v_fmac_f32_e32 v68, v71, v72
	s_andn2_b64 exec, exec, s[6:7]
	s_cbranch_execnz .LBB28_153
; %bb.154:
	s_or_b64 exec, exec, s[6:7]
.LBB28_155:
	s_or_b64 exec, exec, s[12:13]
	v_mov_b32_e32 v69, 0
	ds_read_b32 v69, v69 offset:48
	s_waitcnt lgkmcnt(0)
	v_mul_f32_e32 v68, v68, v69
	buffer_store_dword v68, off, s[0:3], 0 offset:48
.LBB28_156:
	s_or_b64 exec, exec, s[8:9]
	buffer_load_dword v68, off, s[0:3], 0 offset:44
	v_cmp_lt_u32_e64 s[6:7], 11, v0
	s_waitcnt vmcnt(0)
	ds_write_b32 v60, v68
	s_waitcnt lgkmcnt(0)
	; wave barrier
	s_waitcnt lgkmcnt(0)
	s_and_saveexec_b64 s[8:9], s[6:7]
	s_cbranch_execz .LBB28_166
; %bb.157:
	s_andn2_b64 vcc, exec, s[10:11]
	s_cbranch_vccnz .LBB28_159
; %bb.158:
	buffer_load_dword v68, v61, s[0:3], 0 offen
	ds_read_b32 v69, v60
	s_waitcnt vmcnt(0) lgkmcnt(0)
	v_mul_f32_e32 v68, v68, v69
	s_cbranch_execz .LBB28_160
	s_branch .LBB28_161
.LBB28_159:
                                        ; implicit-def: $vgpr68
.LBB28_160:
	ds_read_b32 v68, v60
.LBB28_161:
	s_and_saveexec_b64 s[12:13], s[4:5]
	s_cbranch_execz .LBB28_165
; %bb.162:
	v_add_u32_e32 v69, -12, v0
	s_movk_i32 s14, 0xb0
	s_mov_b64 s[4:5], 0
.LBB28_163:                             ; =>This Inner Loop Header: Depth=1
	buffer_load_dword v70, v67, s[0:3], 0 offen
	v_mov_b32_e32 v71, s14
	ds_read_b32 v71, v71
	v_add_u32_e32 v69, -1, v69
	s_add_i32 s14, s14, 4
	v_cmp_eq_u32_e32 vcc, 0, v69
	v_add_u32_e32 v67, 4, v67
	s_or_b64 s[4:5], vcc, s[4:5]
	s_waitcnt vmcnt(0) lgkmcnt(0)
	v_fmac_f32_e32 v68, v70, v71
	s_andn2_b64 exec, exec, s[4:5]
	s_cbranch_execnz .LBB28_163
; %bb.164:
	s_or_b64 exec, exec, s[4:5]
.LBB28_165:
	s_or_b64 exec, exec, s[12:13]
	v_mov_b32_e32 v67, 0
	ds_read_b32 v67, v67 offset:44
	s_waitcnt lgkmcnt(0)
	v_mul_f32_e32 v67, v68, v67
	buffer_store_dword v67, off, s[0:3], 0 offset:44
.LBB28_166:
	s_or_b64 exec, exec, s[8:9]
	buffer_load_dword v67, off, s[0:3], 0 offset:40
	v_cmp_lt_u32_e64 s[4:5], 10, v0
	s_waitcnt vmcnt(0)
	ds_write_b32 v60, v67
	s_waitcnt lgkmcnt(0)
	; wave barrier
	s_waitcnt lgkmcnt(0)
	s_and_saveexec_b64 s[8:9], s[4:5]
	s_cbranch_execz .LBB28_176
; %bb.167:
	s_andn2_b64 vcc, exec, s[10:11]
	s_cbranch_vccnz .LBB28_169
; %bb.168:
	buffer_load_dword v67, v61, s[0:3], 0 offen
	ds_read_b32 v68, v60
	s_waitcnt vmcnt(0) lgkmcnt(0)
	v_mul_f32_e32 v67, v67, v68
	s_cbranch_execz .LBB28_170
	s_branch .LBB28_171
.LBB28_169:
                                        ; implicit-def: $vgpr67
.LBB28_170:
	ds_read_b32 v67, v60
.LBB28_171:
	s_and_saveexec_b64 s[12:13], s[6:7]
	s_cbranch_execz .LBB28_175
; %bb.172:
	v_mov_b32_e32 v68, 0
	v_add_u32_e32 v68, 44, v68
	v_add_u32_e32 v69, -11, v0
	s_movk_i32 s14, 0xac
	s_mov_b64 s[6:7], 0
.LBB28_173:                             ; =>This Inner Loop Header: Depth=1
	buffer_load_dword v70, v68, s[0:3], 0 offen
	v_mov_b32_e32 v71, s14
	ds_read_b32 v71, v71
	v_add_u32_e32 v69, -1, v69
	s_add_i32 s14, s14, 4
	v_cmp_eq_u32_e32 vcc, 0, v69
	v_add_u32_e32 v68, 4, v68
	s_or_b64 s[6:7], vcc, s[6:7]
	s_waitcnt vmcnt(0) lgkmcnt(0)
	v_fmac_f32_e32 v67, v70, v71
	s_andn2_b64 exec, exec, s[6:7]
	s_cbranch_execnz .LBB28_173
; %bb.174:
	s_or_b64 exec, exec, s[6:7]
.LBB28_175:
	s_or_b64 exec, exec, s[12:13]
	v_mov_b32_e32 v68, 0
	ds_read_b32 v68, v68 offset:40
	s_waitcnt lgkmcnt(0)
	v_mul_f32_e32 v67, v67, v68
	buffer_store_dword v67, off, s[0:3], 0 offset:40
.LBB28_176:
	s_or_b64 exec, exec, s[8:9]
	buffer_load_dword v67, off, s[0:3], 0 offset:36
	v_cmp_lt_u32_e64 s[6:7], 9, v0
	s_waitcnt vmcnt(0)
	ds_write_b32 v60, v67
	s_waitcnt lgkmcnt(0)
	; wave barrier
	s_waitcnt lgkmcnt(0)
	s_and_saveexec_b64 s[8:9], s[6:7]
	s_cbranch_execz .LBB28_186
; %bb.177:
	s_andn2_b64 vcc, exec, s[10:11]
	s_cbranch_vccnz .LBB28_179
; %bb.178:
	buffer_load_dword v67, v61, s[0:3], 0 offen
	ds_read_b32 v68, v60
	s_waitcnt vmcnt(0) lgkmcnt(0)
	v_mul_f32_e32 v67, v67, v68
	s_cbranch_execz .LBB28_180
	s_branch .LBB28_181
.LBB28_179:
                                        ; implicit-def: $vgpr67
.LBB28_180:
	ds_read_b32 v67, v60
.LBB28_181:
	s_and_saveexec_b64 s[12:13], s[4:5]
	s_cbranch_execz .LBB28_185
; %bb.182:
	v_add_u32_e32 v68, -10, v0
	s_movk_i32 s14, 0xa8
	s_mov_b64 s[4:5], 0
.LBB28_183:                             ; =>This Inner Loop Header: Depth=1
	buffer_load_dword v69, v66, s[0:3], 0 offen
	v_mov_b32_e32 v70, s14
	ds_read_b32 v70, v70
	v_add_u32_e32 v68, -1, v68
	s_add_i32 s14, s14, 4
	v_cmp_eq_u32_e32 vcc, 0, v68
	v_add_u32_e32 v66, 4, v66
	s_or_b64 s[4:5], vcc, s[4:5]
	s_waitcnt vmcnt(0) lgkmcnt(0)
	v_fmac_f32_e32 v67, v69, v70
	s_andn2_b64 exec, exec, s[4:5]
	s_cbranch_execnz .LBB28_183
; %bb.184:
	s_or_b64 exec, exec, s[4:5]
.LBB28_185:
	s_or_b64 exec, exec, s[12:13]
	v_mov_b32_e32 v66, 0
	ds_read_b32 v66, v66 offset:36
	s_waitcnt lgkmcnt(0)
	v_mul_f32_e32 v66, v67, v66
	buffer_store_dword v66, off, s[0:3], 0 offset:36
.LBB28_186:
	s_or_b64 exec, exec, s[8:9]
	buffer_load_dword v66, off, s[0:3], 0 offset:32
	v_cmp_lt_u32_e64 s[4:5], 8, v0
	s_waitcnt vmcnt(0)
	ds_write_b32 v60, v66
	s_waitcnt lgkmcnt(0)
	; wave barrier
	s_waitcnt lgkmcnt(0)
	s_and_saveexec_b64 s[8:9], s[4:5]
	s_cbranch_execz .LBB28_196
; %bb.187:
	s_andn2_b64 vcc, exec, s[10:11]
	s_cbranch_vccnz .LBB28_189
; %bb.188:
	buffer_load_dword v66, v61, s[0:3], 0 offen
	ds_read_b32 v67, v60
	s_waitcnt vmcnt(0) lgkmcnt(0)
	v_mul_f32_e32 v66, v66, v67
	s_cbranch_execz .LBB28_190
	s_branch .LBB28_191
.LBB28_189:
                                        ; implicit-def: $vgpr66
.LBB28_190:
	ds_read_b32 v66, v60
.LBB28_191:
	s_and_saveexec_b64 s[12:13], s[6:7]
	s_cbranch_execz .LBB28_195
; %bb.192:
	v_mov_b32_e32 v67, 0
	v_add_u32_e32 v67, 36, v67
	v_add_u32_e32 v68, -9, v0
	s_movk_i32 s14, 0xa4
	s_mov_b64 s[6:7], 0
.LBB28_193:                             ; =>This Inner Loop Header: Depth=1
	buffer_load_dword v69, v67, s[0:3], 0 offen
	v_mov_b32_e32 v70, s14
	ds_read_b32 v70, v70
	v_add_u32_e32 v68, -1, v68
	s_add_i32 s14, s14, 4
	v_cmp_eq_u32_e32 vcc, 0, v68
	v_add_u32_e32 v67, 4, v67
	s_or_b64 s[6:7], vcc, s[6:7]
	s_waitcnt vmcnt(0) lgkmcnt(0)
	v_fmac_f32_e32 v66, v69, v70
	s_andn2_b64 exec, exec, s[6:7]
	s_cbranch_execnz .LBB28_193
; %bb.194:
	s_or_b64 exec, exec, s[6:7]
.LBB28_195:
	s_or_b64 exec, exec, s[12:13]
	v_mov_b32_e32 v67, 0
	ds_read_b32 v67, v67 offset:32
	s_waitcnt lgkmcnt(0)
	v_mul_f32_e32 v66, v66, v67
	buffer_store_dword v66, off, s[0:3], 0 offset:32
.LBB28_196:
	s_or_b64 exec, exec, s[8:9]
	buffer_load_dword v66, off, s[0:3], 0 offset:28
	v_cmp_lt_u32_e64 s[6:7], 7, v0
	s_waitcnt vmcnt(0)
	ds_write_b32 v60, v66
	s_waitcnt lgkmcnt(0)
	; wave barrier
	s_waitcnt lgkmcnt(0)
	s_and_saveexec_b64 s[8:9], s[6:7]
	s_cbranch_execz .LBB28_206
; %bb.197:
	s_andn2_b64 vcc, exec, s[10:11]
	s_cbranch_vccnz .LBB28_199
; %bb.198:
	buffer_load_dword v66, v61, s[0:3], 0 offen
	ds_read_b32 v67, v60
	s_waitcnt vmcnt(0) lgkmcnt(0)
	v_mul_f32_e32 v66, v66, v67
	s_cbranch_execz .LBB28_200
	s_branch .LBB28_201
.LBB28_199:
                                        ; implicit-def: $vgpr66
.LBB28_200:
	ds_read_b32 v66, v60
.LBB28_201:
	s_and_saveexec_b64 s[12:13], s[4:5]
	s_cbranch_execz .LBB28_205
; %bb.202:
	v_add_u32_e32 v67, -8, v0
	s_movk_i32 s14, 0xa0
	s_mov_b64 s[4:5], 0
.LBB28_203:                             ; =>This Inner Loop Header: Depth=1
	buffer_load_dword v68, v65, s[0:3], 0 offen
	v_mov_b32_e32 v69, s14
	ds_read_b32 v69, v69
	v_add_u32_e32 v67, -1, v67
	s_add_i32 s14, s14, 4
	v_cmp_eq_u32_e32 vcc, 0, v67
	v_add_u32_e32 v65, 4, v65
	s_or_b64 s[4:5], vcc, s[4:5]
	s_waitcnt vmcnt(0) lgkmcnt(0)
	v_fmac_f32_e32 v66, v68, v69
	s_andn2_b64 exec, exec, s[4:5]
	s_cbranch_execnz .LBB28_203
; %bb.204:
	s_or_b64 exec, exec, s[4:5]
.LBB28_205:
	s_or_b64 exec, exec, s[12:13]
	v_mov_b32_e32 v65, 0
	ds_read_b32 v65, v65 offset:28
	s_waitcnt lgkmcnt(0)
	v_mul_f32_e32 v65, v66, v65
	buffer_store_dword v65, off, s[0:3], 0 offset:28
.LBB28_206:
	s_or_b64 exec, exec, s[8:9]
	buffer_load_dword v65, off, s[0:3], 0 offset:24
	v_cmp_lt_u32_e64 s[4:5], 6, v0
	s_waitcnt vmcnt(0)
	ds_write_b32 v60, v65
	s_waitcnt lgkmcnt(0)
	; wave barrier
	s_waitcnt lgkmcnt(0)
	s_and_saveexec_b64 s[8:9], s[4:5]
	s_cbranch_execz .LBB28_216
; %bb.207:
	s_andn2_b64 vcc, exec, s[10:11]
	s_cbranch_vccnz .LBB28_209
; %bb.208:
	buffer_load_dword v65, v61, s[0:3], 0 offen
	ds_read_b32 v66, v60
	s_waitcnt vmcnt(0) lgkmcnt(0)
	v_mul_f32_e32 v65, v65, v66
	s_cbranch_execz .LBB28_210
	s_branch .LBB28_211
.LBB28_209:
                                        ; implicit-def: $vgpr65
.LBB28_210:
	ds_read_b32 v65, v60
.LBB28_211:
	s_and_saveexec_b64 s[12:13], s[6:7]
	s_cbranch_execz .LBB28_215
; %bb.212:
	v_mov_b32_e32 v66, 0
	v_add_u32_e32 v66, 28, v66
	v_add_u32_e32 v67, -7, v0
	s_movk_i32 s14, 0x9c
	s_mov_b64 s[6:7], 0
.LBB28_213:                             ; =>This Inner Loop Header: Depth=1
	buffer_load_dword v68, v66, s[0:3], 0 offen
	v_mov_b32_e32 v69, s14
	ds_read_b32 v69, v69
	v_add_u32_e32 v67, -1, v67
	s_add_i32 s14, s14, 4
	v_cmp_eq_u32_e32 vcc, 0, v67
	v_add_u32_e32 v66, 4, v66
	s_or_b64 s[6:7], vcc, s[6:7]
	s_waitcnt vmcnt(0) lgkmcnt(0)
	v_fmac_f32_e32 v65, v68, v69
	s_andn2_b64 exec, exec, s[6:7]
	s_cbranch_execnz .LBB28_213
; %bb.214:
	s_or_b64 exec, exec, s[6:7]
.LBB28_215:
	s_or_b64 exec, exec, s[12:13]
	v_mov_b32_e32 v66, 0
	ds_read_b32 v66, v66 offset:24
	s_waitcnt lgkmcnt(0)
	v_mul_f32_e32 v65, v65, v66
	buffer_store_dword v65, off, s[0:3], 0 offset:24
.LBB28_216:
	s_or_b64 exec, exec, s[8:9]
	buffer_load_dword v65, off, s[0:3], 0 offset:20
	v_cmp_lt_u32_e64 s[6:7], 5, v0
	s_waitcnt vmcnt(0)
	ds_write_b32 v60, v65
	s_waitcnt lgkmcnt(0)
	; wave barrier
	s_waitcnt lgkmcnt(0)
	s_and_saveexec_b64 s[8:9], s[6:7]
	s_cbranch_execz .LBB28_226
; %bb.217:
	s_andn2_b64 vcc, exec, s[10:11]
	s_cbranch_vccnz .LBB28_219
; %bb.218:
	buffer_load_dword v65, v61, s[0:3], 0 offen
	ds_read_b32 v66, v60
	s_waitcnt vmcnt(0) lgkmcnt(0)
	v_mul_f32_e32 v65, v65, v66
	s_cbranch_execz .LBB28_220
	s_branch .LBB28_221
.LBB28_219:
                                        ; implicit-def: $vgpr65
.LBB28_220:
	ds_read_b32 v65, v60
.LBB28_221:
	s_and_saveexec_b64 s[12:13], s[4:5]
	s_cbranch_execz .LBB28_225
; %bb.222:
	v_add_u32_e32 v66, -6, v0
	s_movk_i32 s14, 0x98
	s_mov_b64 s[4:5], 0
.LBB28_223:                             ; =>This Inner Loop Header: Depth=1
	buffer_load_dword v67, v64, s[0:3], 0 offen
	v_mov_b32_e32 v68, s14
	ds_read_b32 v68, v68
	v_add_u32_e32 v66, -1, v66
	s_add_i32 s14, s14, 4
	v_cmp_eq_u32_e32 vcc, 0, v66
	v_add_u32_e32 v64, 4, v64
	s_or_b64 s[4:5], vcc, s[4:5]
	s_waitcnt vmcnt(0) lgkmcnt(0)
	v_fmac_f32_e32 v65, v67, v68
	s_andn2_b64 exec, exec, s[4:5]
	s_cbranch_execnz .LBB28_223
; %bb.224:
	s_or_b64 exec, exec, s[4:5]
.LBB28_225:
	s_or_b64 exec, exec, s[12:13]
	v_mov_b32_e32 v64, 0
	ds_read_b32 v64, v64 offset:20
	s_waitcnt lgkmcnt(0)
	v_mul_f32_e32 v64, v65, v64
	buffer_store_dword v64, off, s[0:3], 0 offset:20
.LBB28_226:
	s_or_b64 exec, exec, s[8:9]
	buffer_load_dword v64, off, s[0:3], 0 offset:16
	v_cmp_lt_u32_e64 s[4:5], 4, v0
	s_waitcnt vmcnt(0)
	ds_write_b32 v60, v64
	s_waitcnt lgkmcnt(0)
	; wave barrier
	s_waitcnt lgkmcnt(0)
	s_and_saveexec_b64 s[8:9], s[4:5]
	s_cbranch_execz .LBB28_236
; %bb.227:
	s_andn2_b64 vcc, exec, s[10:11]
	s_cbranch_vccnz .LBB28_229
; %bb.228:
	buffer_load_dword v64, v61, s[0:3], 0 offen
	ds_read_b32 v65, v60
	s_waitcnt vmcnt(0) lgkmcnt(0)
	v_mul_f32_e32 v64, v64, v65
	s_cbranch_execz .LBB28_230
	s_branch .LBB28_231
.LBB28_229:
                                        ; implicit-def: $vgpr64
.LBB28_230:
	ds_read_b32 v64, v60
.LBB28_231:
	s_and_saveexec_b64 s[12:13], s[6:7]
	s_cbranch_execz .LBB28_235
; %bb.232:
	v_mov_b32_e32 v65, 0
	v_add_u32_e32 v65, 20, v65
	v_add_u32_e32 v66, -5, v0
	s_movk_i32 s14, 0x94
	s_mov_b64 s[6:7], 0
.LBB28_233:                             ; =>This Inner Loop Header: Depth=1
	buffer_load_dword v67, v65, s[0:3], 0 offen
	v_mov_b32_e32 v68, s14
	ds_read_b32 v68, v68
	v_add_u32_e32 v66, -1, v66
	s_add_i32 s14, s14, 4
	v_cmp_eq_u32_e32 vcc, 0, v66
	v_add_u32_e32 v65, 4, v65
	s_or_b64 s[6:7], vcc, s[6:7]
	s_waitcnt vmcnt(0) lgkmcnt(0)
	v_fmac_f32_e32 v64, v67, v68
	s_andn2_b64 exec, exec, s[6:7]
	s_cbranch_execnz .LBB28_233
; %bb.234:
	s_or_b64 exec, exec, s[6:7]
.LBB28_235:
	s_or_b64 exec, exec, s[12:13]
	v_mov_b32_e32 v65, 0
	ds_read_b32 v65, v65 offset:16
	s_waitcnt lgkmcnt(0)
	v_mul_f32_e32 v64, v64, v65
	buffer_store_dword v64, off, s[0:3], 0 offset:16
.LBB28_236:
	s_or_b64 exec, exec, s[8:9]
	buffer_load_dword v64, off, s[0:3], 0 offset:12
	v_cmp_lt_u32_e64 s[6:7], 3, v0
	s_waitcnt vmcnt(0)
	ds_write_b32 v60, v64
	s_waitcnt lgkmcnt(0)
	; wave barrier
	s_waitcnt lgkmcnt(0)
	s_and_saveexec_b64 s[8:9], s[6:7]
	s_cbranch_execz .LBB28_246
; %bb.237:
	s_andn2_b64 vcc, exec, s[10:11]
	s_cbranch_vccnz .LBB28_239
; %bb.238:
	buffer_load_dword v64, v61, s[0:3], 0 offen
	ds_read_b32 v65, v60
	s_waitcnt vmcnt(0) lgkmcnt(0)
	v_mul_f32_e32 v64, v64, v65
	s_cbranch_execz .LBB28_240
	s_branch .LBB28_241
.LBB28_239:
                                        ; implicit-def: $vgpr64
.LBB28_240:
	ds_read_b32 v64, v60
.LBB28_241:
	s_and_saveexec_b64 s[12:13], s[4:5]
	s_cbranch_execz .LBB28_245
; %bb.242:
	v_add_u32_e32 v65, -4, v0
	s_movk_i32 s14, 0x90
	s_mov_b64 s[4:5], 0
.LBB28_243:                             ; =>This Inner Loop Header: Depth=1
	buffer_load_dword v66, v63, s[0:3], 0 offen
	v_mov_b32_e32 v67, s14
	ds_read_b32 v67, v67
	v_add_u32_e32 v65, -1, v65
	s_add_i32 s14, s14, 4
	v_cmp_eq_u32_e32 vcc, 0, v65
	v_add_u32_e32 v63, 4, v63
	s_or_b64 s[4:5], vcc, s[4:5]
	s_waitcnt vmcnt(0) lgkmcnt(0)
	v_fmac_f32_e32 v64, v66, v67
	s_andn2_b64 exec, exec, s[4:5]
	s_cbranch_execnz .LBB28_243
; %bb.244:
	s_or_b64 exec, exec, s[4:5]
.LBB28_245:
	s_or_b64 exec, exec, s[12:13]
	v_mov_b32_e32 v63, 0
	ds_read_b32 v63, v63 offset:12
	s_waitcnt lgkmcnt(0)
	v_mul_f32_e32 v63, v64, v63
	buffer_store_dword v63, off, s[0:3], 0 offset:12
.LBB28_246:
	s_or_b64 exec, exec, s[8:9]
	buffer_load_dword v63, off, s[0:3], 0 offset:8
	v_cmp_lt_u32_e64 s[4:5], 2, v0
	s_waitcnt vmcnt(0)
	ds_write_b32 v60, v63
	s_waitcnt lgkmcnt(0)
	; wave barrier
	s_waitcnt lgkmcnt(0)
	s_and_saveexec_b64 s[8:9], s[4:5]
	s_cbranch_execz .LBB28_256
; %bb.247:
	s_andn2_b64 vcc, exec, s[10:11]
	s_cbranch_vccnz .LBB28_249
; %bb.248:
	buffer_load_dword v63, v61, s[0:3], 0 offen
	ds_read_b32 v64, v60
	s_waitcnt vmcnt(0) lgkmcnt(0)
	v_mul_f32_e32 v63, v63, v64
	s_cbranch_execz .LBB28_250
	s_branch .LBB28_251
.LBB28_249:
                                        ; implicit-def: $vgpr63
.LBB28_250:
	ds_read_b32 v63, v60
.LBB28_251:
	s_and_saveexec_b64 s[12:13], s[6:7]
	s_cbranch_execz .LBB28_255
; %bb.252:
	v_mov_b32_e32 v64, 0
	v_or_b32_e32 v64, 12, v64
	v_add_u32_e32 v65, -3, v0
	s_movk_i32 s14, 0x8c
	s_mov_b64 s[6:7], 0
.LBB28_253:                             ; =>This Inner Loop Header: Depth=1
	buffer_load_dword v66, v64, s[0:3], 0 offen
	v_mov_b32_e32 v67, s14
	ds_read_b32 v67, v67
	v_add_u32_e32 v65, -1, v65
	s_add_i32 s14, s14, 4
	v_cmp_eq_u32_e32 vcc, 0, v65
	v_add_u32_e32 v64, 4, v64
	s_or_b64 s[6:7], vcc, s[6:7]
	s_waitcnt vmcnt(0) lgkmcnt(0)
	v_fmac_f32_e32 v63, v66, v67
	s_andn2_b64 exec, exec, s[6:7]
	s_cbranch_execnz .LBB28_253
; %bb.254:
	s_or_b64 exec, exec, s[6:7]
.LBB28_255:
	s_or_b64 exec, exec, s[12:13]
	v_mov_b32_e32 v64, 0
	ds_read_b32 v64, v64 offset:8
	s_waitcnt lgkmcnt(0)
	v_mul_f32_e32 v63, v63, v64
	buffer_store_dword v63, off, s[0:3], 0 offset:8
.LBB28_256:
	s_or_b64 exec, exec, s[8:9]
	buffer_load_dword v63, off, s[0:3], 0 offset:4
	v_cmp_lt_u32_e64 s[6:7], 1, v0
	s_waitcnt vmcnt(0)
	ds_write_b32 v60, v63
	s_waitcnt lgkmcnt(0)
	; wave barrier
	s_waitcnt lgkmcnt(0)
	s_and_saveexec_b64 s[8:9], s[6:7]
	s_cbranch_execz .LBB28_266
; %bb.257:
	s_andn2_b64 vcc, exec, s[10:11]
	s_cbranch_vccnz .LBB28_259
; %bb.258:
	buffer_load_dword v63, v61, s[0:3], 0 offen
	ds_read_b32 v64, v60
	s_waitcnt vmcnt(0) lgkmcnt(0)
	v_mul_f32_e32 v63, v63, v64
	s_cbranch_execz .LBB28_260
	s_branch .LBB28_261
.LBB28_259:
                                        ; implicit-def: $vgpr63
.LBB28_260:
	ds_read_b32 v63, v60
.LBB28_261:
	s_and_saveexec_b64 s[12:13], s[4:5]
	s_cbranch_execz .LBB28_265
; %bb.262:
	v_add_u32_e32 v64, -2, v0
	s_movk_i32 s14, 0x88
	s_mov_b64 s[4:5], 0
.LBB28_263:                             ; =>This Inner Loop Header: Depth=1
	buffer_load_dword v65, v62, s[0:3], 0 offen
	v_mov_b32_e32 v66, s14
	ds_read_b32 v66, v66
	v_add_u32_e32 v64, -1, v64
	s_add_i32 s14, s14, 4
	v_cmp_eq_u32_e32 vcc, 0, v64
	v_add_u32_e32 v62, 4, v62
	s_or_b64 s[4:5], vcc, s[4:5]
	s_waitcnt vmcnt(0) lgkmcnt(0)
	v_fmac_f32_e32 v63, v65, v66
	s_andn2_b64 exec, exec, s[4:5]
	s_cbranch_execnz .LBB28_263
; %bb.264:
	s_or_b64 exec, exec, s[4:5]
.LBB28_265:
	s_or_b64 exec, exec, s[12:13]
	v_mov_b32_e32 v62, 0
	ds_read_b32 v62, v62 offset:4
	s_waitcnt lgkmcnt(0)
	v_mul_f32_e32 v62, v63, v62
	buffer_store_dword v62, off, s[0:3], 0 offset:4
.LBB28_266:
	s_or_b64 exec, exec, s[8:9]
	buffer_load_dword v62, off, s[0:3], 0
	v_cmp_ne_u32_e32 vcc, 0, v0
	s_waitcnt vmcnt(0)
	ds_write_b32 v60, v62
	s_waitcnt lgkmcnt(0)
	; wave barrier
	s_waitcnt lgkmcnt(0)
	s_and_saveexec_b64 s[4:5], vcc
	s_cbranch_execz .LBB28_276
; %bb.267:
	s_andn2_b64 vcc, exec, s[10:11]
	s_cbranch_vccnz .LBB28_269
; %bb.268:
	buffer_load_dword v62, v61, s[0:3], 0 offen
	ds_read_b32 v63, v60
	s_waitcnt vmcnt(0) lgkmcnt(0)
	v_mul_f32_e32 v62, v62, v63
	s_cbranch_execz .LBB28_270
	s_branch .LBB28_271
.LBB28_269:
                                        ; implicit-def: $vgpr62
.LBB28_270:
	ds_read_b32 v62, v60
.LBB28_271:
	s_and_saveexec_b64 s[8:9], s[6:7]
	s_cbranch_execz .LBB28_275
; %bb.272:
	v_mov_b32_e32 v63, 0
	v_or_b32_e32 v63, 4, v63
	v_add_u32_e32 v64, -1, v0
	s_movk_i32 s12, 0x84
	s_mov_b64 s[6:7], 0
.LBB28_273:                             ; =>This Inner Loop Header: Depth=1
	buffer_load_dword v65, v63, s[0:3], 0 offen
	v_mov_b32_e32 v66, s12
	ds_read_b32 v66, v66
	v_add_u32_e32 v64, -1, v64
	s_add_i32 s12, s12, 4
	v_cmp_eq_u32_e32 vcc, 0, v64
	v_add_u32_e32 v63, 4, v63
	s_or_b64 s[6:7], vcc, s[6:7]
	s_waitcnt vmcnt(0) lgkmcnt(0)
	v_fmac_f32_e32 v62, v65, v66
	s_andn2_b64 exec, exec, s[6:7]
	s_cbranch_execnz .LBB28_273
; %bb.274:
	s_or_b64 exec, exec, s[6:7]
.LBB28_275:
	s_or_b64 exec, exec, s[8:9]
	v_mov_b32_e32 v63, 0
	ds_read_b32 v63, v63
	s_waitcnt lgkmcnt(0)
	v_mul_f32_e32 v62, v62, v63
	buffer_store_dword v62, off, s[0:3], 0
.LBB28_276:
	s_or_b64 exec, exec, s[4:5]
	s_mov_b64 s[4:5], 0
.LBB28_277:
	s_and_b64 vcc, exec, s[4:5]
	s_cbranch_vccz .LBB28_551
; %bb.278:
	buffer_load_dword v62, off, s[0:3], 0 offset:4
	v_cmp_eq_u32_e64 s[6:7], 0, v0
	s_waitcnt vmcnt(0)
	ds_write_b32 v60, v62
	s_waitcnt lgkmcnt(0)
	; wave barrier
	s_waitcnt lgkmcnt(0)
	s_and_saveexec_b64 s[4:5], s[6:7]
	s_cbranch_execz .LBB28_284
; %bb.279:
	s_and_b64 vcc, exec, s[10:11]
	s_cbranch_vccz .LBB28_281
; %bb.280:
	buffer_load_dword v62, v61, s[0:3], 0 offen
	ds_read_b32 v63, v60
	s_waitcnt vmcnt(0) lgkmcnt(0)
	v_mul_f32_e32 v62, v62, v63
	s_cbranch_execz .LBB28_282
	s_branch .LBB28_283
.LBB28_281:
                                        ; implicit-def: $vgpr62
.LBB28_282:
	ds_read_b32 v62, v60
.LBB28_283:
	v_mov_b32_e32 v63, 0
	ds_read_b32 v63, v63 offset:4
	s_waitcnt lgkmcnt(0)
	v_mul_f32_e32 v62, v62, v63
	buffer_store_dword v62, off, s[0:3], 0 offset:4
.LBB28_284:
	s_or_b64 exec, exec, s[4:5]
	buffer_load_dword v62, off, s[0:3], 0 offset:8
	v_cndmask_b32_e64 v63, 0, 1, s[10:11]
	v_cmp_gt_u32_e32 vcc, 2, v0
	v_cmp_ne_u32_e64 s[4:5], 1, v63
	s_waitcnt vmcnt(0)
	ds_write_b32 v60, v62
	s_waitcnt lgkmcnt(0)
	; wave barrier
	s_waitcnt lgkmcnt(0)
	s_and_saveexec_b64 s[8:9], vcc
	s_cbranch_execz .LBB28_292
; %bb.285:
	s_and_b64 vcc, exec, s[4:5]
	s_cbranch_vccnz .LBB28_287
; %bb.286:
	buffer_load_dword v62, v61, s[0:3], 0 offen
	ds_read_b32 v63, v60
	s_waitcnt vmcnt(0) lgkmcnt(0)
	v_mul_f32_e32 v62, v62, v63
	s_cbranch_execz .LBB28_288
	s_branch .LBB28_289
.LBB28_287:
                                        ; implicit-def: $vgpr62
.LBB28_288:
	ds_read_b32 v62, v60
.LBB28_289:
	s_and_saveexec_b64 s[10:11], s[6:7]
	s_cbranch_execz .LBB28_291
; %bb.290:
	buffer_load_dword v63, v61, s[0:3], 0 offen offset:4
	ds_read_b32 v64, v60 offset:4
	s_waitcnt vmcnt(0) lgkmcnt(0)
	v_fmac_f32_e32 v62, v63, v64
.LBB28_291:
	s_or_b64 exec, exec, s[10:11]
	v_mov_b32_e32 v63, 0
	ds_read_b32 v63, v63 offset:8
	s_waitcnt lgkmcnt(0)
	v_mul_f32_e32 v62, v62, v63
	buffer_store_dword v62, off, s[0:3], 0 offset:8
.LBB28_292:
	s_or_b64 exec, exec, s[8:9]
	buffer_load_dword v62, off, s[0:3], 0 offset:12
	v_cmp_gt_u32_e32 vcc, 3, v0
	s_waitcnt vmcnt(0)
	ds_write_b32 v60, v62
	s_waitcnt lgkmcnt(0)
	; wave barrier
	s_waitcnt lgkmcnt(0)
	s_and_saveexec_b64 s[8:9], vcc
	s_cbranch_execz .LBB28_300
; %bb.293:
	s_and_b64 vcc, exec, s[4:5]
	s_cbranch_vccnz .LBB28_295
; %bb.294:
	buffer_load_dword v62, v61, s[0:3], 0 offen
	ds_read_b32 v63, v60
	s_waitcnt vmcnt(0) lgkmcnt(0)
	v_mul_f32_e32 v62, v62, v63
	s_cbranch_execz .LBB28_296
	s_branch .LBB28_297
.LBB28_295:
                                        ; implicit-def: $vgpr62
.LBB28_296:
	ds_read_b32 v62, v60
.LBB28_297:
	v_cmp_ne_u32_e32 vcc, 2, v0
	s_and_saveexec_b64 s[10:11], vcc
	s_cbranch_execz .LBB28_299
; %bb.298:
	buffer_load_dword v63, v61, s[0:3], 0 offen offset:4
	buffer_load_dword v64, off, s[0:3], 0 offset:8
	v_mov_b32_e32 v65, 0
	ds_read_b32 v66, v60 offset:4
	ds_read_b32 v65, v65 offset:136
	s_waitcnt vmcnt(1) lgkmcnt(1)
	v_fmac_f32_e32 v62, v63, v66
	s_waitcnt vmcnt(0) lgkmcnt(0)
	v_fma_f32 v63, v64, v65, v62
	v_cndmask_b32_e64 v62, v62, v63, s[6:7]
.LBB28_299:
	s_or_b64 exec, exec, s[10:11]
	v_mov_b32_e32 v63, 0
	ds_read_b32 v63, v63 offset:12
	s_waitcnt lgkmcnt(0)
	v_mul_f32_e32 v62, v62, v63
	buffer_store_dword v62, off, s[0:3], 0 offset:12
.LBB28_300:
	s_or_b64 exec, exec, s[8:9]
	buffer_load_dword v62, off, s[0:3], 0 offset:16
	v_cmp_gt_u32_e32 vcc, 4, v0
	s_waitcnt vmcnt(0)
	ds_write_b32 v60, v62
	s_waitcnt lgkmcnt(0)
	; wave barrier
	s_waitcnt lgkmcnt(0)
	s_and_saveexec_b64 s[6:7], vcc
	s_cbranch_execz .LBB28_310
; %bb.301:
	s_and_b64 vcc, exec, s[4:5]
	s_cbranch_vccnz .LBB28_303
; %bb.302:
	buffer_load_dword v62, v61, s[0:3], 0 offen
	ds_read_b32 v63, v60
	s_waitcnt vmcnt(0) lgkmcnt(0)
	v_mul_f32_e32 v62, v62, v63
	s_cbranch_execz .LBB28_304
	s_branch .LBB28_305
.LBB28_303:
                                        ; implicit-def: $vgpr62
.LBB28_304:
	ds_read_b32 v62, v60
.LBB28_305:
	v_cmp_ne_u32_e32 vcc, 3, v0
	s_and_saveexec_b64 s[8:9], vcc
	s_cbranch_execz .LBB28_309
; %bb.306:
	v_mov_b32_e32 v64, 0
	v_add_u32_e32 v63, 0x84, v1
	v_add3_u32 v64, v1, v64, 4
	s_mov_b64 s[10:11], 0
	v_mov_b32_e32 v65, v0
.LBB28_307:                             ; =>This Inner Loop Header: Depth=1
	buffer_load_dword v66, v64, s[0:3], 0 offen
	ds_read_b32 v67, v63
	v_add_u32_e32 v65, 1, v65
	v_cmp_lt_u32_e32 vcc, 2, v65
	v_add_u32_e32 v63, 4, v63
	v_add_u32_e32 v64, 4, v64
	s_or_b64 s[10:11], vcc, s[10:11]
	s_waitcnt vmcnt(0) lgkmcnt(0)
	v_fmac_f32_e32 v62, v66, v67
	s_andn2_b64 exec, exec, s[10:11]
	s_cbranch_execnz .LBB28_307
; %bb.308:
	s_or_b64 exec, exec, s[10:11]
.LBB28_309:
	s_or_b64 exec, exec, s[8:9]
	v_mov_b32_e32 v63, 0
	ds_read_b32 v63, v63 offset:16
	s_waitcnt lgkmcnt(0)
	v_mul_f32_e32 v62, v62, v63
	buffer_store_dword v62, off, s[0:3], 0 offset:16
.LBB28_310:
	s_or_b64 exec, exec, s[6:7]
	buffer_load_dword v62, off, s[0:3], 0 offset:20
	v_cmp_gt_u32_e32 vcc, 5, v0
	s_waitcnt vmcnt(0)
	ds_write_b32 v60, v62
	s_waitcnt lgkmcnt(0)
	; wave barrier
	s_waitcnt lgkmcnt(0)
	s_and_saveexec_b64 s[6:7], vcc
	s_cbranch_execz .LBB28_320
; %bb.311:
	s_and_b64 vcc, exec, s[4:5]
	s_cbranch_vccnz .LBB28_313
; %bb.312:
	buffer_load_dword v62, v61, s[0:3], 0 offen
	ds_read_b32 v63, v60
	s_waitcnt vmcnt(0) lgkmcnt(0)
	v_mul_f32_e32 v62, v62, v63
	s_cbranch_execz .LBB28_314
	s_branch .LBB28_315
.LBB28_313:
                                        ; implicit-def: $vgpr62
.LBB28_314:
	ds_read_b32 v62, v60
.LBB28_315:
	v_cmp_ne_u32_e32 vcc, 4, v0
	s_and_saveexec_b64 s[8:9], vcc
	s_cbranch_execz .LBB28_319
; %bb.316:
	v_mov_b32_e32 v64, 0
	v_add_u32_e32 v63, 0x84, v1
	v_add3_u32 v64, v1, v64, 4
	s_mov_b64 s[10:11], 0
	v_mov_b32_e32 v65, v0
.LBB28_317:                             ; =>This Inner Loop Header: Depth=1
	buffer_load_dword v66, v64, s[0:3], 0 offen
	ds_read_b32 v67, v63
	v_add_u32_e32 v65, 1, v65
	v_cmp_lt_u32_e32 vcc, 3, v65
	v_add_u32_e32 v63, 4, v63
	v_add_u32_e32 v64, 4, v64
	s_or_b64 s[10:11], vcc, s[10:11]
	s_waitcnt vmcnt(0) lgkmcnt(0)
	v_fmac_f32_e32 v62, v66, v67
	s_andn2_b64 exec, exec, s[10:11]
	s_cbranch_execnz .LBB28_317
; %bb.318:
	s_or_b64 exec, exec, s[10:11]
.LBB28_319:
	s_or_b64 exec, exec, s[8:9]
	v_mov_b32_e32 v63, 0
	ds_read_b32 v63, v63 offset:20
	s_waitcnt lgkmcnt(0)
	v_mul_f32_e32 v62, v62, v63
	buffer_store_dword v62, off, s[0:3], 0 offset:20
.LBB28_320:
	;; [unrolled: 56-line block ×23, first 2 shown]
	s_or_b64 exec, exec, s[6:7]
	buffer_load_dword v62, off, s[0:3], 0 offset:108
	v_cmp_gt_u32_e64 s[6:7], 27, v0
	s_waitcnt vmcnt(0)
	ds_write_b32 v60, v62
	s_waitcnt lgkmcnt(0)
	; wave barrier
	s_waitcnt lgkmcnt(0)
	s_and_saveexec_b64 s[8:9], s[6:7]
	s_cbranch_execz .LBB28_540
; %bb.531:
	s_and_b64 vcc, exec, s[4:5]
	s_cbranch_vccnz .LBB28_533
; %bb.532:
	buffer_load_dword v62, v61, s[0:3], 0 offen
	ds_read_b32 v63, v60
	s_waitcnt vmcnt(0) lgkmcnt(0)
	v_mul_f32_e32 v62, v62, v63
	s_cbranch_execz .LBB28_534
	s_branch .LBB28_535
.LBB28_533:
                                        ; implicit-def: $vgpr62
.LBB28_534:
	ds_read_b32 v62, v60
.LBB28_535:
	v_cmp_ne_u32_e32 vcc, 26, v0
	s_and_saveexec_b64 s[10:11], vcc
	s_cbranch_execz .LBB28_539
; %bb.536:
	v_mov_b32_e32 v64, 0
	v_add_u32_e32 v63, 0x84, v1
	v_add3_u32 v64, v1, v64, 4
	s_mov_b64 s[12:13], 0
	v_mov_b32_e32 v65, v0
.LBB28_537:                             ; =>This Inner Loop Header: Depth=1
	buffer_load_dword v66, v64, s[0:3], 0 offen
	ds_read_b32 v67, v63
	v_add_u32_e32 v65, 1, v65
	v_cmp_lt_u32_e32 vcc, 25, v65
	v_add_u32_e32 v63, 4, v63
	v_add_u32_e32 v64, 4, v64
	s_or_b64 s[12:13], vcc, s[12:13]
	s_waitcnt vmcnt(0) lgkmcnt(0)
	v_fmac_f32_e32 v62, v66, v67
	s_andn2_b64 exec, exec, s[12:13]
	s_cbranch_execnz .LBB28_537
; %bb.538:
	s_or_b64 exec, exec, s[12:13]
.LBB28_539:
	s_or_b64 exec, exec, s[10:11]
	v_mov_b32_e32 v63, 0
	ds_read_b32 v63, v63 offset:108
	s_waitcnt lgkmcnt(0)
	v_mul_f32_e32 v62, v62, v63
	buffer_store_dword v62, off, s[0:3], 0 offset:108
.LBB28_540:
	s_or_b64 exec, exec, s[8:9]
	buffer_load_dword v62, off, s[0:3], 0 offset:112
	v_cmp_ne_u32_e32 vcc, 28, v0
	s_waitcnt vmcnt(0)
	ds_write_b32 v60, v62
	s_waitcnt lgkmcnt(0)
	; wave barrier
	s_waitcnt lgkmcnt(0)
	s_and_saveexec_b64 s[8:9], vcc
	s_cbranch_execz .LBB28_550
; %bb.541:
	s_and_b64 vcc, exec, s[4:5]
	s_cbranch_vccnz .LBB28_543
; %bb.542:
	buffer_load_dword v61, v61, s[0:3], 0 offen
	ds_read_b32 v62, v60
	s_waitcnt vmcnt(0) lgkmcnt(0)
	v_mul_f32_e32 v61, v61, v62
	s_cbranch_execz .LBB28_544
	s_branch .LBB28_545
.LBB28_543:
                                        ; implicit-def: $vgpr61
.LBB28_544:
	ds_read_b32 v61, v60
.LBB28_545:
	s_and_saveexec_b64 s[4:5], s[6:7]
	s_cbranch_execz .LBB28_549
; %bb.546:
	v_mov_b32_e32 v62, 0
	v_add_u32_e32 v60, 0x84, v1
	v_add3_u32 v1, v1, v62, 4
	s_mov_b64 s[6:7], 0
.LBB28_547:                             ; =>This Inner Loop Header: Depth=1
	buffer_load_dword v62, v1, s[0:3], 0 offen
	ds_read_b32 v63, v60
	v_add_u32_e32 v0, 1, v0
	v_cmp_lt_u32_e32 vcc, 26, v0
	v_add_u32_e32 v60, 4, v60
	v_add_u32_e32 v1, 4, v1
	s_or_b64 s[6:7], vcc, s[6:7]
	s_waitcnt vmcnt(0) lgkmcnt(0)
	v_fmac_f32_e32 v61, v62, v63
	s_andn2_b64 exec, exec, s[6:7]
	s_cbranch_execnz .LBB28_547
; %bb.548:
	s_or_b64 exec, exec, s[6:7]
.LBB28_549:
	s_or_b64 exec, exec, s[4:5]
	v_mov_b32_e32 v0, 0
	ds_read_b32 v0, v0 offset:112
	s_waitcnt lgkmcnt(0)
	v_mul_f32_e32 v0, v61, v0
	buffer_store_dword v0, off, s[0:3], 0 offset:112
.LBB28_550:
	s_or_b64 exec, exec, s[8:9]
.LBB28_551:
	buffer_load_dword v0, off, s[0:3], 0
	buffer_load_dword v1, off, s[0:3], 0 offset:4
	buffer_load_dword v60, off, s[0:3], 0 offset:8
	;; [unrolled: 1-line block ×15, first 2 shown]
	s_waitcnt vmcnt(15)
	global_store_dword v[2:3], v0, off
	s_waitcnt vmcnt(15)
	global_store_dword v[4:5], v1, off
	buffer_load_dword v0, off, s[0:3], 0 offset:64
	s_nop 0
	buffer_load_dword v1, off, s[0:3], 0 offset:68
	buffer_load_dword v2, off, s[0:3], 0 offset:72
	;; [unrolled: 1-line block ×7, first 2 shown]
	s_waitcnt vmcnt(23)
	global_store_dword v[6:7], v60, off
	s_waitcnt vmcnt(23)
	global_store_dword v[8:9], v61, off
	buffer_load_dword v6, off, s[0:3], 0 offset:96
	buffer_load_dword v7, off, s[0:3], 0 offset:100
	s_nop 0
	buffer_load_dword v8, off, s[0:3], 0 offset:104
	buffer_load_dword v9, off, s[0:3], 0 offset:108
	;; [unrolled: 1-line block ×3, first 2 shown]
	s_waitcnt vmcnt(28)
	global_store_dword v[10:11], v62, off
	s_waitcnt vmcnt(28)
	global_store_dword v[12:13], v63, off
	;; [unrolled: 2-line block ×25, first 2 shown]
.LBB28_552:
	s_endpgm
	.section	.rodata,"a",@progbits
	.p2align	6, 0x0
	.amdhsa_kernel _ZN9rocsolver6v33100L18trti2_kernel_smallILi29EfPfEEv13rocblas_fill_17rocblas_diagonal_T1_iil
		.amdhsa_group_segment_fixed_size 244
		.amdhsa_private_segment_fixed_size 128
		.amdhsa_kernarg_size 32
		.amdhsa_user_sgpr_count 8
		.amdhsa_user_sgpr_private_segment_buffer 1
		.amdhsa_user_sgpr_dispatch_ptr 0
		.amdhsa_user_sgpr_queue_ptr 0
		.amdhsa_user_sgpr_kernarg_segment_ptr 1
		.amdhsa_user_sgpr_dispatch_id 0
		.amdhsa_user_sgpr_flat_scratch_init 1
		.amdhsa_user_sgpr_kernarg_preload_length 0
		.amdhsa_user_sgpr_kernarg_preload_offset 0
		.amdhsa_user_sgpr_private_segment_size 0
		.amdhsa_uses_dynamic_stack 0
		.amdhsa_system_sgpr_private_segment_wavefront_offset 1
		.amdhsa_system_sgpr_workgroup_id_x 1
		.amdhsa_system_sgpr_workgroup_id_y 0
		.amdhsa_system_sgpr_workgroup_id_z 0
		.amdhsa_system_sgpr_workgroup_info 0
		.amdhsa_system_vgpr_workitem_id 0
		.amdhsa_next_free_vgpr 79
		.amdhsa_next_free_sgpr 20
		.amdhsa_accum_offset 80
		.amdhsa_reserve_vcc 1
		.amdhsa_reserve_flat_scratch 0
		.amdhsa_float_round_mode_32 0
		.amdhsa_float_round_mode_16_64 0
		.amdhsa_float_denorm_mode_32 3
		.amdhsa_float_denorm_mode_16_64 3
		.amdhsa_dx10_clamp 1
		.amdhsa_ieee_mode 1
		.amdhsa_fp16_overflow 0
		.amdhsa_tg_split 0
		.amdhsa_exception_fp_ieee_invalid_op 0
		.amdhsa_exception_fp_denorm_src 0
		.amdhsa_exception_fp_ieee_div_zero 0
		.amdhsa_exception_fp_ieee_overflow 0
		.amdhsa_exception_fp_ieee_underflow 0
		.amdhsa_exception_fp_ieee_inexact 0
		.amdhsa_exception_int_div_zero 0
	.end_amdhsa_kernel
	.section	.text._ZN9rocsolver6v33100L18trti2_kernel_smallILi29EfPfEEv13rocblas_fill_17rocblas_diagonal_T1_iil,"axG",@progbits,_ZN9rocsolver6v33100L18trti2_kernel_smallILi29EfPfEEv13rocblas_fill_17rocblas_diagonal_T1_iil,comdat
.Lfunc_end28:
	.size	_ZN9rocsolver6v33100L18trti2_kernel_smallILi29EfPfEEv13rocblas_fill_17rocblas_diagonal_T1_iil, .Lfunc_end28-_ZN9rocsolver6v33100L18trti2_kernel_smallILi29EfPfEEv13rocblas_fill_17rocblas_diagonal_T1_iil
                                        ; -- End function
	.section	.AMDGPU.csdata,"",@progbits
; Kernel info:
; codeLenInByte = 14080
; NumSgprs: 24
; NumVgprs: 79
; NumAgprs: 0
; TotalNumVgprs: 79
; ScratchSize: 128
; MemoryBound: 0
; FloatMode: 240
; IeeeMode: 1
; LDSByteSize: 244 bytes/workgroup (compile time only)
; SGPRBlocks: 2
; VGPRBlocks: 9
; NumSGPRsForWavesPerEU: 24
; NumVGPRsForWavesPerEU: 79
; AccumOffset: 80
; Occupancy: 6
; WaveLimiterHint : 0
; COMPUTE_PGM_RSRC2:SCRATCH_EN: 1
; COMPUTE_PGM_RSRC2:USER_SGPR: 8
; COMPUTE_PGM_RSRC2:TRAP_HANDLER: 0
; COMPUTE_PGM_RSRC2:TGID_X_EN: 1
; COMPUTE_PGM_RSRC2:TGID_Y_EN: 0
; COMPUTE_PGM_RSRC2:TGID_Z_EN: 0
; COMPUTE_PGM_RSRC2:TIDIG_COMP_CNT: 0
; COMPUTE_PGM_RSRC3_GFX90A:ACCUM_OFFSET: 19
; COMPUTE_PGM_RSRC3_GFX90A:TG_SPLIT: 0
	.section	.text._ZN9rocsolver6v33100L18trti2_kernel_smallILi30EfPfEEv13rocblas_fill_17rocblas_diagonal_T1_iil,"axG",@progbits,_ZN9rocsolver6v33100L18trti2_kernel_smallILi30EfPfEEv13rocblas_fill_17rocblas_diagonal_T1_iil,comdat
	.globl	_ZN9rocsolver6v33100L18trti2_kernel_smallILi30EfPfEEv13rocblas_fill_17rocblas_diagonal_T1_iil ; -- Begin function _ZN9rocsolver6v33100L18trti2_kernel_smallILi30EfPfEEv13rocblas_fill_17rocblas_diagonal_T1_iil
	.p2align	8
	.type	_ZN9rocsolver6v33100L18trti2_kernel_smallILi30EfPfEEv13rocblas_fill_17rocblas_diagonal_T1_iil,@function
_ZN9rocsolver6v33100L18trti2_kernel_smallILi30EfPfEEv13rocblas_fill_17rocblas_diagonal_T1_iil: ; @_ZN9rocsolver6v33100L18trti2_kernel_smallILi30EfPfEEv13rocblas_fill_17rocblas_diagonal_T1_iil
; %bb.0:
	s_add_u32 s0, s0, s9
	s_addc_u32 s1, s1, 0
	v_cmp_gt_u32_e32 vcc, 30, v0
	s_and_saveexec_b64 s[6:7], vcc
	s_cbranch_execz .LBB29_572
; %bb.1:
	s_load_dwordx8 s[12:19], s[4:5], 0x0
	s_ashr_i32 s6, s8, 31
	s_waitcnt lgkmcnt(0)
	s_mul_i32 s7, s8, s19
	s_mul_hi_u32 s9, s8, s18
	s_add_i32 s7, s9, s7
	s_mul_i32 s6, s6, s18
	s_add_i32 s7, s7, s6
	s_mul_i32 s6, s8, s18
	s_ashr_i32 s5, s16, 31
	s_lshl_b64 s[6:7], s[6:7], 2
	s_mov_b32 s4, s16
	s_add_u32 s6, s14, s6
	s_addc_u32 s7, s15, s7
	s_lshl_b64 s[4:5], s[4:5], 2
	s_add_u32 s4, s6, s4
	s_addc_u32 s5, s7, s5
	s_add_i32 s6, s17, s17
	v_add_u32_e32 v4, s6, v0
	v_ashrrev_i32_e32 v5, 31, v4
	v_lshlrev_b64 v[2:3], 2, v[4:5]
	v_add_u32_e32 v6, s17, v4
	v_mov_b32_e32 v1, s5
	v_add_co_u32_e32 v2, vcc, s4, v2
	v_ashrrev_i32_e32 v7, 31, v6
	v_addc_co_u32_e32 v3, vcc, v1, v3, vcc
	v_lshlrev_b64 v[4:5], 2, v[6:7]
	v_add_u32_e32 v8, s17, v6
	v_add_co_u32_e32 v4, vcc, s4, v4
	v_ashrrev_i32_e32 v9, 31, v8
	v_addc_co_u32_e32 v5, vcc, v1, v5, vcc
	v_lshlrev_b64 v[6:7], 2, v[8:9]
	v_add_u32_e32 v10, s17, v8
	;; [unrolled: 5-line block ×25, first 2 shown]
	v_add_co_u32_e32 v52, vcc, s4, v52
	v_ashrrev_i32_e32 v57, 31, v56
	v_addc_co_u32_e32 v53, vcc, v1, v53, vcc
	v_lshlrev_b64 v[54:55], 2, v[56:57]
	v_add_co_u32_e32 v54, vcc, s4, v54
	v_add_u32_e32 v56, s17, v56
	v_addc_co_u32_e32 v55, vcc, v1, v55, vcc
	v_ashrrev_i32_e32 v57, 31, v56
	v_lshlrev_b32_e32 v1, 2, v0
	v_lshlrev_b64 v[60:61], 2, v[56:57]
	v_mov_b32_e32 v57, s5
	v_add_co_u32_e32 v56, vcc, s4, v1
	s_ashr_i32 s7, s17, 31
	s_mov_b32 s6, s17
	v_addc_co_u32_e32 v57, vcc, 0, v57, vcc
	s_lshl_b64 s[6:7], s[6:7], 2
	v_mov_b32_e32 v59, s7
	v_add_co_u32_e32 v58, vcc, s6, v56
	v_addc_co_u32_e32 v59, vcc, v57, v59, vcc
	v_mov_b32_e32 v62, s5
	v_add_co_u32_e32 v60, vcc, s4, v60
	global_load_dword v63, v1, s[4:5]
	global_load_dword v64, v[58:59], off
	global_load_dword v65, v[6:7], off
	;; [unrolled: 1-line block ×14, first 2 shown]
                                        ; kill: killed $sgpr5
	global_load_dword v78, v[20:21], off
	global_load_dword v79, v[18:19], off
	;; [unrolled: 1-line block ×10, first 2 shown]
	v_addc_co_u32_e32 v61, vcc, v62, v61, vcc
	global_load_dword v62, v[48:49], off
	global_load_dword v88, v[54:55], off
	;; [unrolled: 1-line block ×5, first 2 shown]
	s_cmpk_lg_i32 s13, 0x84
	s_waitcnt vmcnt(29)
	buffer_store_dword v63, off, s[0:3], 0
	s_waitcnt vmcnt(29)
	buffer_store_dword v64, off, s[0:3], 0 offset:4
	s_waitcnt vmcnt(24)
	buffer_store_dword v70, off, s[0:3], 0 offset:12
	s_waitcnt vmcnt(24)
	buffer_store_dword v71, off, s[0:3], 0 offset:8
	buffer_store_dword v65, off, s[0:3], 0 offset:16
	buffer_store_dword v66, off, s[0:3], 0 offset:20
	;; [unrolled: 1-line block ×5, first 2 shown]
	s_waitcnt vmcnt(29)
	buffer_store_dword v72, off, s[0:3], 0 offset:36
	s_waitcnt vmcnt(24)
	buffer_store_dword v78, off, s[0:3], 0 offset:44
	;; [unrolled: 2-line block ×3, first 2 shown]
	buffer_store_dword v73, off, s[0:3], 0 offset:48
	buffer_store_dword v74, off, s[0:3], 0 offset:52
	;; [unrolled: 1-line block ×5, first 2 shown]
	s_waitcnt vmcnt(29)
	buffer_store_dword v80, off, s[0:3], 0 offset:68
	s_waitcnt vmcnt(29)
	buffer_store_dword v81, off, s[0:3], 0 offset:72
	s_waitcnt vmcnt(29)
	buffer_store_dword v82, off, s[0:3], 0 offset:76
	s_waitcnt vmcnt(26)
	buffer_store_dword v86, off, s[0:3], 0 offset:84
	s_waitcnt vmcnt(26)
	buffer_store_dword v87, off, s[0:3], 0 offset:80
	buffer_store_dword v84, off, s[0:3], 0 offset:92
	buffer_store_dword v85, off, s[0:3], 0 offset:88
	s_waitcnt vmcnt(28)
	buffer_store_dword v62, off, s[0:3], 0 offset:100
	buffer_store_dword v83, off, s[0:3], 0 offset:96
	s_waitcnt vmcnt(28)
	buffer_store_dword v89, off, s[0:3], 0 offset:108
	s_waitcnt vmcnt(28)
	;; [unrolled: 2-line block ×3, first 2 shown]
	buffer_store_dword v91, off, s[0:3], 0 offset:116
	buffer_store_dword v88, off, s[0:3], 0 offset:112
	s_cselect_b64 s[8:9], -1, 0
	s_cmpk_eq_i32 s13, 0x84
	v_mov_b32_e32 v76, 0
	v_mov_b32_e32 v62, -1.0
	s_cbranch_scc1 .LBB29_3
; %bb.2:
	v_lshl_add_u32 v62, v0, 2, v76
	buffer_load_dword v63, v62, s[0:3], 0 offen
	s_waitcnt vmcnt(0)
	v_div_scale_f32 v64, s[4:5], v63, v63, 1.0
	v_rcp_f32_e32 v65, v64
	v_div_scale_f32 v66, vcc, 1.0, v63, 1.0
	v_fma_f32 v67, -v64, v65, 1.0
	v_fmac_f32_e32 v65, v67, v65
	v_mul_f32_e32 v67, v66, v65
	v_fma_f32 v68, -v64, v67, v66
	v_fmac_f32_e32 v67, v68, v65
	v_fma_f32 v64, -v64, v67, v66
	v_div_fmas_f32 v64, v64, v65, v67
	v_div_fixup_f32 v63, v64, v63, 1.0
	buffer_store_dword v63, v62, s[0:3], 0 offen
	v_xor_b32_e32 v62, 0x80000000, v63
.LBB29_3:
	ds_write_b32 v1, v62
	s_cmpk_eq_i32 s12, 0x79
	v_add_u32_e32 v62, 0x80, v1
	v_add_u32_e32 v63, 0, v1
	s_mov_b64 s[4:5], -1
	s_cbranch_scc1 .LBB29_287
; %bb.4:
	buffer_load_dword v64, off, s[0:3], 0 offset:112
	v_cmp_eq_u32_e64 s[4:5], 29, v0
	s_waitcnt vmcnt(0)
	ds_write_b32 v62, v64
	s_waitcnt lgkmcnt(0)
	; wave barrier
	s_waitcnt lgkmcnt(0)
	s_and_saveexec_b64 s[6:7], s[4:5]
	s_cbranch_execz .LBB29_10
; %bb.5:
	s_and_b64 vcc, exec, s[8:9]
	s_cbranch_vccz .LBB29_7
; %bb.6:
	buffer_load_dword v64, v63, s[0:3], 0 offen
	ds_read_b32 v65, v62
	s_waitcnt vmcnt(0) lgkmcnt(0)
	v_mul_f32_e32 v64, v64, v65
	s_cbranch_execz .LBB29_8
	s_branch .LBB29_9
.LBB29_7:
                                        ; implicit-def: $vgpr64
.LBB29_8:
	ds_read_b32 v64, v62
.LBB29_9:
	v_mov_b32_e32 v65, 0
	ds_read_b32 v65, v65 offset:112
	s_waitcnt lgkmcnt(0)
	v_mul_f32_e32 v64, v64, v65
	buffer_store_dword v64, off, s[0:3], 0 offset:112
.LBB29_10:
	s_or_b64 exec, exec, s[6:7]
	buffer_load_dword v77, off, s[0:3], 0 offset:108
	v_or_b32_e32 v64, 8, v76
	v_add_u32_e32 v65, 16, v76
	v_add_u32_e32 v66, 24, v76
	;; [unrolled: 1-line block ×12, first 2 shown]
	v_cmp_lt_u32_e64 s[6:7], 27, v0
	s_waitcnt vmcnt(0)
	ds_write_b32 v62, v77
	s_waitcnt lgkmcnt(0)
	; wave barrier
	s_waitcnt lgkmcnt(0)
	s_and_saveexec_b64 s[10:11], s[6:7]
	s_cbranch_execz .LBB29_16
; %bb.11:
	s_andn2_b64 vcc, exec, s[8:9]
	s_cbranch_vccnz .LBB29_13
; %bb.12:
	buffer_load_dword v77, v63, s[0:3], 0 offen
	ds_read_b32 v78, v62
	s_waitcnt vmcnt(0) lgkmcnt(0)
	v_mul_f32_e32 v77, v77, v78
	s_cbranch_execz .LBB29_14
	s_branch .LBB29_15
.LBB29_13:
                                        ; implicit-def: $vgpr77
.LBB29_14:
	ds_read_b32 v77, v62
.LBB29_15:
	buffer_load_dword v80, off, s[0:3], 0 offset:112
	v_mov_b32_e32 v78, 0
	ds_read2_b32 v[78:79], v78 offset0:27 offset1:60
	s_waitcnt vmcnt(0) lgkmcnt(0)
	v_fma_f32 v79, v80, v79, v77
	v_cndmask_b32_e64 v77, v77, v79, s[4:5]
	v_mul_f32_e32 v77, v77, v78
	buffer_store_dword v77, off, s[0:3], 0 offset:108
.LBB29_16:
	s_or_b64 exec, exec, s[10:11]
	buffer_load_dword v77, off, s[0:3], 0 offset:104
	v_cmp_lt_u32_e64 s[4:5], 26, v0
	s_waitcnt vmcnt(0)
	ds_write_b32 v62, v77
	s_waitcnt lgkmcnt(0)
	; wave barrier
	s_waitcnt lgkmcnt(0)
	s_and_saveexec_b64 s[10:11], s[4:5]
	s_cbranch_execz .LBB29_26
; %bb.17:
	s_andn2_b64 vcc, exec, s[8:9]
	s_cbranch_vccnz .LBB29_19
; %bb.18:
	buffer_load_dword v77, v63, s[0:3], 0 offen
	ds_read_b32 v78, v62
	s_waitcnt vmcnt(0) lgkmcnt(0)
	v_mul_f32_e32 v77, v77, v78
	s_cbranch_execz .LBB29_20
	s_branch .LBB29_21
.LBB29_19:
                                        ; implicit-def: $vgpr77
.LBB29_20:
	ds_read_b32 v77, v62
.LBB29_21:
	s_and_saveexec_b64 s[12:13], s[6:7]
	s_cbranch_execz .LBB29_25
; %bb.22:
	v_mov_b32_e32 v78, 0
	v_add_u32_e32 v78, 0x6c, v78
	v_subrev_u32_e32 v79, 27, v0
	s_movk_i32 s14, 0xec
	s_mov_b64 s[6:7], 0
.LBB29_23:                              ; =>This Inner Loop Header: Depth=1
	buffer_load_dword v80, v78, s[0:3], 0 offen
	v_mov_b32_e32 v81, s14
	ds_read_b32 v81, v81
	v_add_u32_e32 v79, -1, v79
	s_add_i32 s14, s14, 4
	v_cmp_eq_u32_e32 vcc, 0, v79
	v_add_u32_e32 v78, 4, v78
	s_or_b64 s[6:7], vcc, s[6:7]
	s_waitcnt vmcnt(0) lgkmcnt(0)
	v_fmac_f32_e32 v77, v80, v81
	s_andn2_b64 exec, exec, s[6:7]
	s_cbranch_execnz .LBB29_23
; %bb.24:
	s_or_b64 exec, exec, s[6:7]
.LBB29_25:
	s_or_b64 exec, exec, s[12:13]
	v_mov_b32_e32 v78, 0
	ds_read_b32 v78, v78 offset:104
	s_waitcnt lgkmcnt(0)
	v_mul_f32_e32 v77, v77, v78
	buffer_store_dword v77, off, s[0:3], 0 offset:104
.LBB29_26:
	s_or_b64 exec, exec, s[10:11]
	buffer_load_dword v77, off, s[0:3], 0 offset:100
	v_cmp_lt_u32_e64 s[6:7], 25, v0
	s_waitcnt vmcnt(0)
	ds_write_b32 v62, v77
	s_waitcnt lgkmcnt(0)
	; wave barrier
	s_waitcnt lgkmcnt(0)
	s_and_saveexec_b64 s[10:11], s[6:7]
	s_cbranch_execz .LBB29_36
; %bb.27:
	s_andn2_b64 vcc, exec, s[8:9]
	s_cbranch_vccnz .LBB29_29
; %bb.28:
	buffer_load_dword v77, v63, s[0:3], 0 offen
	ds_read_b32 v78, v62
	s_waitcnt vmcnt(0) lgkmcnt(0)
	v_mul_f32_e32 v77, v77, v78
	s_cbranch_execz .LBB29_30
	s_branch .LBB29_31
.LBB29_29:
                                        ; implicit-def: $vgpr77
.LBB29_30:
	ds_read_b32 v77, v62
.LBB29_31:
	s_and_saveexec_b64 s[12:13], s[4:5]
	s_cbranch_execz .LBB29_35
; %bb.32:
	v_subrev_u32_e32 v78, 26, v0
	s_movk_i32 s14, 0xe8
	s_mov_b64 s[4:5], 0
.LBB29_33:                              ; =>This Inner Loop Header: Depth=1
	buffer_load_dword v79, v76, s[0:3], 0 offen
	v_mov_b32_e32 v80, s14
	ds_read_b32 v80, v80
	v_add_u32_e32 v78, -1, v78
	s_add_i32 s14, s14, 4
	v_cmp_eq_u32_e32 vcc, 0, v78
	v_add_u32_e32 v76, 4, v76
	s_or_b64 s[4:5], vcc, s[4:5]
	s_waitcnt vmcnt(0) lgkmcnt(0)
	v_fmac_f32_e32 v77, v79, v80
	s_andn2_b64 exec, exec, s[4:5]
	s_cbranch_execnz .LBB29_33
; %bb.34:
	s_or_b64 exec, exec, s[4:5]
.LBB29_35:
	s_or_b64 exec, exec, s[12:13]
	v_mov_b32_e32 v76, 0
	ds_read_b32 v76, v76 offset:100
	s_waitcnt lgkmcnt(0)
	v_mul_f32_e32 v76, v77, v76
	buffer_store_dword v76, off, s[0:3], 0 offset:100
.LBB29_36:
	s_or_b64 exec, exec, s[10:11]
	buffer_load_dword v76, off, s[0:3], 0 offset:96
	v_cmp_lt_u32_e64 s[4:5], 24, v0
	s_waitcnt vmcnt(0)
	ds_write_b32 v62, v76
	s_waitcnt lgkmcnt(0)
	; wave barrier
	s_waitcnt lgkmcnt(0)
	s_and_saveexec_b64 s[10:11], s[4:5]
	s_cbranch_execz .LBB29_46
; %bb.37:
	s_andn2_b64 vcc, exec, s[8:9]
	s_cbranch_vccnz .LBB29_39
; %bb.38:
	buffer_load_dword v76, v63, s[0:3], 0 offen
	ds_read_b32 v77, v62
	s_waitcnt vmcnt(0) lgkmcnt(0)
	v_mul_f32_e32 v76, v76, v77
	s_cbranch_execz .LBB29_40
	s_branch .LBB29_41
.LBB29_39:
                                        ; implicit-def: $vgpr76
.LBB29_40:
	ds_read_b32 v76, v62
.LBB29_41:
	s_and_saveexec_b64 s[12:13], s[6:7]
	s_cbranch_execz .LBB29_45
; %bb.42:
	v_mov_b32_e32 v77, 0
	v_add_u32_e32 v77, 0x64, v77
	v_subrev_u32_e32 v78, 25, v0
	s_movk_i32 s14, 0xe4
	s_mov_b64 s[6:7], 0
.LBB29_43:                              ; =>This Inner Loop Header: Depth=1
	buffer_load_dword v79, v77, s[0:3], 0 offen
	v_mov_b32_e32 v80, s14
	ds_read_b32 v80, v80
	v_add_u32_e32 v78, -1, v78
	s_add_i32 s14, s14, 4
	v_cmp_eq_u32_e32 vcc, 0, v78
	v_add_u32_e32 v77, 4, v77
	s_or_b64 s[6:7], vcc, s[6:7]
	s_waitcnt vmcnt(0) lgkmcnt(0)
	v_fmac_f32_e32 v76, v79, v80
	s_andn2_b64 exec, exec, s[6:7]
	s_cbranch_execnz .LBB29_43
; %bb.44:
	s_or_b64 exec, exec, s[6:7]
.LBB29_45:
	s_or_b64 exec, exec, s[12:13]
	v_mov_b32_e32 v77, 0
	ds_read_b32 v77, v77 offset:96
	s_waitcnt lgkmcnt(0)
	v_mul_f32_e32 v76, v76, v77
	buffer_store_dword v76, off, s[0:3], 0 offset:96
.LBB29_46:
	s_or_b64 exec, exec, s[10:11]
	buffer_load_dword v76, off, s[0:3], 0 offset:92
	v_cmp_lt_u32_e64 s[6:7], 23, v0
	s_waitcnt vmcnt(0)
	ds_write_b32 v62, v76
	s_waitcnt lgkmcnt(0)
	; wave barrier
	s_waitcnt lgkmcnt(0)
	s_and_saveexec_b64 s[10:11], s[6:7]
	s_cbranch_execz .LBB29_56
; %bb.47:
	s_andn2_b64 vcc, exec, s[8:9]
	s_cbranch_vccnz .LBB29_49
; %bb.48:
	buffer_load_dword v76, v63, s[0:3], 0 offen
	ds_read_b32 v77, v62
	s_waitcnt vmcnt(0) lgkmcnt(0)
	v_mul_f32_e32 v76, v76, v77
	s_cbranch_execz .LBB29_50
	s_branch .LBB29_51
.LBB29_49:
                                        ; implicit-def: $vgpr76
.LBB29_50:
	ds_read_b32 v76, v62
.LBB29_51:
	s_and_saveexec_b64 s[12:13], s[4:5]
	s_cbranch_execz .LBB29_55
; %bb.52:
	v_subrev_u32_e32 v77, 24, v0
	s_movk_i32 s14, 0xe0
	s_mov_b64 s[4:5], 0
.LBB29_53:                              ; =>This Inner Loop Header: Depth=1
	buffer_load_dword v78, v75, s[0:3], 0 offen
	v_mov_b32_e32 v79, s14
	ds_read_b32 v79, v79
	v_add_u32_e32 v77, -1, v77
	s_add_i32 s14, s14, 4
	v_cmp_eq_u32_e32 vcc, 0, v77
	v_add_u32_e32 v75, 4, v75
	s_or_b64 s[4:5], vcc, s[4:5]
	s_waitcnt vmcnt(0) lgkmcnt(0)
	v_fmac_f32_e32 v76, v78, v79
	s_andn2_b64 exec, exec, s[4:5]
	s_cbranch_execnz .LBB29_53
; %bb.54:
	s_or_b64 exec, exec, s[4:5]
.LBB29_55:
	s_or_b64 exec, exec, s[12:13]
	v_mov_b32_e32 v75, 0
	ds_read_b32 v75, v75 offset:92
	s_waitcnt lgkmcnt(0)
	v_mul_f32_e32 v75, v76, v75
	buffer_store_dword v75, off, s[0:3], 0 offset:92
.LBB29_56:
	s_or_b64 exec, exec, s[10:11]
	buffer_load_dword v75, off, s[0:3], 0 offset:88
	v_cmp_lt_u32_e64 s[4:5], 22, v0
	s_waitcnt vmcnt(0)
	ds_write_b32 v62, v75
	s_waitcnt lgkmcnt(0)
	; wave barrier
	s_waitcnt lgkmcnt(0)
	s_and_saveexec_b64 s[10:11], s[4:5]
	s_cbranch_execz .LBB29_66
; %bb.57:
	s_andn2_b64 vcc, exec, s[8:9]
	s_cbranch_vccnz .LBB29_59
; %bb.58:
	buffer_load_dword v75, v63, s[0:3], 0 offen
	ds_read_b32 v76, v62
	s_waitcnt vmcnt(0) lgkmcnt(0)
	v_mul_f32_e32 v75, v75, v76
	s_cbranch_execz .LBB29_60
	s_branch .LBB29_61
.LBB29_59:
                                        ; implicit-def: $vgpr75
.LBB29_60:
	ds_read_b32 v75, v62
.LBB29_61:
	s_and_saveexec_b64 s[12:13], s[6:7]
	s_cbranch_execz .LBB29_65
; %bb.62:
	v_mov_b32_e32 v76, 0
	v_add_u32_e32 v76, 0x5c, v76
	v_subrev_u32_e32 v77, 23, v0
	s_movk_i32 s14, 0xdc
	s_mov_b64 s[6:7], 0
.LBB29_63:                              ; =>This Inner Loop Header: Depth=1
	buffer_load_dword v78, v76, s[0:3], 0 offen
	v_mov_b32_e32 v79, s14
	ds_read_b32 v79, v79
	v_add_u32_e32 v77, -1, v77
	s_add_i32 s14, s14, 4
	v_cmp_eq_u32_e32 vcc, 0, v77
	v_add_u32_e32 v76, 4, v76
	s_or_b64 s[6:7], vcc, s[6:7]
	s_waitcnt vmcnt(0) lgkmcnt(0)
	v_fmac_f32_e32 v75, v78, v79
	s_andn2_b64 exec, exec, s[6:7]
	s_cbranch_execnz .LBB29_63
; %bb.64:
	s_or_b64 exec, exec, s[6:7]
.LBB29_65:
	s_or_b64 exec, exec, s[12:13]
	v_mov_b32_e32 v76, 0
	ds_read_b32 v76, v76 offset:88
	s_waitcnt lgkmcnt(0)
	v_mul_f32_e32 v75, v75, v76
	buffer_store_dword v75, off, s[0:3], 0 offset:88
.LBB29_66:
	s_or_b64 exec, exec, s[10:11]
	buffer_load_dword v75, off, s[0:3], 0 offset:84
	v_cmp_lt_u32_e64 s[6:7], 21, v0
	s_waitcnt vmcnt(0)
	ds_write_b32 v62, v75
	s_waitcnt lgkmcnt(0)
	; wave barrier
	s_waitcnt lgkmcnt(0)
	s_and_saveexec_b64 s[10:11], s[6:7]
	s_cbranch_execz .LBB29_76
; %bb.67:
	s_andn2_b64 vcc, exec, s[8:9]
	s_cbranch_vccnz .LBB29_69
; %bb.68:
	buffer_load_dword v75, v63, s[0:3], 0 offen
	ds_read_b32 v76, v62
	s_waitcnt vmcnt(0) lgkmcnt(0)
	v_mul_f32_e32 v75, v75, v76
	s_cbranch_execz .LBB29_70
	s_branch .LBB29_71
.LBB29_69:
                                        ; implicit-def: $vgpr75
.LBB29_70:
	ds_read_b32 v75, v62
.LBB29_71:
	s_and_saveexec_b64 s[12:13], s[4:5]
	s_cbranch_execz .LBB29_75
; %bb.72:
	v_subrev_u32_e32 v76, 22, v0
	s_movk_i32 s14, 0xd8
	s_mov_b64 s[4:5], 0
.LBB29_73:                              ; =>This Inner Loop Header: Depth=1
	buffer_load_dword v77, v74, s[0:3], 0 offen
	v_mov_b32_e32 v78, s14
	ds_read_b32 v78, v78
	v_add_u32_e32 v76, -1, v76
	s_add_i32 s14, s14, 4
	v_cmp_eq_u32_e32 vcc, 0, v76
	v_add_u32_e32 v74, 4, v74
	s_or_b64 s[4:5], vcc, s[4:5]
	s_waitcnt vmcnt(0) lgkmcnt(0)
	v_fmac_f32_e32 v75, v77, v78
	s_andn2_b64 exec, exec, s[4:5]
	s_cbranch_execnz .LBB29_73
; %bb.74:
	s_or_b64 exec, exec, s[4:5]
.LBB29_75:
	s_or_b64 exec, exec, s[12:13]
	v_mov_b32_e32 v74, 0
	ds_read_b32 v74, v74 offset:84
	s_waitcnt lgkmcnt(0)
	v_mul_f32_e32 v74, v75, v74
	buffer_store_dword v74, off, s[0:3], 0 offset:84
.LBB29_76:
	s_or_b64 exec, exec, s[10:11]
	buffer_load_dword v74, off, s[0:3], 0 offset:80
	v_cmp_lt_u32_e64 s[4:5], 20, v0
	s_waitcnt vmcnt(0)
	ds_write_b32 v62, v74
	s_waitcnt lgkmcnt(0)
	; wave barrier
	s_waitcnt lgkmcnt(0)
	s_and_saveexec_b64 s[10:11], s[4:5]
	s_cbranch_execz .LBB29_86
; %bb.77:
	s_andn2_b64 vcc, exec, s[8:9]
	s_cbranch_vccnz .LBB29_79
; %bb.78:
	buffer_load_dword v74, v63, s[0:3], 0 offen
	ds_read_b32 v75, v62
	s_waitcnt vmcnt(0) lgkmcnt(0)
	v_mul_f32_e32 v74, v74, v75
	s_cbranch_execz .LBB29_80
	s_branch .LBB29_81
.LBB29_79:
                                        ; implicit-def: $vgpr74
.LBB29_80:
	ds_read_b32 v74, v62
.LBB29_81:
	s_and_saveexec_b64 s[12:13], s[6:7]
	s_cbranch_execz .LBB29_85
; %bb.82:
	v_mov_b32_e32 v75, 0
	v_add_u32_e32 v75, 0x54, v75
	v_subrev_u32_e32 v76, 21, v0
	s_movk_i32 s14, 0xd4
	s_mov_b64 s[6:7], 0
.LBB29_83:                              ; =>This Inner Loop Header: Depth=1
	buffer_load_dword v77, v75, s[0:3], 0 offen
	v_mov_b32_e32 v78, s14
	ds_read_b32 v78, v78
	v_add_u32_e32 v76, -1, v76
	s_add_i32 s14, s14, 4
	v_cmp_eq_u32_e32 vcc, 0, v76
	v_add_u32_e32 v75, 4, v75
	s_or_b64 s[6:7], vcc, s[6:7]
	s_waitcnt vmcnt(0) lgkmcnt(0)
	v_fmac_f32_e32 v74, v77, v78
	s_andn2_b64 exec, exec, s[6:7]
	s_cbranch_execnz .LBB29_83
; %bb.84:
	s_or_b64 exec, exec, s[6:7]
.LBB29_85:
	s_or_b64 exec, exec, s[12:13]
	v_mov_b32_e32 v75, 0
	ds_read_b32 v75, v75 offset:80
	s_waitcnt lgkmcnt(0)
	v_mul_f32_e32 v74, v74, v75
	buffer_store_dword v74, off, s[0:3], 0 offset:80
.LBB29_86:
	s_or_b64 exec, exec, s[10:11]
	buffer_load_dword v74, off, s[0:3], 0 offset:76
	v_cmp_lt_u32_e64 s[6:7], 19, v0
	s_waitcnt vmcnt(0)
	ds_write_b32 v62, v74
	s_waitcnt lgkmcnt(0)
	; wave barrier
	s_waitcnt lgkmcnt(0)
	s_and_saveexec_b64 s[10:11], s[6:7]
	s_cbranch_execz .LBB29_96
; %bb.87:
	s_andn2_b64 vcc, exec, s[8:9]
	s_cbranch_vccnz .LBB29_89
; %bb.88:
	buffer_load_dword v74, v63, s[0:3], 0 offen
	ds_read_b32 v75, v62
	s_waitcnt vmcnt(0) lgkmcnt(0)
	v_mul_f32_e32 v74, v74, v75
	s_cbranch_execz .LBB29_90
	s_branch .LBB29_91
.LBB29_89:
                                        ; implicit-def: $vgpr74
.LBB29_90:
	ds_read_b32 v74, v62
.LBB29_91:
	s_and_saveexec_b64 s[12:13], s[4:5]
	s_cbranch_execz .LBB29_95
; %bb.92:
	v_subrev_u32_e32 v75, 20, v0
	s_movk_i32 s14, 0xd0
	s_mov_b64 s[4:5], 0
.LBB29_93:                              ; =>This Inner Loop Header: Depth=1
	buffer_load_dword v76, v73, s[0:3], 0 offen
	v_mov_b32_e32 v77, s14
	ds_read_b32 v77, v77
	v_add_u32_e32 v75, -1, v75
	s_add_i32 s14, s14, 4
	v_cmp_eq_u32_e32 vcc, 0, v75
	v_add_u32_e32 v73, 4, v73
	s_or_b64 s[4:5], vcc, s[4:5]
	s_waitcnt vmcnt(0) lgkmcnt(0)
	v_fmac_f32_e32 v74, v76, v77
	s_andn2_b64 exec, exec, s[4:5]
	s_cbranch_execnz .LBB29_93
; %bb.94:
	s_or_b64 exec, exec, s[4:5]
.LBB29_95:
	s_or_b64 exec, exec, s[12:13]
	v_mov_b32_e32 v73, 0
	ds_read_b32 v73, v73 offset:76
	s_waitcnt lgkmcnt(0)
	v_mul_f32_e32 v73, v74, v73
	buffer_store_dword v73, off, s[0:3], 0 offset:76
.LBB29_96:
	s_or_b64 exec, exec, s[10:11]
	buffer_load_dword v73, off, s[0:3], 0 offset:72
	v_cmp_lt_u32_e64 s[4:5], 18, v0
	s_waitcnt vmcnt(0)
	ds_write_b32 v62, v73
	s_waitcnt lgkmcnt(0)
	; wave barrier
	s_waitcnt lgkmcnt(0)
	s_and_saveexec_b64 s[10:11], s[4:5]
	s_cbranch_execz .LBB29_106
; %bb.97:
	s_andn2_b64 vcc, exec, s[8:9]
	s_cbranch_vccnz .LBB29_99
; %bb.98:
	buffer_load_dword v73, v63, s[0:3], 0 offen
	ds_read_b32 v74, v62
	s_waitcnt vmcnt(0) lgkmcnt(0)
	v_mul_f32_e32 v73, v73, v74
	s_cbranch_execz .LBB29_100
	s_branch .LBB29_101
.LBB29_99:
                                        ; implicit-def: $vgpr73
.LBB29_100:
	ds_read_b32 v73, v62
.LBB29_101:
	s_and_saveexec_b64 s[12:13], s[6:7]
	s_cbranch_execz .LBB29_105
; %bb.102:
	v_mov_b32_e32 v74, 0
	v_add_u32_e32 v74, 0x4c, v74
	v_subrev_u32_e32 v75, 19, v0
	s_movk_i32 s14, 0xcc
	s_mov_b64 s[6:7], 0
.LBB29_103:                             ; =>This Inner Loop Header: Depth=1
	buffer_load_dword v76, v74, s[0:3], 0 offen
	v_mov_b32_e32 v77, s14
	ds_read_b32 v77, v77
	v_add_u32_e32 v75, -1, v75
	s_add_i32 s14, s14, 4
	v_cmp_eq_u32_e32 vcc, 0, v75
	v_add_u32_e32 v74, 4, v74
	s_or_b64 s[6:7], vcc, s[6:7]
	s_waitcnt vmcnt(0) lgkmcnt(0)
	v_fmac_f32_e32 v73, v76, v77
	s_andn2_b64 exec, exec, s[6:7]
	s_cbranch_execnz .LBB29_103
; %bb.104:
	s_or_b64 exec, exec, s[6:7]
.LBB29_105:
	s_or_b64 exec, exec, s[12:13]
	v_mov_b32_e32 v74, 0
	ds_read_b32 v74, v74 offset:72
	s_waitcnt lgkmcnt(0)
	v_mul_f32_e32 v73, v73, v74
	buffer_store_dword v73, off, s[0:3], 0 offset:72
.LBB29_106:
	s_or_b64 exec, exec, s[10:11]
	buffer_load_dword v73, off, s[0:3], 0 offset:68
	v_cmp_lt_u32_e64 s[6:7], 17, v0
	s_waitcnt vmcnt(0)
	ds_write_b32 v62, v73
	s_waitcnt lgkmcnt(0)
	; wave barrier
	s_waitcnt lgkmcnt(0)
	s_and_saveexec_b64 s[10:11], s[6:7]
	s_cbranch_execz .LBB29_116
; %bb.107:
	s_andn2_b64 vcc, exec, s[8:9]
	s_cbranch_vccnz .LBB29_109
; %bb.108:
	buffer_load_dword v73, v63, s[0:3], 0 offen
	ds_read_b32 v74, v62
	s_waitcnt vmcnt(0) lgkmcnt(0)
	v_mul_f32_e32 v73, v73, v74
	s_cbranch_execz .LBB29_110
	s_branch .LBB29_111
.LBB29_109:
                                        ; implicit-def: $vgpr73
.LBB29_110:
	ds_read_b32 v73, v62
.LBB29_111:
	s_and_saveexec_b64 s[12:13], s[4:5]
	s_cbranch_execz .LBB29_115
; %bb.112:
	v_subrev_u32_e32 v74, 18, v0
	s_movk_i32 s14, 0xc8
	s_mov_b64 s[4:5], 0
.LBB29_113:                             ; =>This Inner Loop Header: Depth=1
	buffer_load_dword v75, v72, s[0:3], 0 offen
	v_mov_b32_e32 v76, s14
	ds_read_b32 v76, v76
	v_add_u32_e32 v74, -1, v74
	s_add_i32 s14, s14, 4
	v_cmp_eq_u32_e32 vcc, 0, v74
	v_add_u32_e32 v72, 4, v72
	s_or_b64 s[4:5], vcc, s[4:5]
	s_waitcnt vmcnt(0) lgkmcnt(0)
	v_fmac_f32_e32 v73, v75, v76
	s_andn2_b64 exec, exec, s[4:5]
	s_cbranch_execnz .LBB29_113
; %bb.114:
	s_or_b64 exec, exec, s[4:5]
.LBB29_115:
	s_or_b64 exec, exec, s[12:13]
	v_mov_b32_e32 v72, 0
	ds_read_b32 v72, v72 offset:68
	s_waitcnt lgkmcnt(0)
	v_mul_f32_e32 v72, v73, v72
	buffer_store_dword v72, off, s[0:3], 0 offset:68
.LBB29_116:
	s_or_b64 exec, exec, s[10:11]
	buffer_load_dword v72, off, s[0:3], 0 offset:64
	v_cmp_lt_u32_e64 s[4:5], 16, v0
	s_waitcnt vmcnt(0)
	ds_write_b32 v62, v72
	s_waitcnt lgkmcnt(0)
	; wave barrier
	s_waitcnt lgkmcnt(0)
	s_and_saveexec_b64 s[10:11], s[4:5]
	s_cbranch_execz .LBB29_126
; %bb.117:
	s_andn2_b64 vcc, exec, s[8:9]
	s_cbranch_vccnz .LBB29_119
; %bb.118:
	buffer_load_dword v72, v63, s[0:3], 0 offen
	ds_read_b32 v73, v62
	s_waitcnt vmcnt(0) lgkmcnt(0)
	v_mul_f32_e32 v72, v72, v73
	s_cbranch_execz .LBB29_120
	s_branch .LBB29_121
.LBB29_119:
                                        ; implicit-def: $vgpr72
.LBB29_120:
	ds_read_b32 v72, v62
.LBB29_121:
	s_and_saveexec_b64 s[12:13], s[6:7]
	s_cbranch_execz .LBB29_125
; %bb.122:
	v_mov_b32_e32 v73, 0
	v_add_u32_e32 v73, 0x44, v73
	v_subrev_u32_e32 v74, 17, v0
	s_movk_i32 s14, 0xc4
	s_mov_b64 s[6:7], 0
.LBB29_123:                             ; =>This Inner Loop Header: Depth=1
	buffer_load_dword v75, v73, s[0:3], 0 offen
	v_mov_b32_e32 v76, s14
	ds_read_b32 v76, v76
	v_add_u32_e32 v74, -1, v74
	s_add_i32 s14, s14, 4
	v_cmp_eq_u32_e32 vcc, 0, v74
	v_add_u32_e32 v73, 4, v73
	s_or_b64 s[6:7], vcc, s[6:7]
	s_waitcnt vmcnt(0) lgkmcnt(0)
	v_fmac_f32_e32 v72, v75, v76
	s_andn2_b64 exec, exec, s[6:7]
	s_cbranch_execnz .LBB29_123
; %bb.124:
	s_or_b64 exec, exec, s[6:7]
.LBB29_125:
	s_or_b64 exec, exec, s[12:13]
	v_mov_b32_e32 v73, 0
	ds_read_b32 v73, v73 offset:64
	s_waitcnt lgkmcnt(0)
	v_mul_f32_e32 v72, v72, v73
	buffer_store_dword v72, off, s[0:3], 0 offset:64
.LBB29_126:
	s_or_b64 exec, exec, s[10:11]
	buffer_load_dword v72, off, s[0:3], 0 offset:60
	v_cmp_lt_u32_e64 s[6:7], 15, v0
	s_waitcnt vmcnt(0)
	ds_write_b32 v62, v72
	s_waitcnt lgkmcnt(0)
	; wave barrier
	s_waitcnt lgkmcnt(0)
	s_and_saveexec_b64 s[10:11], s[6:7]
	s_cbranch_execz .LBB29_136
; %bb.127:
	s_andn2_b64 vcc, exec, s[8:9]
	s_cbranch_vccnz .LBB29_129
; %bb.128:
	buffer_load_dword v72, v63, s[0:3], 0 offen
	ds_read_b32 v73, v62
	s_waitcnt vmcnt(0) lgkmcnt(0)
	v_mul_f32_e32 v72, v72, v73
	s_cbranch_execz .LBB29_130
	s_branch .LBB29_131
.LBB29_129:
                                        ; implicit-def: $vgpr72
.LBB29_130:
	ds_read_b32 v72, v62
.LBB29_131:
	s_and_saveexec_b64 s[12:13], s[4:5]
	s_cbranch_execz .LBB29_135
; %bb.132:
	v_add_u32_e32 v73, -16, v0
	s_movk_i32 s14, 0xc0
	s_mov_b64 s[4:5], 0
.LBB29_133:                             ; =>This Inner Loop Header: Depth=1
	buffer_load_dword v74, v71, s[0:3], 0 offen
	v_mov_b32_e32 v75, s14
	ds_read_b32 v75, v75
	v_add_u32_e32 v73, -1, v73
	s_add_i32 s14, s14, 4
	v_cmp_eq_u32_e32 vcc, 0, v73
	v_add_u32_e32 v71, 4, v71
	s_or_b64 s[4:5], vcc, s[4:5]
	s_waitcnt vmcnt(0) lgkmcnt(0)
	v_fmac_f32_e32 v72, v74, v75
	s_andn2_b64 exec, exec, s[4:5]
	s_cbranch_execnz .LBB29_133
; %bb.134:
	s_or_b64 exec, exec, s[4:5]
.LBB29_135:
	s_or_b64 exec, exec, s[12:13]
	v_mov_b32_e32 v71, 0
	ds_read_b32 v71, v71 offset:60
	s_waitcnt lgkmcnt(0)
	v_mul_f32_e32 v71, v72, v71
	buffer_store_dword v71, off, s[0:3], 0 offset:60
.LBB29_136:
	s_or_b64 exec, exec, s[10:11]
	buffer_load_dword v71, off, s[0:3], 0 offset:56
	v_cmp_lt_u32_e64 s[4:5], 14, v0
	s_waitcnt vmcnt(0)
	ds_write_b32 v62, v71
	s_waitcnt lgkmcnt(0)
	; wave barrier
	s_waitcnt lgkmcnt(0)
	s_and_saveexec_b64 s[10:11], s[4:5]
	s_cbranch_execz .LBB29_146
; %bb.137:
	s_andn2_b64 vcc, exec, s[8:9]
	s_cbranch_vccnz .LBB29_139
; %bb.138:
	buffer_load_dword v71, v63, s[0:3], 0 offen
	ds_read_b32 v72, v62
	s_waitcnt vmcnt(0) lgkmcnt(0)
	v_mul_f32_e32 v71, v71, v72
	s_cbranch_execz .LBB29_140
	s_branch .LBB29_141
.LBB29_139:
                                        ; implicit-def: $vgpr71
.LBB29_140:
	ds_read_b32 v71, v62
.LBB29_141:
	s_and_saveexec_b64 s[12:13], s[6:7]
	s_cbranch_execz .LBB29_145
; %bb.142:
	v_mov_b32_e32 v72, 0
	v_add_u32_e32 v72, 60, v72
	v_add_u32_e32 v73, -15, v0
	s_movk_i32 s14, 0xbc
	s_mov_b64 s[6:7], 0
.LBB29_143:                             ; =>This Inner Loop Header: Depth=1
	buffer_load_dword v74, v72, s[0:3], 0 offen
	v_mov_b32_e32 v75, s14
	ds_read_b32 v75, v75
	v_add_u32_e32 v73, -1, v73
	s_add_i32 s14, s14, 4
	v_cmp_eq_u32_e32 vcc, 0, v73
	v_add_u32_e32 v72, 4, v72
	s_or_b64 s[6:7], vcc, s[6:7]
	s_waitcnt vmcnt(0) lgkmcnt(0)
	v_fmac_f32_e32 v71, v74, v75
	s_andn2_b64 exec, exec, s[6:7]
	s_cbranch_execnz .LBB29_143
; %bb.144:
	s_or_b64 exec, exec, s[6:7]
.LBB29_145:
	s_or_b64 exec, exec, s[12:13]
	v_mov_b32_e32 v72, 0
	ds_read_b32 v72, v72 offset:56
	s_waitcnt lgkmcnt(0)
	v_mul_f32_e32 v71, v71, v72
	buffer_store_dword v71, off, s[0:3], 0 offset:56
.LBB29_146:
	s_or_b64 exec, exec, s[10:11]
	buffer_load_dword v71, off, s[0:3], 0 offset:52
	v_cmp_lt_u32_e64 s[6:7], 13, v0
	s_waitcnt vmcnt(0)
	ds_write_b32 v62, v71
	s_waitcnt lgkmcnt(0)
	; wave barrier
	s_waitcnt lgkmcnt(0)
	s_and_saveexec_b64 s[10:11], s[6:7]
	s_cbranch_execz .LBB29_156
; %bb.147:
	s_andn2_b64 vcc, exec, s[8:9]
	s_cbranch_vccnz .LBB29_149
; %bb.148:
	buffer_load_dword v71, v63, s[0:3], 0 offen
	ds_read_b32 v72, v62
	s_waitcnt vmcnt(0) lgkmcnt(0)
	v_mul_f32_e32 v71, v71, v72
	s_cbranch_execz .LBB29_150
	s_branch .LBB29_151
.LBB29_149:
                                        ; implicit-def: $vgpr71
.LBB29_150:
	ds_read_b32 v71, v62
.LBB29_151:
	s_and_saveexec_b64 s[12:13], s[4:5]
	s_cbranch_execz .LBB29_155
; %bb.152:
	v_add_u32_e32 v72, -14, v0
	s_movk_i32 s14, 0xb8
	s_mov_b64 s[4:5], 0
.LBB29_153:                             ; =>This Inner Loop Header: Depth=1
	buffer_load_dword v73, v70, s[0:3], 0 offen
	v_mov_b32_e32 v74, s14
	ds_read_b32 v74, v74
	v_add_u32_e32 v72, -1, v72
	s_add_i32 s14, s14, 4
	v_cmp_eq_u32_e32 vcc, 0, v72
	v_add_u32_e32 v70, 4, v70
	s_or_b64 s[4:5], vcc, s[4:5]
	s_waitcnt vmcnt(0) lgkmcnt(0)
	v_fmac_f32_e32 v71, v73, v74
	s_andn2_b64 exec, exec, s[4:5]
	s_cbranch_execnz .LBB29_153
; %bb.154:
	s_or_b64 exec, exec, s[4:5]
.LBB29_155:
	s_or_b64 exec, exec, s[12:13]
	v_mov_b32_e32 v70, 0
	ds_read_b32 v70, v70 offset:52
	s_waitcnt lgkmcnt(0)
	v_mul_f32_e32 v70, v71, v70
	buffer_store_dword v70, off, s[0:3], 0 offset:52
.LBB29_156:
	s_or_b64 exec, exec, s[10:11]
	buffer_load_dword v70, off, s[0:3], 0 offset:48
	v_cmp_lt_u32_e64 s[4:5], 12, v0
	s_waitcnt vmcnt(0)
	ds_write_b32 v62, v70
	s_waitcnt lgkmcnt(0)
	; wave barrier
	s_waitcnt lgkmcnt(0)
	s_and_saveexec_b64 s[10:11], s[4:5]
	s_cbranch_execz .LBB29_166
; %bb.157:
	s_andn2_b64 vcc, exec, s[8:9]
	s_cbranch_vccnz .LBB29_159
; %bb.158:
	buffer_load_dword v70, v63, s[0:3], 0 offen
	ds_read_b32 v71, v62
	s_waitcnt vmcnt(0) lgkmcnt(0)
	v_mul_f32_e32 v70, v70, v71
	s_cbranch_execz .LBB29_160
	s_branch .LBB29_161
.LBB29_159:
                                        ; implicit-def: $vgpr70
.LBB29_160:
	ds_read_b32 v70, v62
.LBB29_161:
	s_and_saveexec_b64 s[12:13], s[6:7]
	s_cbranch_execz .LBB29_165
; %bb.162:
	v_mov_b32_e32 v71, 0
	v_add_u32_e32 v71, 52, v71
	v_add_u32_e32 v72, -13, v0
	s_movk_i32 s14, 0xb4
	s_mov_b64 s[6:7], 0
.LBB29_163:                             ; =>This Inner Loop Header: Depth=1
	buffer_load_dword v73, v71, s[0:3], 0 offen
	v_mov_b32_e32 v74, s14
	ds_read_b32 v74, v74
	v_add_u32_e32 v72, -1, v72
	s_add_i32 s14, s14, 4
	v_cmp_eq_u32_e32 vcc, 0, v72
	v_add_u32_e32 v71, 4, v71
	s_or_b64 s[6:7], vcc, s[6:7]
	s_waitcnt vmcnt(0) lgkmcnt(0)
	v_fmac_f32_e32 v70, v73, v74
	s_andn2_b64 exec, exec, s[6:7]
	s_cbranch_execnz .LBB29_163
; %bb.164:
	s_or_b64 exec, exec, s[6:7]
.LBB29_165:
	s_or_b64 exec, exec, s[12:13]
	v_mov_b32_e32 v71, 0
	ds_read_b32 v71, v71 offset:48
	s_waitcnt lgkmcnt(0)
	v_mul_f32_e32 v70, v70, v71
	buffer_store_dword v70, off, s[0:3], 0 offset:48
.LBB29_166:
	s_or_b64 exec, exec, s[10:11]
	buffer_load_dword v70, off, s[0:3], 0 offset:44
	v_cmp_lt_u32_e64 s[6:7], 11, v0
	s_waitcnt vmcnt(0)
	ds_write_b32 v62, v70
	s_waitcnt lgkmcnt(0)
	; wave barrier
	s_waitcnt lgkmcnt(0)
	s_and_saveexec_b64 s[10:11], s[6:7]
	s_cbranch_execz .LBB29_176
; %bb.167:
	s_andn2_b64 vcc, exec, s[8:9]
	s_cbranch_vccnz .LBB29_169
; %bb.168:
	buffer_load_dword v70, v63, s[0:3], 0 offen
	ds_read_b32 v71, v62
	s_waitcnt vmcnt(0) lgkmcnt(0)
	v_mul_f32_e32 v70, v70, v71
	s_cbranch_execz .LBB29_170
	s_branch .LBB29_171
.LBB29_169:
                                        ; implicit-def: $vgpr70
.LBB29_170:
	ds_read_b32 v70, v62
.LBB29_171:
	s_and_saveexec_b64 s[12:13], s[4:5]
	s_cbranch_execz .LBB29_175
; %bb.172:
	v_add_u32_e32 v71, -12, v0
	s_movk_i32 s14, 0xb0
	s_mov_b64 s[4:5], 0
.LBB29_173:                             ; =>This Inner Loop Header: Depth=1
	buffer_load_dword v72, v69, s[0:3], 0 offen
	v_mov_b32_e32 v73, s14
	ds_read_b32 v73, v73
	v_add_u32_e32 v71, -1, v71
	s_add_i32 s14, s14, 4
	v_cmp_eq_u32_e32 vcc, 0, v71
	v_add_u32_e32 v69, 4, v69
	s_or_b64 s[4:5], vcc, s[4:5]
	s_waitcnt vmcnt(0) lgkmcnt(0)
	v_fmac_f32_e32 v70, v72, v73
	s_andn2_b64 exec, exec, s[4:5]
	s_cbranch_execnz .LBB29_173
; %bb.174:
	s_or_b64 exec, exec, s[4:5]
.LBB29_175:
	s_or_b64 exec, exec, s[12:13]
	v_mov_b32_e32 v69, 0
	ds_read_b32 v69, v69 offset:44
	s_waitcnt lgkmcnt(0)
	v_mul_f32_e32 v69, v70, v69
	buffer_store_dword v69, off, s[0:3], 0 offset:44
.LBB29_176:
	s_or_b64 exec, exec, s[10:11]
	buffer_load_dword v69, off, s[0:3], 0 offset:40
	v_cmp_lt_u32_e64 s[4:5], 10, v0
	s_waitcnt vmcnt(0)
	ds_write_b32 v62, v69
	s_waitcnt lgkmcnt(0)
	; wave barrier
	s_waitcnt lgkmcnt(0)
	s_and_saveexec_b64 s[10:11], s[4:5]
	s_cbranch_execz .LBB29_186
; %bb.177:
	s_andn2_b64 vcc, exec, s[8:9]
	s_cbranch_vccnz .LBB29_179
; %bb.178:
	buffer_load_dword v69, v63, s[0:3], 0 offen
	ds_read_b32 v70, v62
	s_waitcnt vmcnt(0) lgkmcnt(0)
	v_mul_f32_e32 v69, v69, v70
	s_cbranch_execz .LBB29_180
	s_branch .LBB29_181
.LBB29_179:
                                        ; implicit-def: $vgpr69
.LBB29_180:
	ds_read_b32 v69, v62
.LBB29_181:
	s_and_saveexec_b64 s[12:13], s[6:7]
	s_cbranch_execz .LBB29_185
; %bb.182:
	v_mov_b32_e32 v70, 0
	v_add_u32_e32 v70, 44, v70
	v_add_u32_e32 v71, -11, v0
	s_movk_i32 s14, 0xac
	s_mov_b64 s[6:7], 0
.LBB29_183:                             ; =>This Inner Loop Header: Depth=1
	buffer_load_dword v72, v70, s[0:3], 0 offen
	v_mov_b32_e32 v73, s14
	ds_read_b32 v73, v73
	v_add_u32_e32 v71, -1, v71
	s_add_i32 s14, s14, 4
	v_cmp_eq_u32_e32 vcc, 0, v71
	v_add_u32_e32 v70, 4, v70
	s_or_b64 s[6:7], vcc, s[6:7]
	s_waitcnt vmcnt(0) lgkmcnt(0)
	v_fmac_f32_e32 v69, v72, v73
	s_andn2_b64 exec, exec, s[6:7]
	s_cbranch_execnz .LBB29_183
; %bb.184:
	s_or_b64 exec, exec, s[6:7]
.LBB29_185:
	s_or_b64 exec, exec, s[12:13]
	v_mov_b32_e32 v70, 0
	ds_read_b32 v70, v70 offset:40
	s_waitcnt lgkmcnt(0)
	v_mul_f32_e32 v69, v69, v70
	buffer_store_dword v69, off, s[0:3], 0 offset:40
.LBB29_186:
	s_or_b64 exec, exec, s[10:11]
	buffer_load_dword v69, off, s[0:3], 0 offset:36
	v_cmp_lt_u32_e64 s[6:7], 9, v0
	s_waitcnt vmcnt(0)
	ds_write_b32 v62, v69
	s_waitcnt lgkmcnt(0)
	; wave barrier
	s_waitcnt lgkmcnt(0)
	s_and_saveexec_b64 s[10:11], s[6:7]
	s_cbranch_execz .LBB29_196
; %bb.187:
	s_andn2_b64 vcc, exec, s[8:9]
	s_cbranch_vccnz .LBB29_189
; %bb.188:
	buffer_load_dword v69, v63, s[0:3], 0 offen
	ds_read_b32 v70, v62
	s_waitcnt vmcnt(0) lgkmcnt(0)
	v_mul_f32_e32 v69, v69, v70
	s_cbranch_execz .LBB29_190
	s_branch .LBB29_191
.LBB29_189:
                                        ; implicit-def: $vgpr69
.LBB29_190:
	ds_read_b32 v69, v62
.LBB29_191:
	s_and_saveexec_b64 s[12:13], s[4:5]
	s_cbranch_execz .LBB29_195
; %bb.192:
	v_add_u32_e32 v70, -10, v0
	s_movk_i32 s14, 0xa8
	s_mov_b64 s[4:5], 0
.LBB29_193:                             ; =>This Inner Loop Header: Depth=1
	buffer_load_dword v71, v68, s[0:3], 0 offen
	v_mov_b32_e32 v72, s14
	ds_read_b32 v72, v72
	v_add_u32_e32 v70, -1, v70
	s_add_i32 s14, s14, 4
	v_cmp_eq_u32_e32 vcc, 0, v70
	v_add_u32_e32 v68, 4, v68
	s_or_b64 s[4:5], vcc, s[4:5]
	s_waitcnt vmcnt(0) lgkmcnt(0)
	v_fmac_f32_e32 v69, v71, v72
	s_andn2_b64 exec, exec, s[4:5]
	s_cbranch_execnz .LBB29_193
; %bb.194:
	s_or_b64 exec, exec, s[4:5]
.LBB29_195:
	s_or_b64 exec, exec, s[12:13]
	v_mov_b32_e32 v68, 0
	ds_read_b32 v68, v68 offset:36
	s_waitcnt lgkmcnt(0)
	v_mul_f32_e32 v68, v69, v68
	buffer_store_dword v68, off, s[0:3], 0 offset:36
.LBB29_196:
	s_or_b64 exec, exec, s[10:11]
	buffer_load_dword v68, off, s[0:3], 0 offset:32
	v_cmp_lt_u32_e64 s[4:5], 8, v0
	s_waitcnt vmcnt(0)
	ds_write_b32 v62, v68
	s_waitcnt lgkmcnt(0)
	; wave barrier
	s_waitcnt lgkmcnt(0)
	s_and_saveexec_b64 s[10:11], s[4:5]
	s_cbranch_execz .LBB29_206
; %bb.197:
	s_andn2_b64 vcc, exec, s[8:9]
	s_cbranch_vccnz .LBB29_199
; %bb.198:
	buffer_load_dword v68, v63, s[0:3], 0 offen
	ds_read_b32 v69, v62
	s_waitcnt vmcnt(0) lgkmcnt(0)
	v_mul_f32_e32 v68, v68, v69
	s_cbranch_execz .LBB29_200
	s_branch .LBB29_201
.LBB29_199:
                                        ; implicit-def: $vgpr68
.LBB29_200:
	ds_read_b32 v68, v62
.LBB29_201:
	s_and_saveexec_b64 s[12:13], s[6:7]
	s_cbranch_execz .LBB29_205
; %bb.202:
	v_mov_b32_e32 v69, 0
	v_add_u32_e32 v69, 36, v69
	v_add_u32_e32 v70, -9, v0
	s_movk_i32 s14, 0xa4
	s_mov_b64 s[6:7], 0
.LBB29_203:                             ; =>This Inner Loop Header: Depth=1
	buffer_load_dword v71, v69, s[0:3], 0 offen
	v_mov_b32_e32 v72, s14
	ds_read_b32 v72, v72
	v_add_u32_e32 v70, -1, v70
	s_add_i32 s14, s14, 4
	v_cmp_eq_u32_e32 vcc, 0, v70
	v_add_u32_e32 v69, 4, v69
	s_or_b64 s[6:7], vcc, s[6:7]
	s_waitcnt vmcnt(0) lgkmcnt(0)
	v_fmac_f32_e32 v68, v71, v72
	s_andn2_b64 exec, exec, s[6:7]
	s_cbranch_execnz .LBB29_203
; %bb.204:
	s_or_b64 exec, exec, s[6:7]
.LBB29_205:
	s_or_b64 exec, exec, s[12:13]
	v_mov_b32_e32 v69, 0
	ds_read_b32 v69, v69 offset:32
	s_waitcnt lgkmcnt(0)
	v_mul_f32_e32 v68, v68, v69
	buffer_store_dword v68, off, s[0:3], 0 offset:32
.LBB29_206:
	s_or_b64 exec, exec, s[10:11]
	buffer_load_dword v68, off, s[0:3], 0 offset:28
	v_cmp_lt_u32_e64 s[6:7], 7, v0
	s_waitcnt vmcnt(0)
	ds_write_b32 v62, v68
	s_waitcnt lgkmcnt(0)
	; wave barrier
	s_waitcnt lgkmcnt(0)
	s_and_saveexec_b64 s[10:11], s[6:7]
	s_cbranch_execz .LBB29_216
; %bb.207:
	s_andn2_b64 vcc, exec, s[8:9]
	s_cbranch_vccnz .LBB29_209
; %bb.208:
	buffer_load_dword v68, v63, s[0:3], 0 offen
	ds_read_b32 v69, v62
	s_waitcnt vmcnt(0) lgkmcnt(0)
	v_mul_f32_e32 v68, v68, v69
	s_cbranch_execz .LBB29_210
	s_branch .LBB29_211
.LBB29_209:
                                        ; implicit-def: $vgpr68
.LBB29_210:
	ds_read_b32 v68, v62
.LBB29_211:
	s_and_saveexec_b64 s[12:13], s[4:5]
	s_cbranch_execz .LBB29_215
; %bb.212:
	v_add_u32_e32 v69, -8, v0
	s_movk_i32 s14, 0xa0
	s_mov_b64 s[4:5], 0
.LBB29_213:                             ; =>This Inner Loop Header: Depth=1
	buffer_load_dword v70, v67, s[0:3], 0 offen
	v_mov_b32_e32 v71, s14
	ds_read_b32 v71, v71
	v_add_u32_e32 v69, -1, v69
	s_add_i32 s14, s14, 4
	v_cmp_eq_u32_e32 vcc, 0, v69
	v_add_u32_e32 v67, 4, v67
	s_or_b64 s[4:5], vcc, s[4:5]
	s_waitcnt vmcnt(0) lgkmcnt(0)
	v_fmac_f32_e32 v68, v70, v71
	s_andn2_b64 exec, exec, s[4:5]
	s_cbranch_execnz .LBB29_213
; %bb.214:
	s_or_b64 exec, exec, s[4:5]
.LBB29_215:
	s_or_b64 exec, exec, s[12:13]
	v_mov_b32_e32 v67, 0
	ds_read_b32 v67, v67 offset:28
	s_waitcnt lgkmcnt(0)
	v_mul_f32_e32 v67, v68, v67
	buffer_store_dword v67, off, s[0:3], 0 offset:28
.LBB29_216:
	s_or_b64 exec, exec, s[10:11]
	buffer_load_dword v67, off, s[0:3], 0 offset:24
	v_cmp_lt_u32_e64 s[4:5], 6, v0
	s_waitcnt vmcnt(0)
	ds_write_b32 v62, v67
	s_waitcnt lgkmcnt(0)
	; wave barrier
	s_waitcnt lgkmcnt(0)
	s_and_saveexec_b64 s[10:11], s[4:5]
	s_cbranch_execz .LBB29_226
; %bb.217:
	s_andn2_b64 vcc, exec, s[8:9]
	s_cbranch_vccnz .LBB29_219
; %bb.218:
	buffer_load_dword v67, v63, s[0:3], 0 offen
	ds_read_b32 v68, v62
	s_waitcnt vmcnt(0) lgkmcnt(0)
	v_mul_f32_e32 v67, v67, v68
	s_cbranch_execz .LBB29_220
	s_branch .LBB29_221
.LBB29_219:
                                        ; implicit-def: $vgpr67
.LBB29_220:
	ds_read_b32 v67, v62
.LBB29_221:
	s_and_saveexec_b64 s[12:13], s[6:7]
	s_cbranch_execz .LBB29_225
; %bb.222:
	v_mov_b32_e32 v68, 0
	v_add_u32_e32 v68, 28, v68
	v_add_u32_e32 v69, -7, v0
	s_movk_i32 s14, 0x9c
	s_mov_b64 s[6:7], 0
.LBB29_223:                             ; =>This Inner Loop Header: Depth=1
	buffer_load_dword v70, v68, s[0:3], 0 offen
	v_mov_b32_e32 v71, s14
	ds_read_b32 v71, v71
	v_add_u32_e32 v69, -1, v69
	s_add_i32 s14, s14, 4
	v_cmp_eq_u32_e32 vcc, 0, v69
	v_add_u32_e32 v68, 4, v68
	s_or_b64 s[6:7], vcc, s[6:7]
	s_waitcnt vmcnt(0) lgkmcnt(0)
	v_fmac_f32_e32 v67, v70, v71
	s_andn2_b64 exec, exec, s[6:7]
	s_cbranch_execnz .LBB29_223
; %bb.224:
	s_or_b64 exec, exec, s[6:7]
.LBB29_225:
	s_or_b64 exec, exec, s[12:13]
	v_mov_b32_e32 v68, 0
	ds_read_b32 v68, v68 offset:24
	s_waitcnt lgkmcnt(0)
	v_mul_f32_e32 v67, v67, v68
	buffer_store_dword v67, off, s[0:3], 0 offset:24
.LBB29_226:
	s_or_b64 exec, exec, s[10:11]
	buffer_load_dword v67, off, s[0:3], 0 offset:20
	v_cmp_lt_u32_e64 s[6:7], 5, v0
	s_waitcnt vmcnt(0)
	ds_write_b32 v62, v67
	s_waitcnt lgkmcnt(0)
	; wave barrier
	s_waitcnt lgkmcnt(0)
	s_and_saveexec_b64 s[10:11], s[6:7]
	s_cbranch_execz .LBB29_236
; %bb.227:
	s_andn2_b64 vcc, exec, s[8:9]
	s_cbranch_vccnz .LBB29_229
; %bb.228:
	buffer_load_dword v67, v63, s[0:3], 0 offen
	ds_read_b32 v68, v62
	s_waitcnt vmcnt(0) lgkmcnt(0)
	v_mul_f32_e32 v67, v67, v68
	s_cbranch_execz .LBB29_230
	s_branch .LBB29_231
.LBB29_229:
                                        ; implicit-def: $vgpr67
.LBB29_230:
	ds_read_b32 v67, v62
.LBB29_231:
	s_and_saveexec_b64 s[12:13], s[4:5]
	s_cbranch_execz .LBB29_235
; %bb.232:
	v_add_u32_e32 v68, -6, v0
	s_movk_i32 s14, 0x98
	s_mov_b64 s[4:5], 0
.LBB29_233:                             ; =>This Inner Loop Header: Depth=1
	buffer_load_dword v69, v66, s[0:3], 0 offen
	v_mov_b32_e32 v70, s14
	ds_read_b32 v70, v70
	v_add_u32_e32 v68, -1, v68
	s_add_i32 s14, s14, 4
	v_cmp_eq_u32_e32 vcc, 0, v68
	v_add_u32_e32 v66, 4, v66
	s_or_b64 s[4:5], vcc, s[4:5]
	s_waitcnt vmcnt(0) lgkmcnt(0)
	v_fmac_f32_e32 v67, v69, v70
	s_andn2_b64 exec, exec, s[4:5]
	s_cbranch_execnz .LBB29_233
; %bb.234:
	s_or_b64 exec, exec, s[4:5]
.LBB29_235:
	s_or_b64 exec, exec, s[12:13]
	v_mov_b32_e32 v66, 0
	ds_read_b32 v66, v66 offset:20
	s_waitcnt lgkmcnt(0)
	v_mul_f32_e32 v66, v67, v66
	buffer_store_dword v66, off, s[0:3], 0 offset:20
.LBB29_236:
	s_or_b64 exec, exec, s[10:11]
	buffer_load_dword v66, off, s[0:3], 0 offset:16
	v_cmp_lt_u32_e64 s[4:5], 4, v0
	s_waitcnt vmcnt(0)
	ds_write_b32 v62, v66
	s_waitcnt lgkmcnt(0)
	; wave barrier
	s_waitcnt lgkmcnt(0)
	s_and_saveexec_b64 s[10:11], s[4:5]
	s_cbranch_execz .LBB29_246
; %bb.237:
	s_andn2_b64 vcc, exec, s[8:9]
	s_cbranch_vccnz .LBB29_239
; %bb.238:
	buffer_load_dword v66, v63, s[0:3], 0 offen
	ds_read_b32 v67, v62
	s_waitcnt vmcnt(0) lgkmcnt(0)
	v_mul_f32_e32 v66, v66, v67
	s_cbranch_execz .LBB29_240
	s_branch .LBB29_241
.LBB29_239:
                                        ; implicit-def: $vgpr66
.LBB29_240:
	ds_read_b32 v66, v62
.LBB29_241:
	s_and_saveexec_b64 s[12:13], s[6:7]
	s_cbranch_execz .LBB29_245
; %bb.242:
	v_mov_b32_e32 v67, 0
	v_add_u32_e32 v67, 20, v67
	v_add_u32_e32 v68, -5, v0
	s_movk_i32 s14, 0x94
	s_mov_b64 s[6:7], 0
.LBB29_243:                             ; =>This Inner Loop Header: Depth=1
	buffer_load_dword v69, v67, s[0:3], 0 offen
	v_mov_b32_e32 v70, s14
	ds_read_b32 v70, v70
	v_add_u32_e32 v68, -1, v68
	s_add_i32 s14, s14, 4
	v_cmp_eq_u32_e32 vcc, 0, v68
	v_add_u32_e32 v67, 4, v67
	s_or_b64 s[6:7], vcc, s[6:7]
	s_waitcnt vmcnt(0) lgkmcnt(0)
	v_fmac_f32_e32 v66, v69, v70
	s_andn2_b64 exec, exec, s[6:7]
	s_cbranch_execnz .LBB29_243
; %bb.244:
	s_or_b64 exec, exec, s[6:7]
.LBB29_245:
	s_or_b64 exec, exec, s[12:13]
	v_mov_b32_e32 v67, 0
	ds_read_b32 v67, v67 offset:16
	s_waitcnt lgkmcnt(0)
	v_mul_f32_e32 v66, v66, v67
	buffer_store_dword v66, off, s[0:3], 0 offset:16
.LBB29_246:
	s_or_b64 exec, exec, s[10:11]
	buffer_load_dword v66, off, s[0:3], 0 offset:12
	v_cmp_lt_u32_e64 s[6:7], 3, v0
	s_waitcnt vmcnt(0)
	ds_write_b32 v62, v66
	s_waitcnt lgkmcnt(0)
	; wave barrier
	s_waitcnt lgkmcnt(0)
	s_and_saveexec_b64 s[10:11], s[6:7]
	s_cbranch_execz .LBB29_256
; %bb.247:
	s_andn2_b64 vcc, exec, s[8:9]
	s_cbranch_vccnz .LBB29_249
; %bb.248:
	buffer_load_dword v66, v63, s[0:3], 0 offen
	ds_read_b32 v67, v62
	s_waitcnt vmcnt(0) lgkmcnt(0)
	v_mul_f32_e32 v66, v66, v67
	s_cbranch_execz .LBB29_250
	s_branch .LBB29_251
.LBB29_249:
                                        ; implicit-def: $vgpr66
.LBB29_250:
	ds_read_b32 v66, v62
.LBB29_251:
	s_and_saveexec_b64 s[12:13], s[4:5]
	s_cbranch_execz .LBB29_255
; %bb.252:
	v_add_u32_e32 v67, -4, v0
	s_movk_i32 s14, 0x90
	s_mov_b64 s[4:5], 0
.LBB29_253:                             ; =>This Inner Loop Header: Depth=1
	buffer_load_dword v68, v65, s[0:3], 0 offen
	v_mov_b32_e32 v69, s14
	ds_read_b32 v69, v69
	v_add_u32_e32 v67, -1, v67
	s_add_i32 s14, s14, 4
	v_cmp_eq_u32_e32 vcc, 0, v67
	v_add_u32_e32 v65, 4, v65
	s_or_b64 s[4:5], vcc, s[4:5]
	s_waitcnt vmcnt(0) lgkmcnt(0)
	v_fmac_f32_e32 v66, v68, v69
	s_andn2_b64 exec, exec, s[4:5]
	s_cbranch_execnz .LBB29_253
; %bb.254:
	s_or_b64 exec, exec, s[4:5]
.LBB29_255:
	s_or_b64 exec, exec, s[12:13]
	v_mov_b32_e32 v65, 0
	ds_read_b32 v65, v65 offset:12
	s_waitcnt lgkmcnt(0)
	v_mul_f32_e32 v65, v66, v65
	buffer_store_dword v65, off, s[0:3], 0 offset:12
.LBB29_256:
	s_or_b64 exec, exec, s[10:11]
	buffer_load_dword v65, off, s[0:3], 0 offset:8
	v_cmp_lt_u32_e64 s[4:5], 2, v0
	s_waitcnt vmcnt(0)
	ds_write_b32 v62, v65
	s_waitcnt lgkmcnt(0)
	; wave barrier
	s_waitcnt lgkmcnt(0)
	s_and_saveexec_b64 s[10:11], s[4:5]
	s_cbranch_execz .LBB29_266
; %bb.257:
	s_andn2_b64 vcc, exec, s[8:9]
	s_cbranch_vccnz .LBB29_259
; %bb.258:
	buffer_load_dword v65, v63, s[0:3], 0 offen
	ds_read_b32 v66, v62
	s_waitcnt vmcnt(0) lgkmcnt(0)
	v_mul_f32_e32 v65, v65, v66
	s_cbranch_execz .LBB29_260
	s_branch .LBB29_261
.LBB29_259:
                                        ; implicit-def: $vgpr65
.LBB29_260:
	ds_read_b32 v65, v62
.LBB29_261:
	s_and_saveexec_b64 s[12:13], s[6:7]
	s_cbranch_execz .LBB29_265
; %bb.262:
	v_mov_b32_e32 v66, 0
	v_or_b32_e32 v66, 12, v66
	v_add_u32_e32 v67, -3, v0
	s_movk_i32 s14, 0x8c
	s_mov_b64 s[6:7], 0
.LBB29_263:                             ; =>This Inner Loop Header: Depth=1
	buffer_load_dword v68, v66, s[0:3], 0 offen
	v_mov_b32_e32 v69, s14
	ds_read_b32 v69, v69
	v_add_u32_e32 v67, -1, v67
	s_add_i32 s14, s14, 4
	v_cmp_eq_u32_e32 vcc, 0, v67
	v_add_u32_e32 v66, 4, v66
	s_or_b64 s[6:7], vcc, s[6:7]
	s_waitcnt vmcnt(0) lgkmcnt(0)
	v_fmac_f32_e32 v65, v68, v69
	s_andn2_b64 exec, exec, s[6:7]
	s_cbranch_execnz .LBB29_263
; %bb.264:
	s_or_b64 exec, exec, s[6:7]
.LBB29_265:
	s_or_b64 exec, exec, s[12:13]
	v_mov_b32_e32 v66, 0
	ds_read_b32 v66, v66 offset:8
	s_waitcnt lgkmcnt(0)
	v_mul_f32_e32 v65, v65, v66
	buffer_store_dword v65, off, s[0:3], 0 offset:8
.LBB29_266:
	s_or_b64 exec, exec, s[10:11]
	buffer_load_dword v65, off, s[0:3], 0 offset:4
	v_cmp_lt_u32_e64 s[6:7], 1, v0
	s_waitcnt vmcnt(0)
	ds_write_b32 v62, v65
	s_waitcnt lgkmcnt(0)
	; wave barrier
	s_waitcnt lgkmcnt(0)
	s_and_saveexec_b64 s[10:11], s[6:7]
	s_cbranch_execz .LBB29_276
; %bb.267:
	s_andn2_b64 vcc, exec, s[8:9]
	s_cbranch_vccnz .LBB29_269
; %bb.268:
	buffer_load_dword v65, v63, s[0:3], 0 offen
	ds_read_b32 v66, v62
	s_waitcnt vmcnt(0) lgkmcnt(0)
	v_mul_f32_e32 v65, v65, v66
	s_cbranch_execz .LBB29_270
	s_branch .LBB29_271
.LBB29_269:
                                        ; implicit-def: $vgpr65
.LBB29_270:
	ds_read_b32 v65, v62
.LBB29_271:
	s_and_saveexec_b64 s[12:13], s[4:5]
	s_cbranch_execz .LBB29_275
; %bb.272:
	v_add_u32_e32 v66, -2, v0
	s_movk_i32 s14, 0x88
	s_mov_b64 s[4:5], 0
.LBB29_273:                             ; =>This Inner Loop Header: Depth=1
	buffer_load_dword v67, v64, s[0:3], 0 offen
	v_mov_b32_e32 v68, s14
	ds_read_b32 v68, v68
	v_add_u32_e32 v66, -1, v66
	s_add_i32 s14, s14, 4
	v_cmp_eq_u32_e32 vcc, 0, v66
	v_add_u32_e32 v64, 4, v64
	s_or_b64 s[4:5], vcc, s[4:5]
	s_waitcnt vmcnt(0) lgkmcnt(0)
	v_fmac_f32_e32 v65, v67, v68
	s_andn2_b64 exec, exec, s[4:5]
	s_cbranch_execnz .LBB29_273
; %bb.274:
	s_or_b64 exec, exec, s[4:5]
.LBB29_275:
	s_or_b64 exec, exec, s[12:13]
	v_mov_b32_e32 v64, 0
	ds_read_b32 v64, v64 offset:4
	s_waitcnt lgkmcnt(0)
	v_mul_f32_e32 v64, v65, v64
	buffer_store_dword v64, off, s[0:3], 0 offset:4
.LBB29_276:
	s_or_b64 exec, exec, s[10:11]
	buffer_load_dword v64, off, s[0:3], 0
	v_cmp_ne_u32_e32 vcc, 0, v0
	s_waitcnt vmcnt(0)
	ds_write_b32 v62, v64
	s_waitcnt lgkmcnt(0)
	; wave barrier
	s_waitcnt lgkmcnt(0)
	s_and_saveexec_b64 s[4:5], vcc
	s_cbranch_execz .LBB29_286
; %bb.277:
	s_andn2_b64 vcc, exec, s[8:9]
	s_cbranch_vccnz .LBB29_279
; %bb.278:
	buffer_load_dword v64, v63, s[0:3], 0 offen
	ds_read_b32 v65, v62
	s_waitcnt vmcnt(0) lgkmcnt(0)
	v_mul_f32_e32 v64, v64, v65
	s_cbranch_execz .LBB29_280
	s_branch .LBB29_281
.LBB29_279:
                                        ; implicit-def: $vgpr64
.LBB29_280:
	ds_read_b32 v64, v62
.LBB29_281:
	s_and_saveexec_b64 s[10:11], s[6:7]
	s_cbranch_execz .LBB29_285
; %bb.282:
	v_mov_b32_e32 v65, 0
	v_or_b32_e32 v65, 4, v65
	v_add_u32_e32 v66, -1, v0
	s_movk_i32 s12, 0x84
	s_mov_b64 s[6:7], 0
.LBB29_283:                             ; =>This Inner Loop Header: Depth=1
	buffer_load_dword v67, v65, s[0:3], 0 offen
	v_mov_b32_e32 v68, s12
	ds_read_b32 v68, v68
	v_add_u32_e32 v66, -1, v66
	s_add_i32 s12, s12, 4
	v_cmp_eq_u32_e32 vcc, 0, v66
	v_add_u32_e32 v65, 4, v65
	s_or_b64 s[6:7], vcc, s[6:7]
	s_waitcnt vmcnt(0) lgkmcnt(0)
	v_fmac_f32_e32 v64, v67, v68
	s_andn2_b64 exec, exec, s[6:7]
	s_cbranch_execnz .LBB29_283
; %bb.284:
	s_or_b64 exec, exec, s[6:7]
.LBB29_285:
	s_or_b64 exec, exec, s[10:11]
	v_mov_b32_e32 v65, 0
	ds_read_b32 v65, v65
	s_waitcnt lgkmcnt(0)
	v_mul_f32_e32 v64, v64, v65
	buffer_store_dword v64, off, s[0:3], 0
.LBB29_286:
	s_or_b64 exec, exec, s[4:5]
	s_mov_b64 s[4:5], 0
.LBB29_287:
	s_and_b64 vcc, exec, s[4:5]
	s_cbranch_vccz .LBB29_571
; %bb.288:
	buffer_load_dword v64, off, s[0:3], 0 offset:4
	v_cmp_eq_u32_e64 s[6:7], 0, v0
	s_waitcnt vmcnt(0)
	ds_write_b32 v62, v64
	s_waitcnt lgkmcnt(0)
	; wave barrier
	s_waitcnt lgkmcnt(0)
	s_and_saveexec_b64 s[4:5], s[6:7]
	s_cbranch_execz .LBB29_294
; %bb.289:
	s_and_b64 vcc, exec, s[8:9]
	s_cbranch_vccz .LBB29_291
; %bb.290:
	buffer_load_dword v64, v63, s[0:3], 0 offen
	ds_read_b32 v65, v62
	s_waitcnt vmcnt(0) lgkmcnt(0)
	v_mul_f32_e32 v64, v64, v65
	s_cbranch_execz .LBB29_292
	s_branch .LBB29_293
.LBB29_291:
                                        ; implicit-def: $vgpr64
.LBB29_292:
	ds_read_b32 v64, v62
.LBB29_293:
	v_mov_b32_e32 v65, 0
	ds_read_b32 v65, v65 offset:4
	s_waitcnt lgkmcnt(0)
	v_mul_f32_e32 v64, v64, v65
	buffer_store_dword v64, off, s[0:3], 0 offset:4
.LBB29_294:
	s_or_b64 exec, exec, s[4:5]
	buffer_load_dword v64, off, s[0:3], 0 offset:8
	v_cndmask_b32_e64 v65, 0, 1, s[8:9]
	v_cmp_gt_u32_e32 vcc, 2, v0
	v_cmp_ne_u32_e64 s[4:5], 1, v65
	s_waitcnt vmcnt(0)
	ds_write_b32 v62, v64
	s_waitcnt lgkmcnt(0)
	; wave barrier
	s_waitcnt lgkmcnt(0)
	s_and_saveexec_b64 s[8:9], vcc
	s_cbranch_execz .LBB29_302
; %bb.295:
	s_and_b64 vcc, exec, s[4:5]
	s_cbranch_vccnz .LBB29_297
; %bb.296:
	buffer_load_dword v64, v63, s[0:3], 0 offen
	ds_read_b32 v65, v62
	s_waitcnt vmcnt(0) lgkmcnt(0)
	v_mul_f32_e32 v64, v64, v65
	s_cbranch_execz .LBB29_298
	s_branch .LBB29_299
.LBB29_297:
                                        ; implicit-def: $vgpr64
.LBB29_298:
	ds_read_b32 v64, v62
.LBB29_299:
	s_and_saveexec_b64 s[10:11], s[6:7]
	s_cbranch_execz .LBB29_301
; %bb.300:
	buffer_load_dword v65, v63, s[0:3], 0 offen offset:4
	ds_read_b32 v66, v62 offset:4
	s_waitcnt vmcnt(0) lgkmcnt(0)
	v_fmac_f32_e32 v64, v65, v66
.LBB29_301:
	s_or_b64 exec, exec, s[10:11]
	v_mov_b32_e32 v65, 0
	ds_read_b32 v65, v65 offset:8
	s_waitcnt lgkmcnt(0)
	v_mul_f32_e32 v64, v64, v65
	buffer_store_dword v64, off, s[0:3], 0 offset:8
.LBB29_302:
	s_or_b64 exec, exec, s[8:9]
	buffer_load_dword v64, off, s[0:3], 0 offset:12
	v_cmp_gt_u32_e32 vcc, 3, v0
	s_waitcnt vmcnt(0)
	ds_write_b32 v62, v64
	s_waitcnt lgkmcnt(0)
	; wave barrier
	s_waitcnt lgkmcnt(0)
	s_and_saveexec_b64 s[8:9], vcc
	s_cbranch_execz .LBB29_310
; %bb.303:
	s_and_b64 vcc, exec, s[4:5]
	s_cbranch_vccnz .LBB29_305
; %bb.304:
	buffer_load_dword v64, v63, s[0:3], 0 offen
	ds_read_b32 v65, v62
	s_waitcnt vmcnt(0) lgkmcnt(0)
	v_mul_f32_e32 v64, v64, v65
	s_cbranch_execz .LBB29_306
	s_branch .LBB29_307
.LBB29_305:
                                        ; implicit-def: $vgpr64
.LBB29_306:
	ds_read_b32 v64, v62
.LBB29_307:
	v_cmp_ne_u32_e32 vcc, 2, v0
	s_and_saveexec_b64 s[10:11], vcc
	s_cbranch_execz .LBB29_309
; %bb.308:
	buffer_load_dword v65, v63, s[0:3], 0 offen offset:4
	buffer_load_dword v66, off, s[0:3], 0 offset:8
	v_mov_b32_e32 v67, 0
	ds_read_b32 v68, v62 offset:4
	ds_read_b32 v67, v67 offset:136
	s_waitcnt vmcnt(1) lgkmcnt(1)
	v_fmac_f32_e32 v64, v65, v68
	s_waitcnt vmcnt(0) lgkmcnt(0)
	v_fma_f32 v65, v66, v67, v64
	v_cndmask_b32_e64 v64, v64, v65, s[6:7]
.LBB29_309:
	s_or_b64 exec, exec, s[10:11]
	v_mov_b32_e32 v65, 0
	ds_read_b32 v65, v65 offset:12
	s_waitcnt lgkmcnt(0)
	v_mul_f32_e32 v64, v64, v65
	buffer_store_dword v64, off, s[0:3], 0 offset:12
.LBB29_310:
	s_or_b64 exec, exec, s[8:9]
	buffer_load_dword v64, off, s[0:3], 0 offset:16
	v_cmp_gt_u32_e32 vcc, 4, v0
	s_waitcnt vmcnt(0)
	ds_write_b32 v62, v64
	s_waitcnt lgkmcnt(0)
	; wave barrier
	s_waitcnt lgkmcnt(0)
	s_and_saveexec_b64 s[6:7], vcc
	s_cbranch_execz .LBB29_320
; %bb.311:
	s_and_b64 vcc, exec, s[4:5]
	s_cbranch_vccnz .LBB29_313
; %bb.312:
	buffer_load_dword v64, v63, s[0:3], 0 offen
	ds_read_b32 v65, v62
	s_waitcnt vmcnt(0) lgkmcnt(0)
	v_mul_f32_e32 v64, v64, v65
	s_cbranch_execz .LBB29_314
	s_branch .LBB29_315
.LBB29_313:
                                        ; implicit-def: $vgpr64
.LBB29_314:
	ds_read_b32 v64, v62
.LBB29_315:
	v_cmp_ne_u32_e32 vcc, 3, v0
	s_and_saveexec_b64 s[8:9], vcc
	s_cbranch_execz .LBB29_319
; %bb.316:
	v_mov_b32_e32 v66, 0
	v_add_u32_e32 v65, 0x84, v1
	v_add3_u32 v66, v1, v66, 4
	s_mov_b64 s[10:11], 0
	v_mov_b32_e32 v67, v0
.LBB29_317:                             ; =>This Inner Loop Header: Depth=1
	buffer_load_dword v68, v66, s[0:3], 0 offen
	ds_read_b32 v69, v65
	v_add_u32_e32 v67, 1, v67
	v_cmp_lt_u32_e32 vcc, 2, v67
	v_add_u32_e32 v65, 4, v65
	v_add_u32_e32 v66, 4, v66
	s_or_b64 s[10:11], vcc, s[10:11]
	s_waitcnt vmcnt(0) lgkmcnt(0)
	v_fmac_f32_e32 v64, v68, v69
	s_andn2_b64 exec, exec, s[10:11]
	s_cbranch_execnz .LBB29_317
; %bb.318:
	s_or_b64 exec, exec, s[10:11]
.LBB29_319:
	s_or_b64 exec, exec, s[8:9]
	v_mov_b32_e32 v65, 0
	ds_read_b32 v65, v65 offset:16
	s_waitcnt lgkmcnt(0)
	v_mul_f32_e32 v64, v64, v65
	buffer_store_dword v64, off, s[0:3], 0 offset:16
.LBB29_320:
	s_or_b64 exec, exec, s[6:7]
	buffer_load_dword v64, off, s[0:3], 0 offset:20
	v_cmp_gt_u32_e32 vcc, 5, v0
	s_waitcnt vmcnt(0)
	ds_write_b32 v62, v64
	s_waitcnt lgkmcnt(0)
	; wave barrier
	s_waitcnt lgkmcnt(0)
	s_and_saveexec_b64 s[6:7], vcc
	s_cbranch_execz .LBB29_330
; %bb.321:
	s_and_b64 vcc, exec, s[4:5]
	s_cbranch_vccnz .LBB29_323
; %bb.322:
	buffer_load_dword v64, v63, s[0:3], 0 offen
	ds_read_b32 v65, v62
	s_waitcnt vmcnt(0) lgkmcnt(0)
	v_mul_f32_e32 v64, v64, v65
	s_cbranch_execz .LBB29_324
	s_branch .LBB29_325
.LBB29_323:
                                        ; implicit-def: $vgpr64
.LBB29_324:
	ds_read_b32 v64, v62
.LBB29_325:
	v_cmp_ne_u32_e32 vcc, 4, v0
	s_and_saveexec_b64 s[8:9], vcc
	s_cbranch_execz .LBB29_329
; %bb.326:
	v_mov_b32_e32 v66, 0
	v_add_u32_e32 v65, 0x84, v1
	v_add3_u32 v66, v1, v66, 4
	s_mov_b64 s[10:11], 0
	v_mov_b32_e32 v67, v0
.LBB29_327:                             ; =>This Inner Loop Header: Depth=1
	buffer_load_dword v68, v66, s[0:3], 0 offen
	ds_read_b32 v69, v65
	v_add_u32_e32 v67, 1, v67
	v_cmp_lt_u32_e32 vcc, 3, v67
	v_add_u32_e32 v65, 4, v65
	v_add_u32_e32 v66, 4, v66
	s_or_b64 s[10:11], vcc, s[10:11]
	s_waitcnt vmcnt(0) lgkmcnt(0)
	v_fmac_f32_e32 v64, v68, v69
	s_andn2_b64 exec, exec, s[10:11]
	s_cbranch_execnz .LBB29_327
; %bb.328:
	s_or_b64 exec, exec, s[10:11]
.LBB29_329:
	s_or_b64 exec, exec, s[8:9]
	v_mov_b32_e32 v65, 0
	ds_read_b32 v65, v65 offset:20
	s_waitcnt lgkmcnt(0)
	v_mul_f32_e32 v64, v64, v65
	buffer_store_dword v64, off, s[0:3], 0 offset:20
.LBB29_330:
	;; [unrolled: 56-line block ×24, first 2 shown]
	s_or_b64 exec, exec, s[6:7]
	buffer_load_dword v64, off, s[0:3], 0 offset:112
	v_cmp_gt_u32_e64 s[6:7], 28, v0
	s_waitcnt vmcnt(0)
	ds_write_b32 v62, v64
	s_waitcnt lgkmcnt(0)
	; wave barrier
	s_waitcnt lgkmcnt(0)
	s_and_saveexec_b64 s[8:9], s[6:7]
	s_cbranch_execz .LBB29_560
; %bb.551:
	s_and_b64 vcc, exec, s[4:5]
	s_cbranch_vccnz .LBB29_553
; %bb.552:
	buffer_load_dword v64, v63, s[0:3], 0 offen
	ds_read_b32 v65, v62
	s_waitcnt vmcnt(0) lgkmcnt(0)
	v_mul_f32_e32 v64, v64, v65
	s_cbranch_execz .LBB29_554
	s_branch .LBB29_555
.LBB29_553:
                                        ; implicit-def: $vgpr64
.LBB29_554:
	ds_read_b32 v64, v62
.LBB29_555:
	v_cmp_ne_u32_e32 vcc, 27, v0
	s_and_saveexec_b64 s[10:11], vcc
	s_cbranch_execz .LBB29_559
; %bb.556:
	v_mov_b32_e32 v66, 0
	v_add_u32_e32 v65, 0x84, v1
	v_add3_u32 v66, v1, v66, 4
	s_mov_b64 s[12:13], 0
	v_mov_b32_e32 v67, v0
.LBB29_557:                             ; =>This Inner Loop Header: Depth=1
	buffer_load_dword v68, v66, s[0:3], 0 offen
	ds_read_b32 v69, v65
	v_add_u32_e32 v67, 1, v67
	v_cmp_lt_u32_e32 vcc, 26, v67
	v_add_u32_e32 v65, 4, v65
	v_add_u32_e32 v66, 4, v66
	s_or_b64 s[12:13], vcc, s[12:13]
	s_waitcnt vmcnt(0) lgkmcnt(0)
	v_fmac_f32_e32 v64, v68, v69
	s_andn2_b64 exec, exec, s[12:13]
	s_cbranch_execnz .LBB29_557
; %bb.558:
	s_or_b64 exec, exec, s[12:13]
.LBB29_559:
	s_or_b64 exec, exec, s[10:11]
	v_mov_b32_e32 v65, 0
	ds_read_b32 v65, v65 offset:112
	s_waitcnt lgkmcnt(0)
	v_mul_f32_e32 v64, v64, v65
	buffer_store_dword v64, off, s[0:3], 0 offset:112
.LBB29_560:
	s_or_b64 exec, exec, s[8:9]
	buffer_load_dword v64, off, s[0:3], 0 offset:116
	v_cmp_ne_u32_e32 vcc, 29, v0
	s_waitcnt vmcnt(0)
	ds_write_b32 v62, v64
	s_waitcnt lgkmcnt(0)
	; wave barrier
	s_waitcnt lgkmcnt(0)
	s_and_saveexec_b64 s[8:9], vcc
	s_cbranch_execz .LBB29_570
; %bb.561:
	s_and_b64 vcc, exec, s[4:5]
	s_cbranch_vccnz .LBB29_563
; %bb.562:
	buffer_load_dword v63, v63, s[0:3], 0 offen
	ds_read_b32 v64, v62
	s_waitcnt vmcnt(0) lgkmcnt(0)
	v_mul_f32_e32 v63, v63, v64
	s_cbranch_execz .LBB29_564
	s_branch .LBB29_565
.LBB29_563:
                                        ; implicit-def: $vgpr63
.LBB29_564:
	ds_read_b32 v63, v62
.LBB29_565:
	s_and_saveexec_b64 s[4:5], s[6:7]
	s_cbranch_execz .LBB29_569
; %bb.566:
	v_mov_b32_e32 v64, 0
	v_add_u32_e32 v62, 0x84, v1
	v_add3_u32 v1, v1, v64, 4
	s_mov_b64 s[6:7], 0
.LBB29_567:                             ; =>This Inner Loop Header: Depth=1
	buffer_load_dword v64, v1, s[0:3], 0 offen
	ds_read_b32 v65, v62
	v_add_u32_e32 v0, 1, v0
	v_cmp_lt_u32_e32 vcc, 27, v0
	v_add_u32_e32 v62, 4, v62
	v_add_u32_e32 v1, 4, v1
	s_or_b64 s[6:7], vcc, s[6:7]
	s_waitcnt vmcnt(0) lgkmcnt(0)
	v_fmac_f32_e32 v63, v64, v65
	s_andn2_b64 exec, exec, s[6:7]
	s_cbranch_execnz .LBB29_567
; %bb.568:
	s_or_b64 exec, exec, s[6:7]
.LBB29_569:
	s_or_b64 exec, exec, s[4:5]
	v_mov_b32_e32 v0, 0
	ds_read_b32 v0, v0 offset:116
	s_waitcnt lgkmcnt(0)
	v_mul_f32_e32 v0, v63, v0
	buffer_store_dword v0, off, s[0:3], 0 offset:116
.LBB29_570:
	s_or_b64 exec, exec, s[8:9]
.LBB29_571:
	buffer_load_dword v0, off, s[0:3], 0
	buffer_load_dword v1, off, s[0:3], 0 offset:4
	buffer_load_dword v62, off, s[0:3], 0 offset:8
	;; [unrolled: 1-line block ×29, first 2 shown]
	s_waitcnt vmcnt(29)
	global_store_dword v[56:57], v0, off
	s_waitcnt vmcnt(29)
	global_store_dword v[58:59], v1, off
	;; [unrolled: 2-line block ×30, first 2 shown]
.LBB29_572:
	s_endpgm
	.section	.rodata,"a",@progbits
	.p2align	6, 0x0
	.amdhsa_kernel _ZN9rocsolver6v33100L18trti2_kernel_smallILi30EfPfEEv13rocblas_fill_17rocblas_diagonal_T1_iil
		.amdhsa_group_segment_fixed_size 248
		.amdhsa_private_segment_fixed_size 128
		.amdhsa_kernarg_size 32
		.amdhsa_user_sgpr_count 8
		.amdhsa_user_sgpr_private_segment_buffer 1
		.amdhsa_user_sgpr_dispatch_ptr 0
		.amdhsa_user_sgpr_queue_ptr 0
		.amdhsa_user_sgpr_kernarg_segment_ptr 1
		.amdhsa_user_sgpr_dispatch_id 0
		.amdhsa_user_sgpr_flat_scratch_init 1
		.amdhsa_user_sgpr_kernarg_preload_length 0
		.amdhsa_user_sgpr_kernarg_preload_offset 0
		.amdhsa_user_sgpr_private_segment_size 0
		.amdhsa_uses_dynamic_stack 0
		.amdhsa_system_sgpr_private_segment_wavefront_offset 1
		.amdhsa_system_sgpr_workgroup_id_x 1
		.amdhsa_system_sgpr_workgroup_id_y 0
		.amdhsa_system_sgpr_workgroup_id_z 0
		.amdhsa_system_sgpr_workgroup_info 0
		.amdhsa_system_vgpr_workitem_id 0
		.amdhsa_next_free_vgpr 92
		.amdhsa_next_free_sgpr 20
		.amdhsa_accum_offset 92
		.amdhsa_reserve_vcc 1
		.amdhsa_reserve_flat_scratch 0
		.amdhsa_float_round_mode_32 0
		.amdhsa_float_round_mode_16_64 0
		.amdhsa_float_denorm_mode_32 3
		.amdhsa_float_denorm_mode_16_64 3
		.amdhsa_dx10_clamp 1
		.amdhsa_ieee_mode 1
		.amdhsa_fp16_overflow 0
		.amdhsa_tg_split 0
		.amdhsa_exception_fp_ieee_invalid_op 0
		.amdhsa_exception_fp_denorm_src 0
		.amdhsa_exception_fp_ieee_div_zero 0
		.amdhsa_exception_fp_ieee_overflow 0
		.amdhsa_exception_fp_ieee_underflow 0
		.amdhsa_exception_fp_ieee_inexact 0
		.amdhsa_exception_int_div_zero 0
	.end_amdhsa_kernel
	.section	.text._ZN9rocsolver6v33100L18trti2_kernel_smallILi30EfPfEEv13rocblas_fill_17rocblas_diagonal_T1_iil,"axG",@progbits,_ZN9rocsolver6v33100L18trti2_kernel_smallILi30EfPfEEv13rocblas_fill_17rocblas_diagonal_T1_iil,comdat
.Lfunc_end29:
	.size	_ZN9rocsolver6v33100L18trti2_kernel_smallILi30EfPfEEv13rocblas_fill_17rocblas_diagonal_T1_iil, .Lfunc_end29-_ZN9rocsolver6v33100L18trti2_kernel_smallILi30EfPfEEv13rocblas_fill_17rocblas_diagonal_T1_iil
                                        ; -- End function
	.section	.AMDGPU.csdata,"",@progbits
; Kernel info:
; codeLenInByte = 14444
; NumSgprs: 24
; NumVgprs: 92
; NumAgprs: 0
; TotalNumVgprs: 92
; ScratchSize: 128
; MemoryBound: 0
; FloatMode: 240
; IeeeMode: 1
; LDSByteSize: 248 bytes/workgroup (compile time only)
; SGPRBlocks: 2
; VGPRBlocks: 11
; NumSGPRsForWavesPerEU: 24
; NumVGPRsForWavesPerEU: 92
; AccumOffset: 92
; Occupancy: 5
; WaveLimiterHint : 0
; COMPUTE_PGM_RSRC2:SCRATCH_EN: 1
; COMPUTE_PGM_RSRC2:USER_SGPR: 8
; COMPUTE_PGM_RSRC2:TRAP_HANDLER: 0
; COMPUTE_PGM_RSRC2:TGID_X_EN: 1
; COMPUTE_PGM_RSRC2:TGID_Y_EN: 0
; COMPUTE_PGM_RSRC2:TGID_Z_EN: 0
; COMPUTE_PGM_RSRC2:TIDIG_COMP_CNT: 0
; COMPUTE_PGM_RSRC3_GFX90A:ACCUM_OFFSET: 22
; COMPUTE_PGM_RSRC3_GFX90A:TG_SPLIT: 0
	.section	.text._ZN9rocsolver6v33100L18trti2_kernel_smallILi31EfPfEEv13rocblas_fill_17rocblas_diagonal_T1_iil,"axG",@progbits,_ZN9rocsolver6v33100L18trti2_kernel_smallILi31EfPfEEv13rocblas_fill_17rocblas_diagonal_T1_iil,comdat
	.globl	_ZN9rocsolver6v33100L18trti2_kernel_smallILi31EfPfEEv13rocblas_fill_17rocblas_diagonal_T1_iil ; -- Begin function _ZN9rocsolver6v33100L18trti2_kernel_smallILi31EfPfEEv13rocblas_fill_17rocblas_diagonal_T1_iil
	.p2align	8
	.type	_ZN9rocsolver6v33100L18trti2_kernel_smallILi31EfPfEEv13rocblas_fill_17rocblas_diagonal_T1_iil,@function
_ZN9rocsolver6v33100L18trti2_kernel_smallILi31EfPfEEv13rocblas_fill_17rocblas_diagonal_T1_iil: ; @_ZN9rocsolver6v33100L18trti2_kernel_smallILi31EfPfEEv13rocblas_fill_17rocblas_diagonal_T1_iil
; %bb.0:
	s_add_u32 s0, s0, s9
	s_addc_u32 s1, s1, 0
	v_cmp_gt_u32_e32 vcc, 31, v0
	s_and_saveexec_b64 s[6:7], vcc
	s_cbranch_execz .LBB30_592
; %bb.1:
	s_load_dwordx8 s[12:19], s[4:5], 0x0
	s_ashr_i32 s6, s8, 31
	v_lshlrev_b32_e32 v1, 2, v0
	v_mov_b32_e32 v79, 0
	s_waitcnt lgkmcnt(0)
	s_mul_i32 s7, s8, s19
	s_mul_hi_u32 s9, s8, s18
	s_add_i32 s7, s9, s7
	s_mul_i32 s6, s6, s18
	s_add_i32 s7, s7, s6
	s_mul_i32 s6, s8, s18
	s_ashr_i32 s5, s16, 31
	s_lshl_b64 s[6:7], s[6:7], 2
	s_mov_b32 s4, s16
	s_add_u32 s6, s14, s6
	s_addc_u32 s7, s15, s7
	s_lshl_b64 s[4:5], s[4:5], 2
	s_add_u32 s4, s6, s4
	s_addc_u32 s5, s7, s5
	global_load_dword v14, v1, s[4:5]
	s_mov_b32 s6, s17
	s_ashr_i32 s7, s17, 31
	v_mov_b32_e32 v2, s5
	v_add_co_u32_e32 v8, vcc, s4, v1
	s_lshl_b64 s[6:7], s[6:7], 2
	v_addc_co_u32_e32 v9, vcc, 0, v2, vcc
	v_mov_b32_e32 v3, s7
	v_add_co_u32_e32 v2, vcc, s6, v8
	v_addc_co_u32_e32 v3, vcc, v9, v3, vcc
	global_load_dword v25, v[2:3], off
	s_add_i32 s8, s17, s17
	v_add_u32_e32 v4, s8, v0
	v_add_u32_e32 v6, s17, v4
	;; [unrolled: 1-line block ×22, first 2 shown]
	v_ashrrev_i32_e32 v5, 31, v4
	v_add_u32_e32 v54, s17, v52
	v_lshlrev_b64 v[4:5], 2, v[4:5]
	v_add_u32_e32 v56, s17, v54
	v_mov_b32_e32 v11, s5
	v_ashrrev_i32_e32 v7, 31, v6
	v_add_co_u32_e32 v4, vcc, s4, v4
	v_add_u32_e32 v58, s17, v56
	v_addc_co_u32_e32 v5, vcc, v11, v5, vcc
	v_lshlrev_b64 v[6:7], 2, v[6:7]
	v_add_u32_e32 v60, s17, v58
	v_mov_b32_e32 v13, s5
	v_add_co_u32_e32 v6, vcc, s4, v6
	v_add_u32_e32 v62, s17, v60
	v_ashrrev_i32_e32 v11, 31, v10
	v_addc_co_u32_e32 v7, vcc, v13, v7, vcc
	v_ashrrev_i32_e32 v13, 31, v12
	v_add_u32_e32 v64, s17, v62
	v_lshlrev_b64 v[10:11], 2, v[10:11]
	v_lshlrev_b64 v[18:19], 2, v[12:13]
	v_add_u32_e32 v12, s17, v64
	v_mov_b32_e32 v15, s5
	v_add_co_u32_e32 v10, vcc, s4, v10
	v_ashrrev_i32_e32 v13, 31, v12
	v_addc_co_u32_e32 v11, vcc, v15, v11, vcc
	v_lshlrev_b64 v[12:13], 2, v[12:13]
	v_mov_b32_e32 v17, s5
	v_add_co_u32_e32 v12, vcc, s4, v12
	v_addc_co_u32_e32 v13, vcc, v17, v13, vcc
	global_load_dword v66, v[12:13], off
	v_ashrrev_i32_e32 v17, 31, v16
	v_lshlrev_b64 v[16:17], 2, v[16:17]
	v_ashrrev_i32_e32 v21, 31, v20
	v_ashrrev_i32_e32 v23, 31, v22
	s_waitcnt vmcnt(2)
	buffer_store_dword v14, off, s[0:3], 0
	v_add_co_u32_e32 v14, vcc, s4, v18
	v_addc_co_u32_e32 v15, vcc, v15, v19, vcc
	v_mov_b32_e32 v18, s5
	v_add_co_u32_e32 v16, vcc, s4, v16
	v_addc_co_u32_e32 v17, vcc, v18, v17, vcc
	v_lshlrev_b64 v[18:19], 2, v[20:21]
	v_mov_b32_e32 v20, s5
	v_add_co_u32_e32 v18, vcc, s4, v18
	v_addc_co_u32_e32 v19, vcc, v20, v19, vcc
	v_lshlrev_b64 v[20:21], 2, v[22:23]
	v_mov_b32_e32 v22, s5
	v_add_co_u32_e32 v20, vcc, s4, v20
	v_addc_co_u32_e32 v21, vcc, v22, v21, vcc
	global_load_dword v67, v[4:5], off
	global_load_dword v68, v[6:7], off
	;; [unrolled: 1-line block ×7, first 2 shown]
	v_ashrrev_i32_e32 v27, 31, v26
	s_waitcnt vmcnt(9)
	buffer_store_dword v25, off, s[0:3], 0 offset:4
	v_ashrrev_i32_e32 v25, 31, v24
	v_lshlrev_b64 v[22:23], 2, v[24:25]
	v_mov_b32_e32 v24, s5
	v_add_co_u32_e32 v22, vcc, s4, v22
	v_addc_co_u32_e32 v23, vcc, v24, v23, vcc
	v_lshlrev_b64 v[24:25], 2, v[26:27]
	v_mov_b32_e32 v26, s5
	v_add_co_u32_e32 v24, vcc, s4, v24
	v_ashrrev_i32_e32 v29, 31, v28
	v_addc_co_u32_e32 v25, vcc, v26, v25, vcc
	v_lshlrev_b64 v[26:27], 2, v[28:29]
	v_mov_b32_e32 v28, s5
	v_add_co_u32_e32 v26, vcc, s4, v26
	v_ashrrev_i32_e32 v31, 31, v30
	;; [unrolled: 5-line block ×19, first 2 shown]
	v_addc_co_u32_e32 v61, vcc, v62, v61, vcc
	v_lshlrev_b64 v[62:63], 2, v[64:65]
	v_mov_b32_e32 v64, s5
	v_add_co_u32_e32 v62, vcc, s4, v62
	global_load_dword v74, v[22:23], off
	global_load_dword v75, v[24:25], off
	;; [unrolled: 1-line block ×16, first 2 shown]
	v_addc_co_u32_e32 v63, vcc, v64, v63, vcc
	global_load_dword v64, v[54:55], off
	global_load_dword v65, v[56:57], off
	;; [unrolled: 1-line block ×4, first 2 shown]
	s_cmpk_lg_i32 s13, 0x84
	s_waitcnt vmcnt(26)
	buffer_store_dword v68, off, s[0:3], 0 offset:12
	global_load_dword v68, v[60:61], off
	s_cselect_b64 s[10:11], -1, 0
	buffer_store_dword v67, off, s[0:3], 0 offset:8
	s_waitcnt vmcnt(28)
	buffer_store_dword v69, off, s[0:3], 0 offset:16
	s_waitcnt vmcnt(28)
	;; [unrolled: 2-line block ×7, first 2 shown]
	buffer_store_dword v76, off, s[0:3], 0 offset:44
	buffer_store_dword v75, off, s[0:3], 0 offset:40
	s_waitcnt vmcnt(27)
	buffer_store_dword v77, off, s[0:3], 0 offset:48
	s_waitcnt vmcnt(27)
	;; [unrolled: 2-line block ×9, first 2 shown]
	buffer_store_dword v87, off, s[0:3], 0 offset:84
	buffer_store_dword v86, off, s[0:3], 0 offset:80
	s_waitcnt vmcnt(26)
	buffer_store_dword v89, off, s[0:3], 0 offset:92
	buffer_store_dword v88, off, s[0:3], 0 offset:88
	s_waitcnt vmcnt(26)
	;; [unrolled: 3-line block ×4, first 2 shown]
	buffer_store_dword v92, off, s[0:3], 0 offset:116
	s_waitcnt vmcnt(26)
	buffer_store_dword v68, off, s[0:3], 0 offset:112
	buffer_store_dword v66, off, s[0:3], 0 offset:120
	s_cmpk_eq_i32 s13, 0x84
	v_mov_b32_e32 v64, -1.0
	s_cbranch_scc1 .LBB30_3
; %bb.2:
	v_lshl_add_u32 v64, v0, 2, v79
	buffer_load_dword v65, v64, s[0:3], 0 offen
	s_waitcnt vmcnt(0)
	v_div_scale_f32 v66, s[4:5], v65, v65, 1.0
	v_rcp_f32_e32 v67, v66
	v_div_scale_f32 v68, vcc, 1.0, v65, 1.0
	v_fma_f32 v69, -v66, v67, 1.0
	v_fmac_f32_e32 v67, v69, v67
	v_mul_f32_e32 v69, v68, v67
	v_fma_f32 v70, -v66, v69, v68
	v_fmac_f32_e32 v69, v70, v67
	v_fma_f32 v66, -v66, v69, v68
	v_div_fmas_f32 v66, v66, v67, v69
	v_div_fixup_f32 v65, v66, v65, 1.0
	buffer_store_dword v65, v64, s[0:3], 0 offen
	v_xor_b32_e32 v64, 0x80000000, v65
.LBB30_3:
	ds_write_b32 v1, v64
	s_cmpk_eq_i32 s12, 0x79
	v_add_u32_e32 v64, 0x80, v1
	v_add_u32_e32 v65, 0, v1
	s_mov_b64 s[4:5], -1
	s_cbranch_scc1 .LBB30_297
; %bb.4:
	buffer_load_dword v66, off, s[0:3], 0 offset:116
	v_cmp_eq_u32_e64 s[4:5], 30, v0
	s_waitcnt vmcnt(0)
	ds_write_b32 v64, v66
	s_waitcnt lgkmcnt(0)
	; wave barrier
	s_waitcnt lgkmcnt(0)
	s_and_saveexec_b64 s[6:7], s[4:5]
	s_cbranch_execz .LBB30_10
; %bb.5:
	s_and_b64 vcc, exec, s[10:11]
	s_cbranch_vccz .LBB30_7
; %bb.6:
	buffer_load_dword v66, v65, s[0:3], 0 offen
	ds_read_b32 v67, v64
	s_waitcnt vmcnt(0) lgkmcnt(0)
	v_mul_f32_e32 v66, v66, v67
	s_cbranch_execz .LBB30_8
	s_branch .LBB30_9
.LBB30_7:
                                        ; implicit-def: $vgpr66
.LBB30_8:
	ds_read_b32 v66, v64
.LBB30_9:
	v_mov_b32_e32 v67, 0
	ds_read_b32 v67, v67 offset:116
	s_waitcnt lgkmcnt(0)
	v_mul_f32_e32 v66, v66, v67
	buffer_store_dword v66, off, s[0:3], 0 offset:116
.LBB30_10:
	s_or_b64 exec, exec, s[6:7]
	buffer_load_dword v80, off, s[0:3], 0 offset:112
	v_or_b32_e32 v66, 8, v79
	v_add_u32_e32 v67, 16, v79
	v_add_u32_e32 v68, 24, v79
	;; [unrolled: 1-line block ×13, first 2 shown]
	v_cmp_lt_u32_e64 s[8:9], 28, v0
	s_waitcnt vmcnt(0)
	ds_write_b32 v64, v80
	s_waitcnt lgkmcnt(0)
	; wave barrier
	s_waitcnt lgkmcnt(0)
	s_and_saveexec_b64 s[6:7], s[8:9]
	s_cbranch_execz .LBB30_16
; %bb.11:
	s_andn2_b64 vcc, exec, s[10:11]
	s_cbranch_vccnz .LBB30_13
; %bb.12:
	buffer_load_dword v80, v65, s[0:3], 0 offen
	ds_read_b32 v81, v64
	s_waitcnt vmcnt(0) lgkmcnt(0)
	v_mul_f32_e32 v80, v80, v81
	s_cbranch_execz .LBB30_14
	s_branch .LBB30_15
.LBB30_13:
                                        ; implicit-def: $vgpr80
.LBB30_14:
	ds_read_b32 v80, v64
.LBB30_15:
	buffer_load_dword v81, off, s[0:3], 0 offset:116
	v_mov_b32_e32 v82, 0
	ds_read2_b32 v[82:83], v82 offset0:28 offset1:61
	s_waitcnt vmcnt(0) lgkmcnt(0)
	v_fma_f32 v81, v81, v83, v80
	v_cndmask_b32_e64 v80, v80, v81, s[4:5]
	v_mul_f32_e32 v80, v80, v82
	buffer_store_dword v80, off, s[0:3], 0 offset:112
.LBB30_16:
	s_or_b64 exec, exec, s[6:7]
	buffer_load_dword v80, off, s[0:3], 0 offset:108
	v_cmp_lt_u32_e64 s[6:7], 27, v0
	s_waitcnt vmcnt(0)
	ds_write_b32 v64, v80
	s_waitcnt lgkmcnt(0)
	; wave barrier
	s_waitcnt lgkmcnt(0)
	s_and_saveexec_b64 s[4:5], s[6:7]
	s_cbranch_execz .LBB30_26
; %bb.17:
	s_andn2_b64 vcc, exec, s[10:11]
	s_cbranch_vccnz .LBB30_19
; %bb.18:
	buffer_load_dword v80, v65, s[0:3], 0 offen
	ds_read_b32 v81, v64
	s_waitcnt vmcnt(0) lgkmcnt(0)
	v_mul_f32_e32 v80, v80, v81
	s_cbranch_execz .LBB30_20
	s_branch .LBB30_21
.LBB30_19:
                                        ; implicit-def: $vgpr80
.LBB30_20:
	ds_read_b32 v80, v64
.LBB30_21:
	s_and_saveexec_b64 s[12:13], s[8:9]
	s_cbranch_execz .LBB30_25
; %bb.22:
	v_subrev_u32_e32 v81, 28, v0
	s_movk_i32 s14, 0xf0
	s_mov_b64 s[8:9], 0
.LBB30_23:                              ; =>This Inner Loop Header: Depth=1
	buffer_load_dword v82, v79, s[0:3], 0 offen
	v_mov_b32_e32 v83, s14
	ds_read_b32 v83, v83
	v_add_u32_e32 v81, -1, v81
	s_add_i32 s14, s14, 4
	v_cmp_eq_u32_e32 vcc, 0, v81
	v_add_u32_e32 v79, 4, v79
	s_or_b64 s[8:9], vcc, s[8:9]
	s_waitcnt vmcnt(0) lgkmcnt(0)
	v_fmac_f32_e32 v80, v82, v83
	s_andn2_b64 exec, exec, s[8:9]
	s_cbranch_execnz .LBB30_23
; %bb.24:
	s_or_b64 exec, exec, s[8:9]
.LBB30_25:
	s_or_b64 exec, exec, s[12:13]
	v_mov_b32_e32 v79, 0
	ds_read_b32 v79, v79 offset:108
	s_waitcnt lgkmcnt(0)
	v_mul_f32_e32 v79, v80, v79
	buffer_store_dword v79, off, s[0:3], 0 offset:108
.LBB30_26:
	s_or_b64 exec, exec, s[4:5]
	buffer_load_dword v79, off, s[0:3], 0 offset:104
	v_cmp_lt_u32_e64 s[4:5], 26, v0
	s_waitcnt vmcnt(0)
	ds_write_b32 v64, v79
	s_waitcnt lgkmcnt(0)
	; wave barrier
	s_waitcnt lgkmcnt(0)
	s_and_saveexec_b64 s[8:9], s[4:5]
	s_cbranch_execz .LBB30_36
; %bb.27:
	s_andn2_b64 vcc, exec, s[10:11]
	s_cbranch_vccnz .LBB30_29
; %bb.28:
	buffer_load_dword v79, v65, s[0:3], 0 offen
	ds_read_b32 v80, v64
	s_waitcnt vmcnt(0) lgkmcnt(0)
	v_mul_f32_e32 v79, v79, v80
	s_cbranch_execz .LBB30_30
	s_branch .LBB30_31
.LBB30_29:
                                        ; implicit-def: $vgpr79
.LBB30_30:
	ds_read_b32 v79, v64
.LBB30_31:
	s_and_saveexec_b64 s[12:13], s[6:7]
	s_cbranch_execz .LBB30_35
; %bb.32:
	v_mov_b32_e32 v80, 0
	v_add_u32_e32 v80, 0x6c, v80
	v_subrev_u32_e32 v81, 27, v0
	s_movk_i32 s14, 0xec
	s_mov_b64 s[6:7], 0
.LBB30_33:                              ; =>This Inner Loop Header: Depth=1
	buffer_load_dword v82, v80, s[0:3], 0 offen
	v_mov_b32_e32 v83, s14
	ds_read_b32 v83, v83
	v_add_u32_e32 v81, -1, v81
	s_add_i32 s14, s14, 4
	v_cmp_eq_u32_e32 vcc, 0, v81
	v_add_u32_e32 v80, 4, v80
	s_or_b64 s[6:7], vcc, s[6:7]
	s_waitcnt vmcnt(0) lgkmcnt(0)
	v_fmac_f32_e32 v79, v82, v83
	s_andn2_b64 exec, exec, s[6:7]
	s_cbranch_execnz .LBB30_33
; %bb.34:
	s_or_b64 exec, exec, s[6:7]
.LBB30_35:
	s_or_b64 exec, exec, s[12:13]
	v_mov_b32_e32 v80, 0
	ds_read_b32 v80, v80 offset:104
	s_waitcnt lgkmcnt(0)
	v_mul_f32_e32 v79, v79, v80
	buffer_store_dword v79, off, s[0:3], 0 offset:104
.LBB30_36:
	s_or_b64 exec, exec, s[8:9]
	buffer_load_dword v79, off, s[0:3], 0 offset:100
	v_cmp_lt_u32_e64 s[6:7], 25, v0
	s_waitcnt vmcnt(0)
	ds_write_b32 v64, v79
	s_waitcnt lgkmcnt(0)
	; wave barrier
	s_waitcnt lgkmcnt(0)
	s_and_saveexec_b64 s[8:9], s[6:7]
	s_cbranch_execz .LBB30_46
; %bb.37:
	s_andn2_b64 vcc, exec, s[10:11]
	s_cbranch_vccnz .LBB30_39
; %bb.38:
	buffer_load_dword v79, v65, s[0:3], 0 offen
	ds_read_b32 v80, v64
	s_waitcnt vmcnt(0) lgkmcnt(0)
	v_mul_f32_e32 v79, v79, v80
	s_cbranch_execz .LBB30_40
	s_branch .LBB30_41
.LBB30_39:
                                        ; implicit-def: $vgpr79
.LBB30_40:
	ds_read_b32 v79, v64
.LBB30_41:
	s_and_saveexec_b64 s[12:13], s[4:5]
	s_cbranch_execz .LBB30_45
; %bb.42:
	v_subrev_u32_e32 v80, 26, v0
	s_movk_i32 s14, 0xe8
	s_mov_b64 s[4:5], 0
.LBB30_43:                              ; =>This Inner Loop Header: Depth=1
	buffer_load_dword v81, v78, s[0:3], 0 offen
	v_mov_b32_e32 v82, s14
	ds_read_b32 v82, v82
	v_add_u32_e32 v80, -1, v80
	s_add_i32 s14, s14, 4
	v_cmp_eq_u32_e32 vcc, 0, v80
	v_add_u32_e32 v78, 4, v78
	s_or_b64 s[4:5], vcc, s[4:5]
	s_waitcnt vmcnt(0) lgkmcnt(0)
	v_fmac_f32_e32 v79, v81, v82
	s_andn2_b64 exec, exec, s[4:5]
	s_cbranch_execnz .LBB30_43
; %bb.44:
	s_or_b64 exec, exec, s[4:5]
.LBB30_45:
	s_or_b64 exec, exec, s[12:13]
	v_mov_b32_e32 v78, 0
	ds_read_b32 v78, v78 offset:100
	s_waitcnt lgkmcnt(0)
	v_mul_f32_e32 v78, v79, v78
	buffer_store_dword v78, off, s[0:3], 0 offset:100
.LBB30_46:
	s_or_b64 exec, exec, s[8:9]
	buffer_load_dword v78, off, s[0:3], 0 offset:96
	v_cmp_lt_u32_e64 s[4:5], 24, v0
	s_waitcnt vmcnt(0)
	ds_write_b32 v64, v78
	s_waitcnt lgkmcnt(0)
	; wave barrier
	s_waitcnt lgkmcnt(0)
	s_and_saveexec_b64 s[8:9], s[4:5]
	s_cbranch_execz .LBB30_56
; %bb.47:
	s_andn2_b64 vcc, exec, s[10:11]
	s_cbranch_vccnz .LBB30_49
; %bb.48:
	buffer_load_dword v78, v65, s[0:3], 0 offen
	ds_read_b32 v79, v64
	s_waitcnt vmcnt(0) lgkmcnt(0)
	v_mul_f32_e32 v78, v78, v79
	s_cbranch_execz .LBB30_50
	s_branch .LBB30_51
.LBB30_49:
                                        ; implicit-def: $vgpr78
.LBB30_50:
	ds_read_b32 v78, v64
.LBB30_51:
	s_and_saveexec_b64 s[12:13], s[6:7]
	s_cbranch_execz .LBB30_55
; %bb.52:
	v_mov_b32_e32 v79, 0
	v_add_u32_e32 v79, 0x64, v79
	v_subrev_u32_e32 v80, 25, v0
	s_movk_i32 s14, 0xe4
	s_mov_b64 s[6:7], 0
.LBB30_53:                              ; =>This Inner Loop Header: Depth=1
	buffer_load_dword v81, v79, s[0:3], 0 offen
	v_mov_b32_e32 v82, s14
	ds_read_b32 v82, v82
	v_add_u32_e32 v80, -1, v80
	s_add_i32 s14, s14, 4
	v_cmp_eq_u32_e32 vcc, 0, v80
	v_add_u32_e32 v79, 4, v79
	s_or_b64 s[6:7], vcc, s[6:7]
	s_waitcnt vmcnt(0) lgkmcnt(0)
	v_fmac_f32_e32 v78, v81, v82
	s_andn2_b64 exec, exec, s[6:7]
	s_cbranch_execnz .LBB30_53
; %bb.54:
	s_or_b64 exec, exec, s[6:7]
.LBB30_55:
	s_or_b64 exec, exec, s[12:13]
	v_mov_b32_e32 v79, 0
	ds_read_b32 v79, v79 offset:96
	s_waitcnt lgkmcnt(0)
	v_mul_f32_e32 v78, v78, v79
	buffer_store_dword v78, off, s[0:3], 0 offset:96
.LBB30_56:
	s_or_b64 exec, exec, s[8:9]
	buffer_load_dword v78, off, s[0:3], 0 offset:92
	v_cmp_lt_u32_e64 s[6:7], 23, v0
	s_waitcnt vmcnt(0)
	ds_write_b32 v64, v78
	s_waitcnt lgkmcnt(0)
	; wave barrier
	s_waitcnt lgkmcnt(0)
	s_and_saveexec_b64 s[8:9], s[6:7]
	s_cbranch_execz .LBB30_66
; %bb.57:
	s_andn2_b64 vcc, exec, s[10:11]
	s_cbranch_vccnz .LBB30_59
; %bb.58:
	buffer_load_dword v78, v65, s[0:3], 0 offen
	ds_read_b32 v79, v64
	s_waitcnt vmcnt(0) lgkmcnt(0)
	v_mul_f32_e32 v78, v78, v79
	s_cbranch_execz .LBB30_60
	s_branch .LBB30_61
.LBB30_59:
                                        ; implicit-def: $vgpr78
.LBB30_60:
	ds_read_b32 v78, v64
.LBB30_61:
	s_and_saveexec_b64 s[12:13], s[4:5]
	s_cbranch_execz .LBB30_65
; %bb.62:
	v_subrev_u32_e32 v79, 24, v0
	s_movk_i32 s14, 0xe0
	s_mov_b64 s[4:5], 0
.LBB30_63:                              ; =>This Inner Loop Header: Depth=1
	buffer_load_dword v80, v77, s[0:3], 0 offen
	v_mov_b32_e32 v81, s14
	ds_read_b32 v81, v81
	v_add_u32_e32 v79, -1, v79
	s_add_i32 s14, s14, 4
	v_cmp_eq_u32_e32 vcc, 0, v79
	v_add_u32_e32 v77, 4, v77
	s_or_b64 s[4:5], vcc, s[4:5]
	s_waitcnt vmcnt(0) lgkmcnt(0)
	v_fmac_f32_e32 v78, v80, v81
	s_andn2_b64 exec, exec, s[4:5]
	s_cbranch_execnz .LBB30_63
; %bb.64:
	s_or_b64 exec, exec, s[4:5]
.LBB30_65:
	s_or_b64 exec, exec, s[12:13]
	v_mov_b32_e32 v77, 0
	ds_read_b32 v77, v77 offset:92
	s_waitcnt lgkmcnt(0)
	v_mul_f32_e32 v77, v78, v77
	buffer_store_dword v77, off, s[0:3], 0 offset:92
.LBB30_66:
	s_or_b64 exec, exec, s[8:9]
	buffer_load_dword v77, off, s[0:3], 0 offset:88
	v_cmp_lt_u32_e64 s[4:5], 22, v0
	s_waitcnt vmcnt(0)
	ds_write_b32 v64, v77
	s_waitcnt lgkmcnt(0)
	; wave barrier
	s_waitcnt lgkmcnt(0)
	s_and_saveexec_b64 s[8:9], s[4:5]
	s_cbranch_execz .LBB30_76
; %bb.67:
	s_andn2_b64 vcc, exec, s[10:11]
	s_cbranch_vccnz .LBB30_69
; %bb.68:
	buffer_load_dword v77, v65, s[0:3], 0 offen
	ds_read_b32 v78, v64
	s_waitcnt vmcnt(0) lgkmcnt(0)
	v_mul_f32_e32 v77, v77, v78
	s_cbranch_execz .LBB30_70
	s_branch .LBB30_71
.LBB30_69:
                                        ; implicit-def: $vgpr77
.LBB30_70:
	ds_read_b32 v77, v64
.LBB30_71:
	s_and_saveexec_b64 s[12:13], s[6:7]
	s_cbranch_execz .LBB30_75
; %bb.72:
	v_mov_b32_e32 v78, 0
	v_add_u32_e32 v78, 0x5c, v78
	v_subrev_u32_e32 v79, 23, v0
	s_movk_i32 s14, 0xdc
	s_mov_b64 s[6:7], 0
.LBB30_73:                              ; =>This Inner Loop Header: Depth=1
	buffer_load_dword v80, v78, s[0:3], 0 offen
	v_mov_b32_e32 v81, s14
	ds_read_b32 v81, v81
	v_add_u32_e32 v79, -1, v79
	s_add_i32 s14, s14, 4
	v_cmp_eq_u32_e32 vcc, 0, v79
	v_add_u32_e32 v78, 4, v78
	s_or_b64 s[6:7], vcc, s[6:7]
	s_waitcnt vmcnt(0) lgkmcnt(0)
	v_fmac_f32_e32 v77, v80, v81
	s_andn2_b64 exec, exec, s[6:7]
	s_cbranch_execnz .LBB30_73
; %bb.74:
	s_or_b64 exec, exec, s[6:7]
.LBB30_75:
	s_or_b64 exec, exec, s[12:13]
	v_mov_b32_e32 v78, 0
	ds_read_b32 v78, v78 offset:88
	s_waitcnt lgkmcnt(0)
	v_mul_f32_e32 v77, v77, v78
	buffer_store_dword v77, off, s[0:3], 0 offset:88
.LBB30_76:
	s_or_b64 exec, exec, s[8:9]
	buffer_load_dword v77, off, s[0:3], 0 offset:84
	v_cmp_lt_u32_e64 s[6:7], 21, v0
	s_waitcnt vmcnt(0)
	ds_write_b32 v64, v77
	s_waitcnt lgkmcnt(0)
	; wave barrier
	s_waitcnt lgkmcnt(0)
	s_and_saveexec_b64 s[8:9], s[6:7]
	s_cbranch_execz .LBB30_86
; %bb.77:
	s_andn2_b64 vcc, exec, s[10:11]
	s_cbranch_vccnz .LBB30_79
; %bb.78:
	buffer_load_dword v77, v65, s[0:3], 0 offen
	ds_read_b32 v78, v64
	s_waitcnt vmcnt(0) lgkmcnt(0)
	v_mul_f32_e32 v77, v77, v78
	s_cbranch_execz .LBB30_80
	s_branch .LBB30_81
.LBB30_79:
                                        ; implicit-def: $vgpr77
.LBB30_80:
	ds_read_b32 v77, v64
.LBB30_81:
	s_and_saveexec_b64 s[12:13], s[4:5]
	s_cbranch_execz .LBB30_85
; %bb.82:
	v_subrev_u32_e32 v78, 22, v0
	s_movk_i32 s14, 0xd8
	s_mov_b64 s[4:5], 0
.LBB30_83:                              ; =>This Inner Loop Header: Depth=1
	buffer_load_dword v79, v76, s[0:3], 0 offen
	v_mov_b32_e32 v80, s14
	ds_read_b32 v80, v80
	v_add_u32_e32 v78, -1, v78
	s_add_i32 s14, s14, 4
	v_cmp_eq_u32_e32 vcc, 0, v78
	v_add_u32_e32 v76, 4, v76
	s_or_b64 s[4:5], vcc, s[4:5]
	s_waitcnt vmcnt(0) lgkmcnt(0)
	v_fmac_f32_e32 v77, v79, v80
	s_andn2_b64 exec, exec, s[4:5]
	s_cbranch_execnz .LBB30_83
; %bb.84:
	s_or_b64 exec, exec, s[4:5]
.LBB30_85:
	s_or_b64 exec, exec, s[12:13]
	v_mov_b32_e32 v76, 0
	ds_read_b32 v76, v76 offset:84
	s_waitcnt lgkmcnt(0)
	v_mul_f32_e32 v76, v77, v76
	buffer_store_dword v76, off, s[0:3], 0 offset:84
.LBB30_86:
	s_or_b64 exec, exec, s[8:9]
	buffer_load_dword v76, off, s[0:3], 0 offset:80
	v_cmp_lt_u32_e64 s[4:5], 20, v0
	s_waitcnt vmcnt(0)
	ds_write_b32 v64, v76
	s_waitcnt lgkmcnt(0)
	; wave barrier
	s_waitcnt lgkmcnt(0)
	s_and_saveexec_b64 s[8:9], s[4:5]
	s_cbranch_execz .LBB30_96
; %bb.87:
	s_andn2_b64 vcc, exec, s[10:11]
	s_cbranch_vccnz .LBB30_89
; %bb.88:
	buffer_load_dword v76, v65, s[0:3], 0 offen
	ds_read_b32 v77, v64
	s_waitcnt vmcnt(0) lgkmcnt(0)
	v_mul_f32_e32 v76, v76, v77
	s_cbranch_execz .LBB30_90
	s_branch .LBB30_91
.LBB30_89:
                                        ; implicit-def: $vgpr76
.LBB30_90:
	ds_read_b32 v76, v64
.LBB30_91:
	s_and_saveexec_b64 s[12:13], s[6:7]
	s_cbranch_execz .LBB30_95
; %bb.92:
	v_mov_b32_e32 v77, 0
	v_add_u32_e32 v77, 0x54, v77
	v_subrev_u32_e32 v78, 21, v0
	s_movk_i32 s14, 0xd4
	s_mov_b64 s[6:7], 0
.LBB30_93:                              ; =>This Inner Loop Header: Depth=1
	buffer_load_dword v79, v77, s[0:3], 0 offen
	v_mov_b32_e32 v80, s14
	ds_read_b32 v80, v80
	v_add_u32_e32 v78, -1, v78
	s_add_i32 s14, s14, 4
	v_cmp_eq_u32_e32 vcc, 0, v78
	v_add_u32_e32 v77, 4, v77
	s_or_b64 s[6:7], vcc, s[6:7]
	s_waitcnt vmcnt(0) lgkmcnt(0)
	v_fmac_f32_e32 v76, v79, v80
	s_andn2_b64 exec, exec, s[6:7]
	s_cbranch_execnz .LBB30_93
; %bb.94:
	s_or_b64 exec, exec, s[6:7]
.LBB30_95:
	s_or_b64 exec, exec, s[12:13]
	v_mov_b32_e32 v77, 0
	ds_read_b32 v77, v77 offset:80
	s_waitcnt lgkmcnt(0)
	v_mul_f32_e32 v76, v76, v77
	buffer_store_dword v76, off, s[0:3], 0 offset:80
.LBB30_96:
	s_or_b64 exec, exec, s[8:9]
	buffer_load_dword v76, off, s[0:3], 0 offset:76
	v_cmp_lt_u32_e64 s[6:7], 19, v0
	s_waitcnt vmcnt(0)
	ds_write_b32 v64, v76
	s_waitcnt lgkmcnt(0)
	; wave barrier
	s_waitcnt lgkmcnt(0)
	s_and_saveexec_b64 s[8:9], s[6:7]
	s_cbranch_execz .LBB30_106
; %bb.97:
	s_andn2_b64 vcc, exec, s[10:11]
	s_cbranch_vccnz .LBB30_99
; %bb.98:
	buffer_load_dword v76, v65, s[0:3], 0 offen
	ds_read_b32 v77, v64
	s_waitcnt vmcnt(0) lgkmcnt(0)
	v_mul_f32_e32 v76, v76, v77
	s_cbranch_execz .LBB30_100
	s_branch .LBB30_101
.LBB30_99:
                                        ; implicit-def: $vgpr76
.LBB30_100:
	ds_read_b32 v76, v64
.LBB30_101:
	s_and_saveexec_b64 s[12:13], s[4:5]
	s_cbranch_execz .LBB30_105
; %bb.102:
	v_subrev_u32_e32 v77, 20, v0
	s_movk_i32 s14, 0xd0
	s_mov_b64 s[4:5], 0
.LBB30_103:                             ; =>This Inner Loop Header: Depth=1
	buffer_load_dword v78, v75, s[0:3], 0 offen
	v_mov_b32_e32 v79, s14
	ds_read_b32 v79, v79
	v_add_u32_e32 v77, -1, v77
	s_add_i32 s14, s14, 4
	v_cmp_eq_u32_e32 vcc, 0, v77
	v_add_u32_e32 v75, 4, v75
	s_or_b64 s[4:5], vcc, s[4:5]
	s_waitcnt vmcnt(0) lgkmcnt(0)
	v_fmac_f32_e32 v76, v78, v79
	s_andn2_b64 exec, exec, s[4:5]
	s_cbranch_execnz .LBB30_103
; %bb.104:
	s_or_b64 exec, exec, s[4:5]
.LBB30_105:
	s_or_b64 exec, exec, s[12:13]
	v_mov_b32_e32 v75, 0
	ds_read_b32 v75, v75 offset:76
	s_waitcnt lgkmcnt(0)
	v_mul_f32_e32 v75, v76, v75
	buffer_store_dword v75, off, s[0:3], 0 offset:76
.LBB30_106:
	s_or_b64 exec, exec, s[8:9]
	buffer_load_dword v75, off, s[0:3], 0 offset:72
	v_cmp_lt_u32_e64 s[4:5], 18, v0
	s_waitcnt vmcnt(0)
	ds_write_b32 v64, v75
	s_waitcnt lgkmcnt(0)
	; wave barrier
	s_waitcnt lgkmcnt(0)
	s_and_saveexec_b64 s[8:9], s[4:5]
	s_cbranch_execz .LBB30_116
; %bb.107:
	s_andn2_b64 vcc, exec, s[10:11]
	s_cbranch_vccnz .LBB30_109
; %bb.108:
	buffer_load_dword v75, v65, s[0:3], 0 offen
	ds_read_b32 v76, v64
	s_waitcnt vmcnt(0) lgkmcnt(0)
	v_mul_f32_e32 v75, v75, v76
	s_cbranch_execz .LBB30_110
	s_branch .LBB30_111
.LBB30_109:
                                        ; implicit-def: $vgpr75
.LBB30_110:
	ds_read_b32 v75, v64
.LBB30_111:
	s_and_saveexec_b64 s[12:13], s[6:7]
	s_cbranch_execz .LBB30_115
; %bb.112:
	v_mov_b32_e32 v76, 0
	v_add_u32_e32 v76, 0x4c, v76
	v_subrev_u32_e32 v77, 19, v0
	s_movk_i32 s14, 0xcc
	s_mov_b64 s[6:7], 0
.LBB30_113:                             ; =>This Inner Loop Header: Depth=1
	buffer_load_dword v78, v76, s[0:3], 0 offen
	v_mov_b32_e32 v79, s14
	ds_read_b32 v79, v79
	v_add_u32_e32 v77, -1, v77
	s_add_i32 s14, s14, 4
	v_cmp_eq_u32_e32 vcc, 0, v77
	v_add_u32_e32 v76, 4, v76
	s_or_b64 s[6:7], vcc, s[6:7]
	s_waitcnt vmcnt(0) lgkmcnt(0)
	v_fmac_f32_e32 v75, v78, v79
	s_andn2_b64 exec, exec, s[6:7]
	s_cbranch_execnz .LBB30_113
; %bb.114:
	s_or_b64 exec, exec, s[6:7]
.LBB30_115:
	s_or_b64 exec, exec, s[12:13]
	v_mov_b32_e32 v76, 0
	ds_read_b32 v76, v76 offset:72
	s_waitcnt lgkmcnt(0)
	v_mul_f32_e32 v75, v75, v76
	buffer_store_dword v75, off, s[0:3], 0 offset:72
.LBB30_116:
	s_or_b64 exec, exec, s[8:9]
	buffer_load_dword v75, off, s[0:3], 0 offset:68
	v_cmp_lt_u32_e64 s[6:7], 17, v0
	s_waitcnt vmcnt(0)
	ds_write_b32 v64, v75
	s_waitcnt lgkmcnt(0)
	; wave barrier
	s_waitcnt lgkmcnt(0)
	s_and_saveexec_b64 s[8:9], s[6:7]
	s_cbranch_execz .LBB30_126
; %bb.117:
	s_andn2_b64 vcc, exec, s[10:11]
	s_cbranch_vccnz .LBB30_119
; %bb.118:
	buffer_load_dword v75, v65, s[0:3], 0 offen
	ds_read_b32 v76, v64
	s_waitcnt vmcnt(0) lgkmcnt(0)
	v_mul_f32_e32 v75, v75, v76
	s_cbranch_execz .LBB30_120
	s_branch .LBB30_121
.LBB30_119:
                                        ; implicit-def: $vgpr75
.LBB30_120:
	ds_read_b32 v75, v64
.LBB30_121:
	s_and_saveexec_b64 s[12:13], s[4:5]
	s_cbranch_execz .LBB30_125
; %bb.122:
	v_subrev_u32_e32 v76, 18, v0
	s_movk_i32 s14, 0xc8
	s_mov_b64 s[4:5], 0
.LBB30_123:                             ; =>This Inner Loop Header: Depth=1
	buffer_load_dword v77, v74, s[0:3], 0 offen
	v_mov_b32_e32 v78, s14
	ds_read_b32 v78, v78
	v_add_u32_e32 v76, -1, v76
	s_add_i32 s14, s14, 4
	v_cmp_eq_u32_e32 vcc, 0, v76
	v_add_u32_e32 v74, 4, v74
	s_or_b64 s[4:5], vcc, s[4:5]
	s_waitcnt vmcnt(0) lgkmcnt(0)
	v_fmac_f32_e32 v75, v77, v78
	s_andn2_b64 exec, exec, s[4:5]
	s_cbranch_execnz .LBB30_123
; %bb.124:
	s_or_b64 exec, exec, s[4:5]
.LBB30_125:
	s_or_b64 exec, exec, s[12:13]
	v_mov_b32_e32 v74, 0
	ds_read_b32 v74, v74 offset:68
	s_waitcnt lgkmcnt(0)
	v_mul_f32_e32 v74, v75, v74
	buffer_store_dword v74, off, s[0:3], 0 offset:68
.LBB30_126:
	s_or_b64 exec, exec, s[8:9]
	buffer_load_dword v74, off, s[0:3], 0 offset:64
	v_cmp_lt_u32_e64 s[4:5], 16, v0
	s_waitcnt vmcnt(0)
	ds_write_b32 v64, v74
	s_waitcnt lgkmcnt(0)
	; wave barrier
	s_waitcnt lgkmcnt(0)
	s_and_saveexec_b64 s[8:9], s[4:5]
	s_cbranch_execz .LBB30_136
; %bb.127:
	s_andn2_b64 vcc, exec, s[10:11]
	s_cbranch_vccnz .LBB30_129
; %bb.128:
	buffer_load_dword v74, v65, s[0:3], 0 offen
	ds_read_b32 v75, v64
	s_waitcnt vmcnt(0) lgkmcnt(0)
	v_mul_f32_e32 v74, v74, v75
	s_cbranch_execz .LBB30_130
	s_branch .LBB30_131
.LBB30_129:
                                        ; implicit-def: $vgpr74
.LBB30_130:
	ds_read_b32 v74, v64
.LBB30_131:
	s_and_saveexec_b64 s[12:13], s[6:7]
	s_cbranch_execz .LBB30_135
; %bb.132:
	v_mov_b32_e32 v75, 0
	v_add_u32_e32 v75, 0x44, v75
	v_subrev_u32_e32 v76, 17, v0
	s_movk_i32 s14, 0xc4
	s_mov_b64 s[6:7], 0
.LBB30_133:                             ; =>This Inner Loop Header: Depth=1
	buffer_load_dword v77, v75, s[0:3], 0 offen
	v_mov_b32_e32 v78, s14
	ds_read_b32 v78, v78
	v_add_u32_e32 v76, -1, v76
	s_add_i32 s14, s14, 4
	v_cmp_eq_u32_e32 vcc, 0, v76
	v_add_u32_e32 v75, 4, v75
	s_or_b64 s[6:7], vcc, s[6:7]
	s_waitcnt vmcnt(0) lgkmcnt(0)
	v_fmac_f32_e32 v74, v77, v78
	s_andn2_b64 exec, exec, s[6:7]
	s_cbranch_execnz .LBB30_133
; %bb.134:
	s_or_b64 exec, exec, s[6:7]
.LBB30_135:
	s_or_b64 exec, exec, s[12:13]
	v_mov_b32_e32 v75, 0
	ds_read_b32 v75, v75 offset:64
	s_waitcnt lgkmcnt(0)
	v_mul_f32_e32 v74, v74, v75
	buffer_store_dword v74, off, s[0:3], 0 offset:64
.LBB30_136:
	s_or_b64 exec, exec, s[8:9]
	buffer_load_dword v74, off, s[0:3], 0 offset:60
	v_cmp_lt_u32_e64 s[6:7], 15, v0
	s_waitcnt vmcnt(0)
	ds_write_b32 v64, v74
	s_waitcnt lgkmcnt(0)
	; wave barrier
	s_waitcnt lgkmcnt(0)
	s_and_saveexec_b64 s[8:9], s[6:7]
	s_cbranch_execz .LBB30_146
; %bb.137:
	s_andn2_b64 vcc, exec, s[10:11]
	s_cbranch_vccnz .LBB30_139
; %bb.138:
	buffer_load_dword v74, v65, s[0:3], 0 offen
	ds_read_b32 v75, v64
	s_waitcnt vmcnt(0) lgkmcnt(0)
	v_mul_f32_e32 v74, v74, v75
	s_cbranch_execz .LBB30_140
	s_branch .LBB30_141
.LBB30_139:
                                        ; implicit-def: $vgpr74
.LBB30_140:
	ds_read_b32 v74, v64
.LBB30_141:
	s_and_saveexec_b64 s[12:13], s[4:5]
	s_cbranch_execz .LBB30_145
; %bb.142:
	v_add_u32_e32 v75, -16, v0
	s_movk_i32 s14, 0xc0
	s_mov_b64 s[4:5], 0
.LBB30_143:                             ; =>This Inner Loop Header: Depth=1
	buffer_load_dword v76, v73, s[0:3], 0 offen
	v_mov_b32_e32 v77, s14
	ds_read_b32 v77, v77
	v_add_u32_e32 v75, -1, v75
	s_add_i32 s14, s14, 4
	v_cmp_eq_u32_e32 vcc, 0, v75
	v_add_u32_e32 v73, 4, v73
	s_or_b64 s[4:5], vcc, s[4:5]
	s_waitcnt vmcnt(0) lgkmcnt(0)
	v_fmac_f32_e32 v74, v76, v77
	s_andn2_b64 exec, exec, s[4:5]
	s_cbranch_execnz .LBB30_143
; %bb.144:
	s_or_b64 exec, exec, s[4:5]
.LBB30_145:
	s_or_b64 exec, exec, s[12:13]
	v_mov_b32_e32 v73, 0
	ds_read_b32 v73, v73 offset:60
	s_waitcnt lgkmcnt(0)
	v_mul_f32_e32 v73, v74, v73
	buffer_store_dword v73, off, s[0:3], 0 offset:60
.LBB30_146:
	s_or_b64 exec, exec, s[8:9]
	buffer_load_dword v73, off, s[0:3], 0 offset:56
	v_cmp_lt_u32_e64 s[4:5], 14, v0
	s_waitcnt vmcnt(0)
	ds_write_b32 v64, v73
	s_waitcnt lgkmcnt(0)
	; wave barrier
	s_waitcnt lgkmcnt(0)
	s_and_saveexec_b64 s[8:9], s[4:5]
	s_cbranch_execz .LBB30_156
; %bb.147:
	s_andn2_b64 vcc, exec, s[10:11]
	s_cbranch_vccnz .LBB30_149
; %bb.148:
	buffer_load_dword v73, v65, s[0:3], 0 offen
	ds_read_b32 v74, v64
	s_waitcnt vmcnt(0) lgkmcnt(0)
	v_mul_f32_e32 v73, v73, v74
	s_cbranch_execz .LBB30_150
	s_branch .LBB30_151
.LBB30_149:
                                        ; implicit-def: $vgpr73
.LBB30_150:
	ds_read_b32 v73, v64
.LBB30_151:
	s_and_saveexec_b64 s[12:13], s[6:7]
	s_cbranch_execz .LBB30_155
; %bb.152:
	v_mov_b32_e32 v74, 0
	v_add_u32_e32 v74, 60, v74
	v_add_u32_e32 v75, -15, v0
	s_movk_i32 s14, 0xbc
	s_mov_b64 s[6:7], 0
.LBB30_153:                             ; =>This Inner Loop Header: Depth=1
	buffer_load_dword v76, v74, s[0:3], 0 offen
	v_mov_b32_e32 v77, s14
	ds_read_b32 v77, v77
	v_add_u32_e32 v75, -1, v75
	s_add_i32 s14, s14, 4
	v_cmp_eq_u32_e32 vcc, 0, v75
	v_add_u32_e32 v74, 4, v74
	s_or_b64 s[6:7], vcc, s[6:7]
	s_waitcnt vmcnt(0) lgkmcnt(0)
	v_fmac_f32_e32 v73, v76, v77
	s_andn2_b64 exec, exec, s[6:7]
	s_cbranch_execnz .LBB30_153
; %bb.154:
	s_or_b64 exec, exec, s[6:7]
.LBB30_155:
	s_or_b64 exec, exec, s[12:13]
	v_mov_b32_e32 v74, 0
	ds_read_b32 v74, v74 offset:56
	s_waitcnt lgkmcnt(0)
	v_mul_f32_e32 v73, v73, v74
	buffer_store_dword v73, off, s[0:3], 0 offset:56
.LBB30_156:
	s_or_b64 exec, exec, s[8:9]
	buffer_load_dword v73, off, s[0:3], 0 offset:52
	v_cmp_lt_u32_e64 s[6:7], 13, v0
	s_waitcnt vmcnt(0)
	ds_write_b32 v64, v73
	s_waitcnt lgkmcnt(0)
	; wave barrier
	s_waitcnt lgkmcnt(0)
	s_and_saveexec_b64 s[8:9], s[6:7]
	s_cbranch_execz .LBB30_166
; %bb.157:
	s_andn2_b64 vcc, exec, s[10:11]
	s_cbranch_vccnz .LBB30_159
; %bb.158:
	buffer_load_dword v73, v65, s[0:3], 0 offen
	ds_read_b32 v74, v64
	s_waitcnt vmcnt(0) lgkmcnt(0)
	v_mul_f32_e32 v73, v73, v74
	s_cbranch_execz .LBB30_160
	s_branch .LBB30_161
.LBB30_159:
                                        ; implicit-def: $vgpr73
.LBB30_160:
	ds_read_b32 v73, v64
.LBB30_161:
	s_and_saveexec_b64 s[12:13], s[4:5]
	s_cbranch_execz .LBB30_165
; %bb.162:
	v_add_u32_e32 v74, -14, v0
	s_movk_i32 s14, 0xb8
	s_mov_b64 s[4:5], 0
.LBB30_163:                             ; =>This Inner Loop Header: Depth=1
	buffer_load_dword v75, v72, s[0:3], 0 offen
	v_mov_b32_e32 v76, s14
	ds_read_b32 v76, v76
	v_add_u32_e32 v74, -1, v74
	s_add_i32 s14, s14, 4
	v_cmp_eq_u32_e32 vcc, 0, v74
	v_add_u32_e32 v72, 4, v72
	s_or_b64 s[4:5], vcc, s[4:5]
	s_waitcnt vmcnt(0) lgkmcnt(0)
	v_fmac_f32_e32 v73, v75, v76
	s_andn2_b64 exec, exec, s[4:5]
	s_cbranch_execnz .LBB30_163
; %bb.164:
	s_or_b64 exec, exec, s[4:5]
.LBB30_165:
	s_or_b64 exec, exec, s[12:13]
	v_mov_b32_e32 v72, 0
	ds_read_b32 v72, v72 offset:52
	s_waitcnt lgkmcnt(0)
	v_mul_f32_e32 v72, v73, v72
	buffer_store_dword v72, off, s[0:3], 0 offset:52
.LBB30_166:
	s_or_b64 exec, exec, s[8:9]
	buffer_load_dword v72, off, s[0:3], 0 offset:48
	v_cmp_lt_u32_e64 s[4:5], 12, v0
	s_waitcnt vmcnt(0)
	ds_write_b32 v64, v72
	s_waitcnt lgkmcnt(0)
	; wave barrier
	s_waitcnt lgkmcnt(0)
	s_and_saveexec_b64 s[8:9], s[4:5]
	s_cbranch_execz .LBB30_176
; %bb.167:
	s_andn2_b64 vcc, exec, s[10:11]
	s_cbranch_vccnz .LBB30_169
; %bb.168:
	buffer_load_dword v72, v65, s[0:3], 0 offen
	ds_read_b32 v73, v64
	s_waitcnt vmcnt(0) lgkmcnt(0)
	v_mul_f32_e32 v72, v72, v73
	s_cbranch_execz .LBB30_170
	s_branch .LBB30_171
.LBB30_169:
                                        ; implicit-def: $vgpr72
.LBB30_170:
	ds_read_b32 v72, v64
.LBB30_171:
	s_and_saveexec_b64 s[12:13], s[6:7]
	s_cbranch_execz .LBB30_175
; %bb.172:
	v_mov_b32_e32 v73, 0
	v_add_u32_e32 v73, 52, v73
	v_add_u32_e32 v74, -13, v0
	s_movk_i32 s14, 0xb4
	s_mov_b64 s[6:7], 0
.LBB30_173:                             ; =>This Inner Loop Header: Depth=1
	buffer_load_dword v75, v73, s[0:3], 0 offen
	v_mov_b32_e32 v76, s14
	ds_read_b32 v76, v76
	v_add_u32_e32 v74, -1, v74
	s_add_i32 s14, s14, 4
	v_cmp_eq_u32_e32 vcc, 0, v74
	v_add_u32_e32 v73, 4, v73
	s_or_b64 s[6:7], vcc, s[6:7]
	s_waitcnt vmcnt(0) lgkmcnt(0)
	v_fmac_f32_e32 v72, v75, v76
	s_andn2_b64 exec, exec, s[6:7]
	s_cbranch_execnz .LBB30_173
; %bb.174:
	s_or_b64 exec, exec, s[6:7]
.LBB30_175:
	s_or_b64 exec, exec, s[12:13]
	v_mov_b32_e32 v73, 0
	ds_read_b32 v73, v73 offset:48
	s_waitcnt lgkmcnt(0)
	v_mul_f32_e32 v72, v72, v73
	buffer_store_dword v72, off, s[0:3], 0 offset:48
.LBB30_176:
	s_or_b64 exec, exec, s[8:9]
	buffer_load_dword v72, off, s[0:3], 0 offset:44
	v_cmp_lt_u32_e64 s[6:7], 11, v0
	s_waitcnt vmcnt(0)
	ds_write_b32 v64, v72
	s_waitcnt lgkmcnt(0)
	; wave barrier
	s_waitcnt lgkmcnt(0)
	s_and_saveexec_b64 s[8:9], s[6:7]
	s_cbranch_execz .LBB30_186
; %bb.177:
	s_andn2_b64 vcc, exec, s[10:11]
	s_cbranch_vccnz .LBB30_179
; %bb.178:
	buffer_load_dword v72, v65, s[0:3], 0 offen
	ds_read_b32 v73, v64
	s_waitcnt vmcnt(0) lgkmcnt(0)
	v_mul_f32_e32 v72, v72, v73
	s_cbranch_execz .LBB30_180
	s_branch .LBB30_181
.LBB30_179:
                                        ; implicit-def: $vgpr72
.LBB30_180:
	ds_read_b32 v72, v64
.LBB30_181:
	s_and_saveexec_b64 s[12:13], s[4:5]
	s_cbranch_execz .LBB30_185
; %bb.182:
	v_add_u32_e32 v73, -12, v0
	s_movk_i32 s14, 0xb0
	s_mov_b64 s[4:5], 0
.LBB30_183:                             ; =>This Inner Loop Header: Depth=1
	buffer_load_dword v74, v71, s[0:3], 0 offen
	v_mov_b32_e32 v75, s14
	ds_read_b32 v75, v75
	v_add_u32_e32 v73, -1, v73
	s_add_i32 s14, s14, 4
	v_cmp_eq_u32_e32 vcc, 0, v73
	v_add_u32_e32 v71, 4, v71
	s_or_b64 s[4:5], vcc, s[4:5]
	s_waitcnt vmcnt(0) lgkmcnt(0)
	v_fmac_f32_e32 v72, v74, v75
	s_andn2_b64 exec, exec, s[4:5]
	s_cbranch_execnz .LBB30_183
; %bb.184:
	s_or_b64 exec, exec, s[4:5]
.LBB30_185:
	s_or_b64 exec, exec, s[12:13]
	v_mov_b32_e32 v71, 0
	ds_read_b32 v71, v71 offset:44
	s_waitcnt lgkmcnt(0)
	v_mul_f32_e32 v71, v72, v71
	buffer_store_dword v71, off, s[0:3], 0 offset:44
.LBB30_186:
	s_or_b64 exec, exec, s[8:9]
	buffer_load_dword v71, off, s[0:3], 0 offset:40
	v_cmp_lt_u32_e64 s[4:5], 10, v0
	s_waitcnt vmcnt(0)
	ds_write_b32 v64, v71
	s_waitcnt lgkmcnt(0)
	; wave barrier
	s_waitcnt lgkmcnt(0)
	s_and_saveexec_b64 s[8:9], s[4:5]
	s_cbranch_execz .LBB30_196
; %bb.187:
	s_andn2_b64 vcc, exec, s[10:11]
	s_cbranch_vccnz .LBB30_189
; %bb.188:
	buffer_load_dword v71, v65, s[0:3], 0 offen
	ds_read_b32 v72, v64
	s_waitcnt vmcnt(0) lgkmcnt(0)
	v_mul_f32_e32 v71, v71, v72
	s_cbranch_execz .LBB30_190
	s_branch .LBB30_191
.LBB30_189:
                                        ; implicit-def: $vgpr71
.LBB30_190:
	ds_read_b32 v71, v64
.LBB30_191:
	s_and_saveexec_b64 s[12:13], s[6:7]
	s_cbranch_execz .LBB30_195
; %bb.192:
	v_mov_b32_e32 v72, 0
	v_add_u32_e32 v72, 44, v72
	v_add_u32_e32 v73, -11, v0
	s_movk_i32 s14, 0xac
	s_mov_b64 s[6:7], 0
.LBB30_193:                             ; =>This Inner Loop Header: Depth=1
	buffer_load_dword v74, v72, s[0:3], 0 offen
	v_mov_b32_e32 v75, s14
	ds_read_b32 v75, v75
	v_add_u32_e32 v73, -1, v73
	s_add_i32 s14, s14, 4
	v_cmp_eq_u32_e32 vcc, 0, v73
	v_add_u32_e32 v72, 4, v72
	s_or_b64 s[6:7], vcc, s[6:7]
	s_waitcnt vmcnt(0) lgkmcnt(0)
	v_fmac_f32_e32 v71, v74, v75
	s_andn2_b64 exec, exec, s[6:7]
	s_cbranch_execnz .LBB30_193
; %bb.194:
	s_or_b64 exec, exec, s[6:7]
.LBB30_195:
	s_or_b64 exec, exec, s[12:13]
	v_mov_b32_e32 v72, 0
	ds_read_b32 v72, v72 offset:40
	s_waitcnt lgkmcnt(0)
	v_mul_f32_e32 v71, v71, v72
	buffer_store_dword v71, off, s[0:3], 0 offset:40
.LBB30_196:
	s_or_b64 exec, exec, s[8:9]
	buffer_load_dword v71, off, s[0:3], 0 offset:36
	v_cmp_lt_u32_e64 s[6:7], 9, v0
	s_waitcnt vmcnt(0)
	ds_write_b32 v64, v71
	s_waitcnt lgkmcnt(0)
	; wave barrier
	s_waitcnt lgkmcnt(0)
	s_and_saveexec_b64 s[8:9], s[6:7]
	s_cbranch_execz .LBB30_206
; %bb.197:
	s_andn2_b64 vcc, exec, s[10:11]
	s_cbranch_vccnz .LBB30_199
; %bb.198:
	buffer_load_dword v71, v65, s[0:3], 0 offen
	ds_read_b32 v72, v64
	s_waitcnt vmcnt(0) lgkmcnt(0)
	v_mul_f32_e32 v71, v71, v72
	s_cbranch_execz .LBB30_200
	s_branch .LBB30_201
.LBB30_199:
                                        ; implicit-def: $vgpr71
.LBB30_200:
	ds_read_b32 v71, v64
.LBB30_201:
	s_and_saveexec_b64 s[12:13], s[4:5]
	s_cbranch_execz .LBB30_205
; %bb.202:
	v_add_u32_e32 v72, -10, v0
	s_movk_i32 s14, 0xa8
	s_mov_b64 s[4:5], 0
.LBB30_203:                             ; =>This Inner Loop Header: Depth=1
	buffer_load_dword v73, v70, s[0:3], 0 offen
	v_mov_b32_e32 v74, s14
	ds_read_b32 v74, v74
	v_add_u32_e32 v72, -1, v72
	s_add_i32 s14, s14, 4
	v_cmp_eq_u32_e32 vcc, 0, v72
	v_add_u32_e32 v70, 4, v70
	s_or_b64 s[4:5], vcc, s[4:5]
	s_waitcnt vmcnt(0) lgkmcnt(0)
	v_fmac_f32_e32 v71, v73, v74
	s_andn2_b64 exec, exec, s[4:5]
	s_cbranch_execnz .LBB30_203
; %bb.204:
	s_or_b64 exec, exec, s[4:5]
.LBB30_205:
	s_or_b64 exec, exec, s[12:13]
	v_mov_b32_e32 v70, 0
	ds_read_b32 v70, v70 offset:36
	s_waitcnt lgkmcnt(0)
	v_mul_f32_e32 v70, v71, v70
	buffer_store_dword v70, off, s[0:3], 0 offset:36
.LBB30_206:
	s_or_b64 exec, exec, s[8:9]
	buffer_load_dword v70, off, s[0:3], 0 offset:32
	v_cmp_lt_u32_e64 s[4:5], 8, v0
	s_waitcnt vmcnt(0)
	ds_write_b32 v64, v70
	s_waitcnt lgkmcnt(0)
	; wave barrier
	s_waitcnt lgkmcnt(0)
	s_and_saveexec_b64 s[8:9], s[4:5]
	s_cbranch_execz .LBB30_216
; %bb.207:
	s_andn2_b64 vcc, exec, s[10:11]
	s_cbranch_vccnz .LBB30_209
; %bb.208:
	buffer_load_dword v70, v65, s[0:3], 0 offen
	ds_read_b32 v71, v64
	s_waitcnt vmcnt(0) lgkmcnt(0)
	v_mul_f32_e32 v70, v70, v71
	s_cbranch_execz .LBB30_210
	s_branch .LBB30_211
.LBB30_209:
                                        ; implicit-def: $vgpr70
.LBB30_210:
	ds_read_b32 v70, v64
.LBB30_211:
	s_and_saveexec_b64 s[12:13], s[6:7]
	s_cbranch_execz .LBB30_215
; %bb.212:
	v_mov_b32_e32 v71, 0
	v_add_u32_e32 v71, 36, v71
	v_add_u32_e32 v72, -9, v0
	s_movk_i32 s14, 0xa4
	s_mov_b64 s[6:7], 0
.LBB30_213:                             ; =>This Inner Loop Header: Depth=1
	buffer_load_dword v73, v71, s[0:3], 0 offen
	v_mov_b32_e32 v74, s14
	ds_read_b32 v74, v74
	v_add_u32_e32 v72, -1, v72
	s_add_i32 s14, s14, 4
	v_cmp_eq_u32_e32 vcc, 0, v72
	v_add_u32_e32 v71, 4, v71
	s_or_b64 s[6:7], vcc, s[6:7]
	s_waitcnt vmcnt(0) lgkmcnt(0)
	v_fmac_f32_e32 v70, v73, v74
	s_andn2_b64 exec, exec, s[6:7]
	s_cbranch_execnz .LBB30_213
; %bb.214:
	s_or_b64 exec, exec, s[6:7]
.LBB30_215:
	s_or_b64 exec, exec, s[12:13]
	v_mov_b32_e32 v71, 0
	ds_read_b32 v71, v71 offset:32
	s_waitcnt lgkmcnt(0)
	v_mul_f32_e32 v70, v70, v71
	buffer_store_dword v70, off, s[0:3], 0 offset:32
.LBB30_216:
	s_or_b64 exec, exec, s[8:9]
	buffer_load_dword v70, off, s[0:3], 0 offset:28
	v_cmp_lt_u32_e64 s[6:7], 7, v0
	s_waitcnt vmcnt(0)
	ds_write_b32 v64, v70
	s_waitcnt lgkmcnt(0)
	; wave barrier
	s_waitcnt lgkmcnt(0)
	s_and_saveexec_b64 s[8:9], s[6:7]
	s_cbranch_execz .LBB30_226
; %bb.217:
	s_andn2_b64 vcc, exec, s[10:11]
	s_cbranch_vccnz .LBB30_219
; %bb.218:
	buffer_load_dword v70, v65, s[0:3], 0 offen
	ds_read_b32 v71, v64
	s_waitcnt vmcnt(0) lgkmcnt(0)
	v_mul_f32_e32 v70, v70, v71
	s_cbranch_execz .LBB30_220
	s_branch .LBB30_221
.LBB30_219:
                                        ; implicit-def: $vgpr70
.LBB30_220:
	ds_read_b32 v70, v64
.LBB30_221:
	s_and_saveexec_b64 s[12:13], s[4:5]
	s_cbranch_execz .LBB30_225
; %bb.222:
	v_add_u32_e32 v71, -8, v0
	s_movk_i32 s14, 0xa0
	s_mov_b64 s[4:5], 0
.LBB30_223:                             ; =>This Inner Loop Header: Depth=1
	buffer_load_dword v72, v69, s[0:3], 0 offen
	v_mov_b32_e32 v73, s14
	ds_read_b32 v73, v73
	v_add_u32_e32 v71, -1, v71
	s_add_i32 s14, s14, 4
	v_cmp_eq_u32_e32 vcc, 0, v71
	v_add_u32_e32 v69, 4, v69
	s_or_b64 s[4:5], vcc, s[4:5]
	s_waitcnt vmcnt(0) lgkmcnt(0)
	v_fmac_f32_e32 v70, v72, v73
	s_andn2_b64 exec, exec, s[4:5]
	s_cbranch_execnz .LBB30_223
; %bb.224:
	s_or_b64 exec, exec, s[4:5]
.LBB30_225:
	s_or_b64 exec, exec, s[12:13]
	v_mov_b32_e32 v69, 0
	ds_read_b32 v69, v69 offset:28
	s_waitcnt lgkmcnt(0)
	v_mul_f32_e32 v69, v70, v69
	buffer_store_dword v69, off, s[0:3], 0 offset:28
.LBB30_226:
	s_or_b64 exec, exec, s[8:9]
	buffer_load_dword v69, off, s[0:3], 0 offset:24
	v_cmp_lt_u32_e64 s[4:5], 6, v0
	s_waitcnt vmcnt(0)
	ds_write_b32 v64, v69
	s_waitcnt lgkmcnt(0)
	; wave barrier
	s_waitcnt lgkmcnt(0)
	s_and_saveexec_b64 s[8:9], s[4:5]
	s_cbranch_execz .LBB30_236
; %bb.227:
	s_andn2_b64 vcc, exec, s[10:11]
	s_cbranch_vccnz .LBB30_229
; %bb.228:
	buffer_load_dword v69, v65, s[0:3], 0 offen
	ds_read_b32 v70, v64
	s_waitcnt vmcnt(0) lgkmcnt(0)
	v_mul_f32_e32 v69, v69, v70
	s_cbranch_execz .LBB30_230
	s_branch .LBB30_231
.LBB30_229:
                                        ; implicit-def: $vgpr69
.LBB30_230:
	ds_read_b32 v69, v64
.LBB30_231:
	s_and_saveexec_b64 s[12:13], s[6:7]
	s_cbranch_execz .LBB30_235
; %bb.232:
	v_mov_b32_e32 v70, 0
	v_add_u32_e32 v70, 28, v70
	v_add_u32_e32 v71, -7, v0
	s_movk_i32 s14, 0x9c
	s_mov_b64 s[6:7], 0
.LBB30_233:                             ; =>This Inner Loop Header: Depth=1
	buffer_load_dword v72, v70, s[0:3], 0 offen
	v_mov_b32_e32 v73, s14
	ds_read_b32 v73, v73
	v_add_u32_e32 v71, -1, v71
	s_add_i32 s14, s14, 4
	v_cmp_eq_u32_e32 vcc, 0, v71
	v_add_u32_e32 v70, 4, v70
	s_or_b64 s[6:7], vcc, s[6:7]
	s_waitcnt vmcnt(0) lgkmcnt(0)
	v_fmac_f32_e32 v69, v72, v73
	s_andn2_b64 exec, exec, s[6:7]
	s_cbranch_execnz .LBB30_233
; %bb.234:
	s_or_b64 exec, exec, s[6:7]
.LBB30_235:
	s_or_b64 exec, exec, s[12:13]
	v_mov_b32_e32 v70, 0
	ds_read_b32 v70, v70 offset:24
	s_waitcnt lgkmcnt(0)
	v_mul_f32_e32 v69, v69, v70
	buffer_store_dword v69, off, s[0:3], 0 offset:24
.LBB30_236:
	s_or_b64 exec, exec, s[8:9]
	buffer_load_dword v69, off, s[0:3], 0 offset:20
	v_cmp_lt_u32_e64 s[6:7], 5, v0
	s_waitcnt vmcnt(0)
	ds_write_b32 v64, v69
	s_waitcnt lgkmcnt(0)
	; wave barrier
	s_waitcnt lgkmcnt(0)
	s_and_saveexec_b64 s[8:9], s[6:7]
	s_cbranch_execz .LBB30_246
; %bb.237:
	s_andn2_b64 vcc, exec, s[10:11]
	s_cbranch_vccnz .LBB30_239
; %bb.238:
	buffer_load_dword v69, v65, s[0:3], 0 offen
	ds_read_b32 v70, v64
	s_waitcnt vmcnt(0) lgkmcnt(0)
	v_mul_f32_e32 v69, v69, v70
	s_cbranch_execz .LBB30_240
	s_branch .LBB30_241
.LBB30_239:
                                        ; implicit-def: $vgpr69
.LBB30_240:
	ds_read_b32 v69, v64
.LBB30_241:
	s_and_saveexec_b64 s[12:13], s[4:5]
	s_cbranch_execz .LBB30_245
; %bb.242:
	v_add_u32_e32 v70, -6, v0
	s_movk_i32 s14, 0x98
	s_mov_b64 s[4:5], 0
.LBB30_243:                             ; =>This Inner Loop Header: Depth=1
	buffer_load_dword v71, v68, s[0:3], 0 offen
	v_mov_b32_e32 v72, s14
	ds_read_b32 v72, v72
	v_add_u32_e32 v70, -1, v70
	s_add_i32 s14, s14, 4
	v_cmp_eq_u32_e32 vcc, 0, v70
	v_add_u32_e32 v68, 4, v68
	s_or_b64 s[4:5], vcc, s[4:5]
	s_waitcnt vmcnt(0) lgkmcnt(0)
	v_fmac_f32_e32 v69, v71, v72
	s_andn2_b64 exec, exec, s[4:5]
	s_cbranch_execnz .LBB30_243
; %bb.244:
	s_or_b64 exec, exec, s[4:5]
.LBB30_245:
	s_or_b64 exec, exec, s[12:13]
	v_mov_b32_e32 v68, 0
	ds_read_b32 v68, v68 offset:20
	s_waitcnt lgkmcnt(0)
	v_mul_f32_e32 v68, v69, v68
	buffer_store_dword v68, off, s[0:3], 0 offset:20
.LBB30_246:
	s_or_b64 exec, exec, s[8:9]
	buffer_load_dword v68, off, s[0:3], 0 offset:16
	v_cmp_lt_u32_e64 s[4:5], 4, v0
	s_waitcnt vmcnt(0)
	ds_write_b32 v64, v68
	s_waitcnt lgkmcnt(0)
	; wave barrier
	s_waitcnt lgkmcnt(0)
	s_and_saveexec_b64 s[8:9], s[4:5]
	s_cbranch_execz .LBB30_256
; %bb.247:
	s_andn2_b64 vcc, exec, s[10:11]
	s_cbranch_vccnz .LBB30_249
; %bb.248:
	buffer_load_dword v68, v65, s[0:3], 0 offen
	ds_read_b32 v69, v64
	s_waitcnt vmcnt(0) lgkmcnt(0)
	v_mul_f32_e32 v68, v68, v69
	s_cbranch_execz .LBB30_250
	s_branch .LBB30_251
.LBB30_249:
                                        ; implicit-def: $vgpr68
.LBB30_250:
	ds_read_b32 v68, v64
.LBB30_251:
	s_and_saveexec_b64 s[12:13], s[6:7]
	s_cbranch_execz .LBB30_255
; %bb.252:
	v_mov_b32_e32 v69, 0
	v_add_u32_e32 v69, 20, v69
	v_add_u32_e32 v70, -5, v0
	s_movk_i32 s14, 0x94
	s_mov_b64 s[6:7], 0
.LBB30_253:                             ; =>This Inner Loop Header: Depth=1
	buffer_load_dword v71, v69, s[0:3], 0 offen
	v_mov_b32_e32 v72, s14
	ds_read_b32 v72, v72
	v_add_u32_e32 v70, -1, v70
	s_add_i32 s14, s14, 4
	v_cmp_eq_u32_e32 vcc, 0, v70
	v_add_u32_e32 v69, 4, v69
	s_or_b64 s[6:7], vcc, s[6:7]
	s_waitcnt vmcnt(0) lgkmcnt(0)
	v_fmac_f32_e32 v68, v71, v72
	s_andn2_b64 exec, exec, s[6:7]
	s_cbranch_execnz .LBB30_253
; %bb.254:
	s_or_b64 exec, exec, s[6:7]
.LBB30_255:
	s_or_b64 exec, exec, s[12:13]
	v_mov_b32_e32 v69, 0
	ds_read_b32 v69, v69 offset:16
	s_waitcnt lgkmcnt(0)
	v_mul_f32_e32 v68, v68, v69
	buffer_store_dword v68, off, s[0:3], 0 offset:16
.LBB30_256:
	s_or_b64 exec, exec, s[8:9]
	buffer_load_dword v68, off, s[0:3], 0 offset:12
	v_cmp_lt_u32_e64 s[6:7], 3, v0
	s_waitcnt vmcnt(0)
	ds_write_b32 v64, v68
	s_waitcnt lgkmcnt(0)
	; wave barrier
	s_waitcnt lgkmcnt(0)
	s_and_saveexec_b64 s[8:9], s[6:7]
	s_cbranch_execz .LBB30_266
; %bb.257:
	s_andn2_b64 vcc, exec, s[10:11]
	s_cbranch_vccnz .LBB30_259
; %bb.258:
	buffer_load_dword v68, v65, s[0:3], 0 offen
	ds_read_b32 v69, v64
	s_waitcnt vmcnt(0) lgkmcnt(0)
	v_mul_f32_e32 v68, v68, v69
	s_cbranch_execz .LBB30_260
	s_branch .LBB30_261
.LBB30_259:
                                        ; implicit-def: $vgpr68
.LBB30_260:
	ds_read_b32 v68, v64
.LBB30_261:
	s_and_saveexec_b64 s[12:13], s[4:5]
	s_cbranch_execz .LBB30_265
; %bb.262:
	v_add_u32_e32 v69, -4, v0
	s_movk_i32 s14, 0x90
	s_mov_b64 s[4:5], 0
.LBB30_263:                             ; =>This Inner Loop Header: Depth=1
	buffer_load_dword v70, v67, s[0:3], 0 offen
	v_mov_b32_e32 v71, s14
	ds_read_b32 v71, v71
	v_add_u32_e32 v69, -1, v69
	s_add_i32 s14, s14, 4
	v_cmp_eq_u32_e32 vcc, 0, v69
	v_add_u32_e32 v67, 4, v67
	s_or_b64 s[4:5], vcc, s[4:5]
	s_waitcnt vmcnt(0) lgkmcnt(0)
	v_fmac_f32_e32 v68, v70, v71
	s_andn2_b64 exec, exec, s[4:5]
	s_cbranch_execnz .LBB30_263
; %bb.264:
	s_or_b64 exec, exec, s[4:5]
.LBB30_265:
	s_or_b64 exec, exec, s[12:13]
	v_mov_b32_e32 v67, 0
	ds_read_b32 v67, v67 offset:12
	s_waitcnt lgkmcnt(0)
	v_mul_f32_e32 v67, v68, v67
	buffer_store_dword v67, off, s[0:3], 0 offset:12
.LBB30_266:
	s_or_b64 exec, exec, s[8:9]
	buffer_load_dword v67, off, s[0:3], 0 offset:8
	v_cmp_lt_u32_e64 s[4:5], 2, v0
	s_waitcnt vmcnt(0)
	ds_write_b32 v64, v67
	s_waitcnt lgkmcnt(0)
	; wave barrier
	s_waitcnt lgkmcnt(0)
	s_and_saveexec_b64 s[8:9], s[4:5]
	s_cbranch_execz .LBB30_276
; %bb.267:
	s_andn2_b64 vcc, exec, s[10:11]
	s_cbranch_vccnz .LBB30_269
; %bb.268:
	buffer_load_dword v67, v65, s[0:3], 0 offen
	ds_read_b32 v68, v64
	s_waitcnt vmcnt(0) lgkmcnt(0)
	v_mul_f32_e32 v67, v67, v68
	s_cbranch_execz .LBB30_270
	s_branch .LBB30_271
.LBB30_269:
                                        ; implicit-def: $vgpr67
.LBB30_270:
	ds_read_b32 v67, v64
.LBB30_271:
	s_and_saveexec_b64 s[12:13], s[6:7]
	s_cbranch_execz .LBB30_275
; %bb.272:
	v_mov_b32_e32 v68, 0
	v_or_b32_e32 v68, 12, v68
	v_add_u32_e32 v69, -3, v0
	s_movk_i32 s14, 0x8c
	s_mov_b64 s[6:7], 0
.LBB30_273:                             ; =>This Inner Loop Header: Depth=1
	buffer_load_dword v70, v68, s[0:3], 0 offen
	v_mov_b32_e32 v71, s14
	ds_read_b32 v71, v71
	v_add_u32_e32 v69, -1, v69
	s_add_i32 s14, s14, 4
	v_cmp_eq_u32_e32 vcc, 0, v69
	v_add_u32_e32 v68, 4, v68
	s_or_b64 s[6:7], vcc, s[6:7]
	s_waitcnt vmcnt(0) lgkmcnt(0)
	v_fmac_f32_e32 v67, v70, v71
	s_andn2_b64 exec, exec, s[6:7]
	s_cbranch_execnz .LBB30_273
; %bb.274:
	s_or_b64 exec, exec, s[6:7]
.LBB30_275:
	s_or_b64 exec, exec, s[12:13]
	v_mov_b32_e32 v68, 0
	ds_read_b32 v68, v68 offset:8
	s_waitcnt lgkmcnt(0)
	v_mul_f32_e32 v67, v67, v68
	buffer_store_dword v67, off, s[0:3], 0 offset:8
.LBB30_276:
	s_or_b64 exec, exec, s[8:9]
	buffer_load_dword v67, off, s[0:3], 0 offset:4
	v_cmp_lt_u32_e64 s[6:7], 1, v0
	s_waitcnt vmcnt(0)
	ds_write_b32 v64, v67
	s_waitcnt lgkmcnt(0)
	; wave barrier
	s_waitcnt lgkmcnt(0)
	s_and_saveexec_b64 s[8:9], s[6:7]
	s_cbranch_execz .LBB30_286
; %bb.277:
	s_andn2_b64 vcc, exec, s[10:11]
	s_cbranch_vccnz .LBB30_279
; %bb.278:
	buffer_load_dword v67, v65, s[0:3], 0 offen
	ds_read_b32 v68, v64
	s_waitcnt vmcnt(0) lgkmcnt(0)
	v_mul_f32_e32 v67, v67, v68
	s_cbranch_execz .LBB30_280
	s_branch .LBB30_281
.LBB30_279:
                                        ; implicit-def: $vgpr67
.LBB30_280:
	ds_read_b32 v67, v64
.LBB30_281:
	s_and_saveexec_b64 s[12:13], s[4:5]
	s_cbranch_execz .LBB30_285
; %bb.282:
	v_add_u32_e32 v68, -2, v0
	s_movk_i32 s14, 0x88
	s_mov_b64 s[4:5], 0
.LBB30_283:                             ; =>This Inner Loop Header: Depth=1
	buffer_load_dword v69, v66, s[0:3], 0 offen
	v_mov_b32_e32 v70, s14
	ds_read_b32 v70, v70
	v_add_u32_e32 v68, -1, v68
	s_add_i32 s14, s14, 4
	v_cmp_eq_u32_e32 vcc, 0, v68
	v_add_u32_e32 v66, 4, v66
	s_or_b64 s[4:5], vcc, s[4:5]
	s_waitcnt vmcnt(0) lgkmcnt(0)
	v_fmac_f32_e32 v67, v69, v70
	s_andn2_b64 exec, exec, s[4:5]
	s_cbranch_execnz .LBB30_283
; %bb.284:
	s_or_b64 exec, exec, s[4:5]
.LBB30_285:
	s_or_b64 exec, exec, s[12:13]
	v_mov_b32_e32 v66, 0
	ds_read_b32 v66, v66 offset:4
	s_waitcnt lgkmcnt(0)
	v_mul_f32_e32 v66, v67, v66
	buffer_store_dword v66, off, s[0:3], 0 offset:4
.LBB30_286:
	s_or_b64 exec, exec, s[8:9]
	buffer_load_dword v66, off, s[0:3], 0
	v_cmp_ne_u32_e32 vcc, 0, v0
	s_waitcnt vmcnt(0)
	ds_write_b32 v64, v66
	s_waitcnt lgkmcnt(0)
	; wave barrier
	s_waitcnt lgkmcnt(0)
	s_and_saveexec_b64 s[4:5], vcc
	s_cbranch_execz .LBB30_296
; %bb.287:
	s_andn2_b64 vcc, exec, s[10:11]
	s_cbranch_vccnz .LBB30_289
; %bb.288:
	buffer_load_dword v66, v65, s[0:3], 0 offen
	ds_read_b32 v67, v64
	s_waitcnt vmcnt(0) lgkmcnt(0)
	v_mul_f32_e32 v66, v66, v67
	s_cbranch_execz .LBB30_290
	s_branch .LBB30_291
.LBB30_289:
                                        ; implicit-def: $vgpr66
.LBB30_290:
	ds_read_b32 v66, v64
.LBB30_291:
	s_and_saveexec_b64 s[8:9], s[6:7]
	s_cbranch_execz .LBB30_295
; %bb.292:
	v_mov_b32_e32 v67, 0
	v_or_b32_e32 v67, 4, v67
	v_add_u32_e32 v68, -1, v0
	s_movk_i32 s12, 0x84
	s_mov_b64 s[6:7], 0
.LBB30_293:                             ; =>This Inner Loop Header: Depth=1
	buffer_load_dword v69, v67, s[0:3], 0 offen
	v_mov_b32_e32 v70, s12
	ds_read_b32 v70, v70
	v_add_u32_e32 v68, -1, v68
	s_add_i32 s12, s12, 4
	v_cmp_eq_u32_e32 vcc, 0, v68
	v_add_u32_e32 v67, 4, v67
	s_or_b64 s[6:7], vcc, s[6:7]
	s_waitcnt vmcnt(0) lgkmcnt(0)
	v_fmac_f32_e32 v66, v69, v70
	s_andn2_b64 exec, exec, s[6:7]
	s_cbranch_execnz .LBB30_293
; %bb.294:
	s_or_b64 exec, exec, s[6:7]
.LBB30_295:
	s_or_b64 exec, exec, s[8:9]
	v_mov_b32_e32 v67, 0
	ds_read_b32 v67, v67
	s_waitcnt lgkmcnt(0)
	v_mul_f32_e32 v66, v66, v67
	buffer_store_dword v66, off, s[0:3], 0
.LBB30_296:
	s_or_b64 exec, exec, s[4:5]
	s_mov_b64 s[4:5], 0
.LBB30_297:
	s_and_b64 vcc, exec, s[4:5]
	s_cbranch_vccz .LBB30_591
; %bb.298:
	buffer_load_dword v66, off, s[0:3], 0 offset:4
	v_cmp_eq_u32_e64 s[6:7], 0, v0
	s_waitcnt vmcnt(0)
	ds_write_b32 v64, v66
	s_waitcnt lgkmcnt(0)
	; wave barrier
	s_waitcnt lgkmcnt(0)
	s_and_saveexec_b64 s[4:5], s[6:7]
	s_cbranch_execz .LBB30_304
; %bb.299:
	s_and_b64 vcc, exec, s[10:11]
	s_cbranch_vccz .LBB30_301
; %bb.300:
	buffer_load_dword v66, v65, s[0:3], 0 offen
	ds_read_b32 v67, v64
	s_waitcnt vmcnt(0) lgkmcnt(0)
	v_mul_f32_e32 v66, v66, v67
	s_cbranch_execz .LBB30_302
	s_branch .LBB30_303
.LBB30_301:
                                        ; implicit-def: $vgpr66
.LBB30_302:
	ds_read_b32 v66, v64
.LBB30_303:
	v_mov_b32_e32 v67, 0
	ds_read_b32 v67, v67 offset:4
	s_waitcnt lgkmcnt(0)
	v_mul_f32_e32 v66, v66, v67
	buffer_store_dword v66, off, s[0:3], 0 offset:4
.LBB30_304:
	s_or_b64 exec, exec, s[4:5]
	buffer_load_dword v66, off, s[0:3], 0 offset:8
	v_cndmask_b32_e64 v67, 0, 1, s[10:11]
	v_cmp_gt_u32_e32 vcc, 2, v0
	v_cmp_ne_u32_e64 s[4:5], 1, v67
	s_waitcnt vmcnt(0)
	ds_write_b32 v64, v66
	s_waitcnt lgkmcnt(0)
	; wave barrier
	s_waitcnt lgkmcnt(0)
	s_and_saveexec_b64 s[8:9], vcc
	s_cbranch_execz .LBB30_312
; %bb.305:
	s_and_b64 vcc, exec, s[4:5]
	s_cbranch_vccnz .LBB30_307
; %bb.306:
	buffer_load_dword v66, v65, s[0:3], 0 offen
	ds_read_b32 v67, v64
	s_waitcnt vmcnt(0) lgkmcnt(0)
	v_mul_f32_e32 v66, v66, v67
	s_cbranch_execz .LBB30_308
	s_branch .LBB30_309
.LBB30_307:
                                        ; implicit-def: $vgpr66
.LBB30_308:
	ds_read_b32 v66, v64
.LBB30_309:
	s_and_saveexec_b64 s[10:11], s[6:7]
	s_cbranch_execz .LBB30_311
; %bb.310:
	buffer_load_dword v67, v65, s[0:3], 0 offen offset:4
	ds_read_b32 v68, v64 offset:4
	s_waitcnt vmcnt(0) lgkmcnt(0)
	v_fmac_f32_e32 v66, v67, v68
.LBB30_311:
	s_or_b64 exec, exec, s[10:11]
	v_mov_b32_e32 v67, 0
	ds_read_b32 v67, v67 offset:8
	s_waitcnt lgkmcnt(0)
	v_mul_f32_e32 v66, v66, v67
	buffer_store_dword v66, off, s[0:3], 0 offset:8
.LBB30_312:
	s_or_b64 exec, exec, s[8:9]
	buffer_load_dword v66, off, s[0:3], 0 offset:12
	v_cmp_gt_u32_e32 vcc, 3, v0
	s_waitcnt vmcnt(0)
	ds_write_b32 v64, v66
	s_waitcnt lgkmcnt(0)
	; wave barrier
	s_waitcnt lgkmcnt(0)
	s_and_saveexec_b64 s[8:9], vcc
	s_cbranch_execz .LBB30_320
; %bb.313:
	s_and_b64 vcc, exec, s[4:5]
	s_cbranch_vccnz .LBB30_315
; %bb.314:
	buffer_load_dword v66, v65, s[0:3], 0 offen
	ds_read_b32 v67, v64
	s_waitcnt vmcnt(0) lgkmcnt(0)
	v_mul_f32_e32 v66, v66, v67
	s_cbranch_execz .LBB30_316
	s_branch .LBB30_317
.LBB30_315:
                                        ; implicit-def: $vgpr66
.LBB30_316:
	ds_read_b32 v66, v64
.LBB30_317:
	v_cmp_ne_u32_e32 vcc, 2, v0
	s_and_saveexec_b64 s[10:11], vcc
	s_cbranch_execz .LBB30_319
; %bb.318:
	buffer_load_dword v67, v65, s[0:3], 0 offen offset:4
	buffer_load_dword v68, off, s[0:3], 0 offset:8
	v_mov_b32_e32 v69, 0
	ds_read_b32 v70, v64 offset:4
	ds_read_b32 v69, v69 offset:136
	s_waitcnt vmcnt(1) lgkmcnt(1)
	v_fmac_f32_e32 v66, v67, v70
	s_waitcnt vmcnt(0) lgkmcnt(0)
	v_fma_f32 v67, v68, v69, v66
	v_cndmask_b32_e64 v66, v66, v67, s[6:7]
.LBB30_319:
	s_or_b64 exec, exec, s[10:11]
	v_mov_b32_e32 v67, 0
	ds_read_b32 v67, v67 offset:12
	s_waitcnt lgkmcnt(0)
	v_mul_f32_e32 v66, v66, v67
	buffer_store_dword v66, off, s[0:3], 0 offset:12
.LBB30_320:
	s_or_b64 exec, exec, s[8:9]
	buffer_load_dword v66, off, s[0:3], 0 offset:16
	v_cmp_gt_u32_e32 vcc, 4, v0
	s_waitcnt vmcnt(0)
	ds_write_b32 v64, v66
	s_waitcnt lgkmcnt(0)
	; wave barrier
	s_waitcnt lgkmcnt(0)
	s_and_saveexec_b64 s[6:7], vcc
	s_cbranch_execz .LBB30_330
; %bb.321:
	s_and_b64 vcc, exec, s[4:5]
	s_cbranch_vccnz .LBB30_323
; %bb.322:
	buffer_load_dword v66, v65, s[0:3], 0 offen
	ds_read_b32 v67, v64
	s_waitcnt vmcnt(0) lgkmcnt(0)
	v_mul_f32_e32 v66, v66, v67
	s_cbranch_execz .LBB30_324
	s_branch .LBB30_325
.LBB30_323:
                                        ; implicit-def: $vgpr66
.LBB30_324:
	ds_read_b32 v66, v64
.LBB30_325:
	v_cmp_ne_u32_e32 vcc, 3, v0
	s_and_saveexec_b64 s[8:9], vcc
	s_cbranch_execz .LBB30_329
; %bb.326:
	v_mov_b32_e32 v68, 0
	v_add_u32_e32 v67, 0x84, v1
	v_add3_u32 v68, v1, v68, 4
	s_mov_b64 s[10:11], 0
	v_mov_b32_e32 v69, v0
.LBB30_327:                             ; =>This Inner Loop Header: Depth=1
	buffer_load_dword v70, v68, s[0:3], 0 offen
	ds_read_b32 v71, v67
	v_add_u32_e32 v69, 1, v69
	v_cmp_lt_u32_e32 vcc, 2, v69
	v_add_u32_e32 v67, 4, v67
	v_add_u32_e32 v68, 4, v68
	s_or_b64 s[10:11], vcc, s[10:11]
	s_waitcnt vmcnt(0) lgkmcnt(0)
	v_fmac_f32_e32 v66, v70, v71
	s_andn2_b64 exec, exec, s[10:11]
	s_cbranch_execnz .LBB30_327
; %bb.328:
	s_or_b64 exec, exec, s[10:11]
.LBB30_329:
	s_or_b64 exec, exec, s[8:9]
	v_mov_b32_e32 v67, 0
	ds_read_b32 v67, v67 offset:16
	s_waitcnt lgkmcnt(0)
	v_mul_f32_e32 v66, v66, v67
	buffer_store_dword v66, off, s[0:3], 0 offset:16
.LBB30_330:
	s_or_b64 exec, exec, s[6:7]
	buffer_load_dword v66, off, s[0:3], 0 offset:20
	v_cmp_gt_u32_e32 vcc, 5, v0
	s_waitcnt vmcnt(0)
	ds_write_b32 v64, v66
	s_waitcnt lgkmcnt(0)
	; wave barrier
	s_waitcnt lgkmcnt(0)
	s_and_saveexec_b64 s[6:7], vcc
	s_cbranch_execz .LBB30_340
; %bb.331:
	s_and_b64 vcc, exec, s[4:5]
	s_cbranch_vccnz .LBB30_333
; %bb.332:
	buffer_load_dword v66, v65, s[0:3], 0 offen
	ds_read_b32 v67, v64
	s_waitcnt vmcnt(0) lgkmcnt(0)
	v_mul_f32_e32 v66, v66, v67
	s_cbranch_execz .LBB30_334
	s_branch .LBB30_335
.LBB30_333:
                                        ; implicit-def: $vgpr66
.LBB30_334:
	ds_read_b32 v66, v64
.LBB30_335:
	v_cmp_ne_u32_e32 vcc, 4, v0
	s_and_saveexec_b64 s[8:9], vcc
	s_cbranch_execz .LBB30_339
; %bb.336:
	v_mov_b32_e32 v68, 0
	v_add_u32_e32 v67, 0x84, v1
	v_add3_u32 v68, v1, v68, 4
	s_mov_b64 s[10:11], 0
	v_mov_b32_e32 v69, v0
.LBB30_337:                             ; =>This Inner Loop Header: Depth=1
	buffer_load_dword v70, v68, s[0:3], 0 offen
	ds_read_b32 v71, v67
	v_add_u32_e32 v69, 1, v69
	v_cmp_lt_u32_e32 vcc, 3, v69
	v_add_u32_e32 v67, 4, v67
	v_add_u32_e32 v68, 4, v68
	s_or_b64 s[10:11], vcc, s[10:11]
	s_waitcnt vmcnt(0) lgkmcnt(0)
	v_fmac_f32_e32 v66, v70, v71
	s_andn2_b64 exec, exec, s[10:11]
	s_cbranch_execnz .LBB30_337
; %bb.338:
	s_or_b64 exec, exec, s[10:11]
.LBB30_339:
	s_or_b64 exec, exec, s[8:9]
	v_mov_b32_e32 v67, 0
	ds_read_b32 v67, v67 offset:20
	s_waitcnt lgkmcnt(0)
	v_mul_f32_e32 v66, v66, v67
	buffer_store_dword v66, off, s[0:3], 0 offset:20
.LBB30_340:
	;; [unrolled: 56-line block ×25, first 2 shown]
	s_or_b64 exec, exec, s[6:7]
	buffer_load_dword v66, off, s[0:3], 0 offset:116
	v_cmp_gt_u32_e64 s[6:7], 29, v0
	s_waitcnt vmcnt(0)
	ds_write_b32 v64, v66
	s_waitcnt lgkmcnt(0)
	; wave barrier
	s_waitcnt lgkmcnt(0)
	s_and_saveexec_b64 s[8:9], s[6:7]
	s_cbranch_execz .LBB30_580
; %bb.571:
	s_and_b64 vcc, exec, s[4:5]
	s_cbranch_vccnz .LBB30_573
; %bb.572:
	buffer_load_dword v66, v65, s[0:3], 0 offen
	ds_read_b32 v67, v64
	s_waitcnt vmcnt(0) lgkmcnt(0)
	v_mul_f32_e32 v66, v66, v67
	s_cbranch_execz .LBB30_574
	s_branch .LBB30_575
.LBB30_573:
                                        ; implicit-def: $vgpr66
.LBB30_574:
	ds_read_b32 v66, v64
.LBB30_575:
	v_cmp_ne_u32_e32 vcc, 28, v0
	s_and_saveexec_b64 s[10:11], vcc
	s_cbranch_execz .LBB30_579
; %bb.576:
	v_mov_b32_e32 v68, 0
	v_add_u32_e32 v67, 0x84, v1
	v_add3_u32 v68, v1, v68, 4
	s_mov_b64 s[12:13], 0
	v_mov_b32_e32 v69, v0
.LBB30_577:                             ; =>This Inner Loop Header: Depth=1
	buffer_load_dword v70, v68, s[0:3], 0 offen
	ds_read_b32 v71, v67
	v_add_u32_e32 v69, 1, v69
	v_cmp_lt_u32_e32 vcc, 27, v69
	v_add_u32_e32 v67, 4, v67
	v_add_u32_e32 v68, 4, v68
	s_or_b64 s[12:13], vcc, s[12:13]
	s_waitcnt vmcnt(0) lgkmcnt(0)
	v_fmac_f32_e32 v66, v70, v71
	s_andn2_b64 exec, exec, s[12:13]
	s_cbranch_execnz .LBB30_577
; %bb.578:
	s_or_b64 exec, exec, s[12:13]
.LBB30_579:
	s_or_b64 exec, exec, s[10:11]
	v_mov_b32_e32 v67, 0
	ds_read_b32 v67, v67 offset:116
	s_waitcnt lgkmcnt(0)
	v_mul_f32_e32 v66, v66, v67
	buffer_store_dword v66, off, s[0:3], 0 offset:116
.LBB30_580:
	s_or_b64 exec, exec, s[8:9]
	buffer_load_dword v66, off, s[0:3], 0 offset:120
	v_cmp_ne_u32_e32 vcc, 30, v0
	s_waitcnt vmcnt(0)
	ds_write_b32 v64, v66
	s_waitcnt lgkmcnt(0)
	; wave barrier
	s_waitcnt lgkmcnt(0)
	s_and_saveexec_b64 s[8:9], vcc
	s_cbranch_execz .LBB30_590
; %bb.581:
	s_and_b64 vcc, exec, s[4:5]
	s_cbranch_vccnz .LBB30_583
; %bb.582:
	buffer_load_dword v65, v65, s[0:3], 0 offen
	ds_read_b32 v66, v64
	s_waitcnt vmcnt(0) lgkmcnt(0)
	v_mul_f32_e32 v65, v65, v66
	s_cbranch_execz .LBB30_584
	s_branch .LBB30_585
.LBB30_583:
                                        ; implicit-def: $vgpr65
.LBB30_584:
	ds_read_b32 v65, v64
.LBB30_585:
	s_and_saveexec_b64 s[4:5], s[6:7]
	s_cbranch_execz .LBB30_589
; %bb.586:
	v_mov_b32_e32 v66, 0
	v_add_u32_e32 v64, 0x84, v1
	v_add3_u32 v1, v1, v66, 4
	s_mov_b64 s[6:7], 0
.LBB30_587:                             ; =>This Inner Loop Header: Depth=1
	buffer_load_dword v66, v1, s[0:3], 0 offen
	ds_read_b32 v67, v64
	v_add_u32_e32 v0, 1, v0
	v_cmp_lt_u32_e32 vcc, 28, v0
	v_add_u32_e32 v64, 4, v64
	v_add_u32_e32 v1, 4, v1
	s_or_b64 s[6:7], vcc, s[6:7]
	s_waitcnt vmcnt(0) lgkmcnt(0)
	v_fmac_f32_e32 v65, v66, v67
	s_andn2_b64 exec, exec, s[6:7]
	s_cbranch_execnz .LBB30_587
; %bb.588:
	s_or_b64 exec, exec, s[6:7]
.LBB30_589:
	s_or_b64 exec, exec, s[4:5]
	v_mov_b32_e32 v0, 0
	ds_read_b32 v0, v0 offset:120
	s_waitcnt lgkmcnt(0)
	v_mul_f32_e32 v0, v65, v0
	buffer_store_dword v0, off, s[0:3], 0 offset:120
.LBB30_590:
	s_or_b64 exec, exec, s[8:9]
.LBB30_591:
	buffer_load_dword v0, off, s[0:3], 0
	buffer_load_dword v1, off, s[0:3], 0 offset:4
	buffer_load_dword v64, off, s[0:3], 0 offset:8
	;; [unrolled: 1-line block ×23, first 2 shown]
	s_waitcnt vmcnt(23)
	global_store_dword v[8:9], v0, off
	buffer_load_dword v0, off, s[0:3], 0 offset:96
	s_nop 0
	buffer_load_dword v8, off, s[0:3], 0 offset:100
	buffer_load_dword v9, off, s[0:3], 0 offset:104
	;; [unrolled: 1-line block ×6, first 2 shown]
	s_waitcnt vmcnt(30)
	global_store_dword v[2:3], v1, off
	s_waitcnt vmcnt(30)
	global_store_dword v[4:5], v64, off
	;; [unrolled: 2-line block ×30, first 2 shown]
.LBB30_592:
	s_endpgm
	.section	.rodata,"a",@progbits
	.p2align	6, 0x0
	.amdhsa_kernel _ZN9rocsolver6v33100L18trti2_kernel_smallILi31EfPfEEv13rocblas_fill_17rocblas_diagonal_T1_iil
		.amdhsa_group_segment_fixed_size 252
		.amdhsa_private_segment_fixed_size 128
		.amdhsa_kernarg_size 32
		.amdhsa_user_sgpr_count 8
		.amdhsa_user_sgpr_private_segment_buffer 1
		.amdhsa_user_sgpr_dispatch_ptr 0
		.amdhsa_user_sgpr_queue_ptr 0
		.amdhsa_user_sgpr_kernarg_segment_ptr 1
		.amdhsa_user_sgpr_dispatch_id 0
		.amdhsa_user_sgpr_flat_scratch_init 1
		.amdhsa_user_sgpr_kernarg_preload_length 0
		.amdhsa_user_sgpr_kernarg_preload_offset 0
		.amdhsa_user_sgpr_private_segment_size 0
		.amdhsa_uses_dynamic_stack 0
		.amdhsa_system_sgpr_private_segment_wavefront_offset 1
		.amdhsa_system_sgpr_workgroup_id_x 1
		.amdhsa_system_sgpr_workgroup_id_y 0
		.amdhsa_system_sgpr_workgroup_id_z 0
		.amdhsa_system_sgpr_workgroup_info 0
		.amdhsa_system_vgpr_workitem_id 0
		.amdhsa_next_free_vgpr 93
		.amdhsa_next_free_sgpr 20
		.amdhsa_accum_offset 96
		.amdhsa_reserve_vcc 1
		.amdhsa_reserve_flat_scratch 0
		.amdhsa_float_round_mode_32 0
		.amdhsa_float_round_mode_16_64 0
		.amdhsa_float_denorm_mode_32 3
		.amdhsa_float_denorm_mode_16_64 3
		.amdhsa_dx10_clamp 1
		.amdhsa_ieee_mode 1
		.amdhsa_fp16_overflow 0
		.amdhsa_tg_split 0
		.amdhsa_exception_fp_ieee_invalid_op 0
		.amdhsa_exception_fp_denorm_src 0
		.amdhsa_exception_fp_ieee_div_zero 0
		.amdhsa_exception_fp_ieee_overflow 0
		.amdhsa_exception_fp_ieee_underflow 0
		.amdhsa_exception_fp_ieee_inexact 0
		.amdhsa_exception_int_div_zero 0
	.end_amdhsa_kernel
	.section	.text._ZN9rocsolver6v33100L18trti2_kernel_smallILi31EfPfEEv13rocblas_fill_17rocblas_diagonal_T1_iil,"axG",@progbits,_ZN9rocsolver6v33100L18trti2_kernel_smallILi31EfPfEEv13rocblas_fill_17rocblas_diagonal_T1_iil,comdat
.Lfunc_end30:
	.size	_ZN9rocsolver6v33100L18trti2_kernel_smallILi31EfPfEEv13rocblas_fill_17rocblas_diagonal_T1_iil, .Lfunc_end30-_ZN9rocsolver6v33100L18trti2_kernel_smallILi31EfPfEEv13rocblas_fill_17rocblas_diagonal_T1_iil
                                        ; -- End function
	.section	.AMDGPU.csdata,"",@progbits
; Kernel info:
; codeLenInByte = 15080
; NumSgprs: 24
; NumVgprs: 93
; NumAgprs: 0
; TotalNumVgprs: 93
; ScratchSize: 128
; MemoryBound: 0
; FloatMode: 240
; IeeeMode: 1
; LDSByteSize: 252 bytes/workgroup (compile time only)
; SGPRBlocks: 2
; VGPRBlocks: 11
; NumSGPRsForWavesPerEU: 24
; NumVGPRsForWavesPerEU: 93
; AccumOffset: 96
; Occupancy: 5
; WaveLimiterHint : 0
; COMPUTE_PGM_RSRC2:SCRATCH_EN: 1
; COMPUTE_PGM_RSRC2:USER_SGPR: 8
; COMPUTE_PGM_RSRC2:TRAP_HANDLER: 0
; COMPUTE_PGM_RSRC2:TGID_X_EN: 1
; COMPUTE_PGM_RSRC2:TGID_Y_EN: 0
; COMPUTE_PGM_RSRC2:TGID_Z_EN: 0
; COMPUTE_PGM_RSRC2:TIDIG_COMP_CNT: 0
; COMPUTE_PGM_RSRC3_GFX90A:ACCUM_OFFSET: 23
; COMPUTE_PGM_RSRC3_GFX90A:TG_SPLIT: 0
	.section	.text._ZN9rocsolver6v33100L18trti2_kernel_smallILi32EfPfEEv13rocblas_fill_17rocblas_diagonal_T1_iil,"axG",@progbits,_ZN9rocsolver6v33100L18trti2_kernel_smallILi32EfPfEEv13rocblas_fill_17rocblas_diagonal_T1_iil,comdat
	.globl	_ZN9rocsolver6v33100L18trti2_kernel_smallILi32EfPfEEv13rocblas_fill_17rocblas_diagonal_T1_iil ; -- Begin function _ZN9rocsolver6v33100L18trti2_kernel_smallILi32EfPfEEv13rocblas_fill_17rocblas_diagonal_T1_iil
	.p2align	8
	.type	_ZN9rocsolver6v33100L18trti2_kernel_smallILi32EfPfEEv13rocblas_fill_17rocblas_diagonal_T1_iil,@function
_ZN9rocsolver6v33100L18trti2_kernel_smallILi32EfPfEEv13rocblas_fill_17rocblas_diagonal_T1_iil: ; @_ZN9rocsolver6v33100L18trti2_kernel_smallILi32EfPfEEv13rocblas_fill_17rocblas_diagonal_T1_iil
; %bb.0:
	s_add_u32 s0, s0, s9
	s_addc_u32 s1, s1, 0
	v_cmp_gt_u32_e32 vcc, 32, v0
	s_and_saveexec_b64 s[6:7], vcc
	s_cbranch_execz .LBB31_612
; %bb.1:
	s_load_dwordx8 s[12:19], s[4:5], 0x0
	s_ashr_i32 s6, s8, 31
	v_lshlrev_b32_e32 v1, 2, v0
	v_mov_b32_e32 v81, 0
	s_waitcnt lgkmcnt(0)
	s_mul_i32 s7, s8, s19
	s_mul_hi_u32 s9, s8, s18
	s_add_i32 s7, s9, s7
	s_mul_i32 s6, s6, s18
	s_add_i32 s7, s7, s6
	s_mul_i32 s6, s8, s18
	s_ashr_i32 s5, s16, 31
	s_lshl_b64 s[6:7], s[6:7], 2
	s_mov_b32 s4, s16
	s_add_u32 s6, s14, s6
	s_addc_u32 s7, s15, s7
	s_lshl_b64 s[4:5], s[4:5], 2
	s_add_u32 s4, s6, s4
	s_addc_u32 s5, s7, s5
	global_load_dword v12, v1, s[4:5]
	s_mov_b32 s6, s17
	s_ashr_i32 s7, s17, 31
	s_add_i32 s8, s17, s17
	v_mov_b32_e32 v3, s5
	v_add_co_u32_e32 v6, vcc, s4, v1
	s_lshl_b64 s[6:7], s[6:7], 2
	v_add_u32_e32 v2, s8, v0
	v_addc_co_u32_e32 v7, vcc, 0, v3, vcc
	v_mov_b32_e32 v5, s7
	v_ashrrev_i32_e32 v3, 31, v2
	v_add_co_u32_e32 v8, vcc, s6, v6
	v_add_u32_e32 v10, s17, v2
	v_addc_co_u32_e32 v9, vcc, v7, v5, vcc
	global_load_dword v22, v[8:9], off
	v_lshlrev_b64 v[2:3], 2, v[2:3]
	v_mov_b32_e32 v4, s5
	v_ashrrev_i32_e32 v11, 31, v10
	v_add_co_u32_e32 v2, vcc, s4, v2
	v_addc_co_u32_e32 v3, vcc, v4, v3, vcc
	v_lshlrev_b64 v[4:5], 2, v[10:11]
	v_mov_b32_e32 v13, s5
	v_add_co_u32_e32 v4, vcc, s4, v4
	v_addc_co_u32_e32 v5, vcc, v13, v5, vcc
	global_load_dword v24, v[4:5], off
	global_load_dword v23, v[2:3], off
	v_add_u32_e32 v10, s17, v10
	v_add_u32_e32 v14, s17, v10
	;; [unrolled: 1-line block ×26, first 2 shown]
	v_ashrrev_i32_e32 v11, 31, v10
	v_add_u32_e32 v70, s17, v68
	v_lshlrev_b64 v[16:17], 2, v[10:11]
	v_add_u32_e32 v10, s17, v70
	v_ashrrev_i32_e32 v11, 31, v10
	v_lshlrev_b64 v[10:11], 2, v[10:11]
	v_mov_b32_e32 v15, s5
	v_add_co_u32_e32 v10, vcc, s4, v10
	v_addc_co_u32_e32 v11, vcc, v15, v11, vcc
	v_ashrrev_i32_e32 v15, 31, v14
	v_lshlrev_b64 v[14:15], 2, v[14:15]
	v_ashrrev_i32_e32 v19, 31, v18
	v_ashrrev_i32_e32 v21, 31, v20
	;; [unrolled: 1-line block ×3, first 2 shown]
	v_mov_b32_e32 v25, s5
	global_load_dword v72, v[10:11], off
	v_ashrrev_i32_e32 v29, 31, v28
	v_ashrrev_i32_e32 v31, 31, v30
	v_ashrrev_i32_e32 v33, 31, v32
	s_waitcnt vmcnt(4)
	buffer_store_dword v12, off, s[0:3], 0
	v_add_co_u32_e32 v12, vcc, s4, v16
	v_addc_co_u32_e32 v13, vcc, v13, v17, vcc
	v_mov_b32_e32 v16, s5
	v_add_co_u32_e32 v14, vcc, s4, v14
	v_addc_co_u32_e32 v15, vcc, v16, v15, vcc
	v_lshlrev_b64 v[16:17], 2, v[18:19]
	v_mov_b32_e32 v18, s5
	v_add_co_u32_e32 v16, vcc, s4, v16
	v_addc_co_u32_e32 v17, vcc, v18, v17, vcc
	v_lshlrev_b64 v[18:19], 2, v[20:21]
	;; [unrolled: 4-line block ×3, first 2 shown]
	v_add_co_u32_e32 v20, vcc, s4, v20
	v_addc_co_u32_e32 v21, vcc, v25, v21, vcc
	global_load_dword v73, v[12:13], off
	global_load_dword v74, v[14:15], off
	;; [unrolled: 1-line block ×5, first 2 shown]
	s_waitcnt vmcnt(9)
	buffer_store_dword v22, off, s[0:3], 0 offset:4
	s_waitcnt vmcnt(9)
	buffer_store_dword v24, off, s[0:3], 0 offset:12
	;; [unrolled: 2-line block ×3, first 2 shown]
	v_lshlrev_b64 v[22:23], 2, v[28:29]
	v_mov_b32_e32 v24, s5
	v_add_co_u32_e32 v22, vcc, s4, v22
	v_addc_co_u32_e32 v23, vcc, v24, v23, vcc
	v_lshlrev_b64 v[24:25], 2, v[30:31]
	v_mov_b32_e32 v26, s5
	v_add_co_u32_e32 v24, vcc, s4, v24
	v_addc_co_u32_e32 v25, vcc, v26, v25, vcc
	v_lshlrev_b64 v[26:27], 2, v[32:33]
	v_mov_b32_e32 v28, s5
	v_add_co_u32_e32 v26, vcc, s4, v26
	v_ashrrev_i32_e32 v35, 31, v34
	v_addc_co_u32_e32 v27, vcc, v28, v27, vcc
	v_lshlrev_b64 v[28:29], 2, v[34:35]
	v_mov_b32_e32 v30, s5
	v_add_co_u32_e32 v28, vcc, s4, v28
	v_ashrrev_i32_e32 v37, 31, v36
	;; [unrolled: 5-line block ×19, first 2 shown]
	v_addc_co_u32_e32 v63, vcc, v64, v63, vcc
	v_lshlrev_b64 v[64:65], 2, v[70:71]
	v_mov_b32_e32 v66, s5
	v_add_co_u32_e32 v64, vcc, s4, v64
	global_load_dword v78, v[22:23], off
	global_load_dword v79, v[24:25], off
	;; [unrolled: 1-line block ×16, first 2 shown]
	v_addc_co_u32_e32 v65, vcc, v66, v65, vcc
	global_load_dword v66, v[54:55], off
	global_load_dword v67, v[56:57], off
	;; [unrolled: 1-line block ×3, first 2 shown]
	s_cmpk_lg_i32 s13, 0x84
	s_waitcnt vmcnt(26)
	buffer_store_dword v73, off, s[0:3], 0 offset:16
	global_load_dword v69, v[62:63], off
	global_load_dword v70, v[60:61], off
	global_load_dword v71, v[64:65], off
	s_cselect_b64 s[8:9], -1, 0
	s_waitcnt vmcnt(29)
	buffer_store_dword v74, off, s[0:3], 0 offset:20
	s_waitcnt vmcnt(29)
	buffer_store_dword v75, off, s[0:3], 0 offset:24
	;; [unrolled: 2-line block ×6, first 2 shown]
	buffer_store_dword v79, off, s[0:3], 0 offset:40
	s_waitcnt vmcnt(26)
	buffer_store_dword v82, off, s[0:3], 0 offset:48
	s_waitcnt vmcnt(26)
	buffer_store_dword v83, off, s[0:3], 0 offset:52
	s_waitcnt vmcnt(26)
	buffer_store_dword v84, off, s[0:3], 0 offset:56
	s_waitcnt vmcnt(26)
	buffer_store_dword v85, off, s[0:3], 0 offset:60
	s_waitcnt vmcnt(26)
	buffer_store_dword v86, off, s[0:3], 0 offset:64
	s_waitcnt vmcnt(26)
	buffer_store_dword v87, off, s[0:3], 0 offset:68
	s_waitcnt vmcnt(26)
	buffer_store_dword v88, off, s[0:3], 0 offset:72
	s_waitcnt vmcnt(26)
	buffer_store_dword v89, off, s[0:3], 0 offset:76
	s_waitcnt vmcnt(25)
	buffer_store_dword v91, off, s[0:3], 0 offset:84
	buffer_store_dword v90, off, s[0:3], 0 offset:80
	s_waitcnt vmcnt(25)
	buffer_store_dword v93, off, s[0:3], 0 offset:92
	buffer_store_dword v92, off, s[0:3], 0 offset:88
	s_waitcnt vmcnt(25)
	;; [unrolled: 3-line block ×4, first 2 shown]
	buffer_store_dword v69, off, s[0:3], 0 offset:116
	s_waitcnt vmcnt(25)
	buffer_store_dword v70, off, s[0:3], 0 offset:112
	buffer_store_dword v72, off, s[0:3], 0 offset:124
	s_waitcnt vmcnt(26)
	buffer_store_dword v71, off, s[0:3], 0 offset:120
	s_cmpk_eq_i32 s13, 0x84
	v_mov_b32_e32 v66, -1.0
	s_cbranch_scc1 .LBB31_3
; %bb.2:
	v_lshl_add_u32 v66, v0, 2, v81
	buffer_load_dword v67, v66, s[0:3], 0 offen
	s_waitcnt vmcnt(0)
	v_div_scale_f32 v68, s[4:5], v67, v67, 1.0
	v_rcp_f32_e32 v69, v68
	v_div_scale_f32 v70, vcc, 1.0, v67, 1.0
	v_fma_f32 v71, -v68, v69, 1.0
	v_fmac_f32_e32 v69, v71, v69
	v_mul_f32_e32 v71, v70, v69
	v_fma_f32 v72, -v68, v71, v70
	v_fmac_f32_e32 v71, v72, v69
	v_fma_f32 v68, -v68, v71, v70
	v_div_fmas_f32 v68, v68, v69, v71
	v_div_fixup_f32 v67, v68, v67, 1.0
	buffer_store_dword v67, v66, s[0:3], 0 offen
	v_xor_b32_e32 v66, 0x80000000, v67
.LBB31_3:
	ds_write_b32 v1, v66
	s_cmpk_eq_i32 s12, 0x79
	v_add_u32_e32 v66, 0x80, v1
	v_add_u32_e32 v67, 0, v1
	s_mov_b64 s[4:5], -1
	s_cbranch_scc1 .LBB31_307
; %bb.4:
	buffer_load_dword v68, off, s[0:3], 0 offset:120
	v_cmp_eq_u32_e64 s[4:5], 31, v0
	s_waitcnt vmcnt(0)
	ds_write_b32 v66, v68
	s_waitcnt lgkmcnt(0)
	; wave barrier
	s_waitcnt lgkmcnt(0)
	s_and_saveexec_b64 s[6:7], s[4:5]
	s_cbranch_execz .LBB31_10
; %bb.5:
	s_and_b64 vcc, exec, s[8:9]
	s_cbranch_vccz .LBB31_7
; %bb.6:
	buffer_load_dword v68, v67, s[0:3], 0 offen
	ds_read_b32 v69, v66
	s_waitcnt vmcnt(0) lgkmcnt(0)
	v_mul_f32_e32 v68, v68, v69
	s_cbranch_execz .LBB31_8
	s_branch .LBB31_9
.LBB31_7:
                                        ; implicit-def: $vgpr68
.LBB31_8:
	ds_read_b32 v68, v66
.LBB31_9:
	v_mov_b32_e32 v69, 0
	ds_read_b32 v69, v69 offset:120
	s_waitcnt lgkmcnt(0)
	v_mul_f32_e32 v68, v68, v69
	buffer_store_dword v68, off, s[0:3], 0 offset:120
.LBB31_10:
	s_or_b64 exec, exec, s[6:7]
	buffer_load_dword v82, off, s[0:3], 0 offset:116
	v_or_b32_e32 v68, 8, v81
	v_add_u32_e32 v69, 16, v81
	v_add_u32_e32 v70, 24, v81
	;; [unrolled: 1-line block ×13, first 2 shown]
	v_cmp_lt_u32_e64 s[6:7], 29, v0
	s_waitcnt vmcnt(0)
	ds_write_b32 v66, v82
	s_waitcnt lgkmcnt(0)
	; wave barrier
	s_waitcnt lgkmcnt(0)
	s_and_saveexec_b64 s[10:11], s[6:7]
	s_cbranch_execz .LBB31_16
; %bb.11:
	s_andn2_b64 vcc, exec, s[8:9]
	s_cbranch_vccnz .LBB31_13
; %bb.12:
	buffer_load_dword v82, v67, s[0:3], 0 offen
	ds_read_b32 v83, v66
	s_waitcnt vmcnt(0) lgkmcnt(0)
	v_mul_f32_e32 v82, v82, v83
	s_cbranch_execz .LBB31_14
	s_branch .LBB31_15
.LBB31_13:
                                        ; implicit-def: $vgpr82
.LBB31_14:
	ds_read_b32 v82, v66
.LBB31_15:
	buffer_load_dword v83, off, s[0:3], 0 offset:120
	v_mov_b32_e32 v84, 0
	ds_read2_b32 v[84:85], v84 offset0:29 offset1:62
	s_waitcnt vmcnt(0) lgkmcnt(0)
	v_fma_f32 v83, v83, v85, v82
	v_cndmask_b32_e64 v82, v82, v83, s[4:5]
	v_mul_f32_e32 v82, v82, v84
	buffer_store_dword v82, off, s[0:3], 0 offset:116
.LBB31_16:
	s_or_b64 exec, exec, s[10:11]
	buffer_load_dword v82, off, s[0:3], 0 offset:112
	v_cmp_lt_u32_e64 s[4:5], 28, v0
	s_waitcnt vmcnt(0)
	ds_write_b32 v66, v82
	s_waitcnt lgkmcnt(0)
	; wave barrier
	s_waitcnt lgkmcnt(0)
	s_and_saveexec_b64 s[10:11], s[4:5]
	s_cbranch_execz .LBB31_26
; %bb.17:
	s_andn2_b64 vcc, exec, s[8:9]
	s_cbranch_vccnz .LBB31_19
; %bb.18:
	buffer_load_dword v82, v67, s[0:3], 0 offen
	ds_read_b32 v83, v66
	s_waitcnt vmcnt(0) lgkmcnt(0)
	v_mul_f32_e32 v82, v82, v83
	s_cbranch_execz .LBB31_20
	s_branch .LBB31_21
.LBB31_19:
                                        ; implicit-def: $vgpr82
.LBB31_20:
	ds_read_b32 v82, v66
.LBB31_21:
	s_and_saveexec_b64 s[12:13], s[6:7]
	s_cbranch_execz .LBB31_25
; %bb.22:
	v_mov_b32_e32 v83, 0
	v_add_u32_e32 v83, 0x74, v83
	v_subrev_u32_e32 v84, 29, v0
	s_movk_i32 s14, 0xf4
	s_mov_b64 s[6:7], 0
.LBB31_23:                              ; =>This Inner Loop Header: Depth=1
	buffer_load_dword v85, v83, s[0:3], 0 offen
	v_mov_b32_e32 v86, s14
	ds_read_b32 v86, v86
	v_add_u32_e32 v84, -1, v84
	s_add_i32 s14, s14, 4
	v_cmp_eq_u32_e32 vcc, 0, v84
	v_add_u32_e32 v83, 4, v83
	s_or_b64 s[6:7], vcc, s[6:7]
	s_waitcnt vmcnt(0) lgkmcnt(0)
	v_fmac_f32_e32 v82, v85, v86
	s_andn2_b64 exec, exec, s[6:7]
	s_cbranch_execnz .LBB31_23
; %bb.24:
	s_or_b64 exec, exec, s[6:7]
.LBB31_25:
	s_or_b64 exec, exec, s[12:13]
	v_mov_b32_e32 v83, 0
	ds_read_b32 v83, v83 offset:112
	s_waitcnt lgkmcnt(0)
	v_mul_f32_e32 v82, v82, v83
	buffer_store_dword v82, off, s[0:3], 0 offset:112
.LBB31_26:
	s_or_b64 exec, exec, s[10:11]
	buffer_load_dword v82, off, s[0:3], 0 offset:108
	v_cmp_lt_u32_e64 s[6:7], 27, v0
	s_waitcnt vmcnt(0)
	ds_write_b32 v66, v82
	s_waitcnt lgkmcnt(0)
	; wave barrier
	s_waitcnt lgkmcnt(0)
	s_and_saveexec_b64 s[10:11], s[6:7]
	s_cbranch_execz .LBB31_36
; %bb.27:
	s_andn2_b64 vcc, exec, s[8:9]
	s_cbranch_vccnz .LBB31_29
; %bb.28:
	buffer_load_dword v82, v67, s[0:3], 0 offen
	ds_read_b32 v83, v66
	s_waitcnt vmcnt(0) lgkmcnt(0)
	v_mul_f32_e32 v82, v82, v83
	s_cbranch_execz .LBB31_30
	s_branch .LBB31_31
.LBB31_29:
                                        ; implicit-def: $vgpr82
.LBB31_30:
	ds_read_b32 v82, v66
.LBB31_31:
	s_and_saveexec_b64 s[12:13], s[4:5]
	s_cbranch_execz .LBB31_35
; %bb.32:
	v_subrev_u32_e32 v83, 28, v0
	s_movk_i32 s14, 0xf0
	s_mov_b64 s[4:5], 0
.LBB31_33:                              ; =>This Inner Loop Header: Depth=1
	buffer_load_dword v84, v81, s[0:3], 0 offen
	v_mov_b32_e32 v85, s14
	ds_read_b32 v85, v85
	v_add_u32_e32 v83, -1, v83
	s_add_i32 s14, s14, 4
	v_cmp_eq_u32_e32 vcc, 0, v83
	v_add_u32_e32 v81, 4, v81
	s_or_b64 s[4:5], vcc, s[4:5]
	s_waitcnt vmcnt(0) lgkmcnt(0)
	v_fmac_f32_e32 v82, v84, v85
	s_andn2_b64 exec, exec, s[4:5]
	s_cbranch_execnz .LBB31_33
; %bb.34:
	s_or_b64 exec, exec, s[4:5]
.LBB31_35:
	s_or_b64 exec, exec, s[12:13]
	v_mov_b32_e32 v81, 0
	ds_read_b32 v81, v81 offset:108
	s_waitcnt lgkmcnt(0)
	v_mul_f32_e32 v81, v82, v81
	buffer_store_dword v81, off, s[0:3], 0 offset:108
.LBB31_36:
	s_or_b64 exec, exec, s[10:11]
	buffer_load_dword v81, off, s[0:3], 0 offset:104
	v_cmp_lt_u32_e64 s[4:5], 26, v0
	s_waitcnt vmcnt(0)
	ds_write_b32 v66, v81
	s_waitcnt lgkmcnt(0)
	; wave barrier
	s_waitcnt lgkmcnt(0)
	s_and_saveexec_b64 s[10:11], s[4:5]
	s_cbranch_execz .LBB31_46
; %bb.37:
	s_andn2_b64 vcc, exec, s[8:9]
	s_cbranch_vccnz .LBB31_39
; %bb.38:
	buffer_load_dword v81, v67, s[0:3], 0 offen
	ds_read_b32 v82, v66
	s_waitcnt vmcnt(0) lgkmcnt(0)
	v_mul_f32_e32 v81, v81, v82
	s_cbranch_execz .LBB31_40
	s_branch .LBB31_41
.LBB31_39:
                                        ; implicit-def: $vgpr81
.LBB31_40:
	ds_read_b32 v81, v66
.LBB31_41:
	s_and_saveexec_b64 s[12:13], s[6:7]
	s_cbranch_execz .LBB31_45
; %bb.42:
	v_mov_b32_e32 v82, 0
	v_add_u32_e32 v82, 0x6c, v82
	v_subrev_u32_e32 v83, 27, v0
	s_movk_i32 s14, 0xec
	s_mov_b64 s[6:7], 0
.LBB31_43:                              ; =>This Inner Loop Header: Depth=1
	buffer_load_dword v84, v82, s[0:3], 0 offen
	v_mov_b32_e32 v85, s14
	ds_read_b32 v85, v85
	v_add_u32_e32 v83, -1, v83
	s_add_i32 s14, s14, 4
	v_cmp_eq_u32_e32 vcc, 0, v83
	v_add_u32_e32 v82, 4, v82
	s_or_b64 s[6:7], vcc, s[6:7]
	s_waitcnt vmcnt(0) lgkmcnt(0)
	v_fmac_f32_e32 v81, v84, v85
	s_andn2_b64 exec, exec, s[6:7]
	s_cbranch_execnz .LBB31_43
; %bb.44:
	s_or_b64 exec, exec, s[6:7]
.LBB31_45:
	s_or_b64 exec, exec, s[12:13]
	v_mov_b32_e32 v82, 0
	ds_read_b32 v82, v82 offset:104
	s_waitcnt lgkmcnt(0)
	v_mul_f32_e32 v81, v81, v82
	buffer_store_dword v81, off, s[0:3], 0 offset:104
.LBB31_46:
	s_or_b64 exec, exec, s[10:11]
	buffer_load_dword v81, off, s[0:3], 0 offset:100
	v_cmp_lt_u32_e64 s[6:7], 25, v0
	s_waitcnt vmcnt(0)
	ds_write_b32 v66, v81
	s_waitcnt lgkmcnt(0)
	; wave barrier
	s_waitcnt lgkmcnt(0)
	s_and_saveexec_b64 s[10:11], s[6:7]
	s_cbranch_execz .LBB31_56
; %bb.47:
	s_andn2_b64 vcc, exec, s[8:9]
	s_cbranch_vccnz .LBB31_49
; %bb.48:
	buffer_load_dword v81, v67, s[0:3], 0 offen
	ds_read_b32 v82, v66
	s_waitcnt vmcnt(0) lgkmcnt(0)
	v_mul_f32_e32 v81, v81, v82
	s_cbranch_execz .LBB31_50
	s_branch .LBB31_51
.LBB31_49:
                                        ; implicit-def: $vgpr81
.LBB31_50:
	ds_read_b32 v81, v66
.LBB31_51:
	s_and_saveexec_b64 s[12:13], s[4:5]
	s_cbranch_execz .LBB31_55
; %bb.52:
	v_subrev_u32_e32 v82, 26, v0
	s_movk_i32 s14, 0xe8
	s_mov_b64 s[4:5], 0
.LBB31_53:                              ; =>This Inner Loop Header: Depth=1
	buffer_load_dword v83, v80, s[0:3], 0 offen
	v_mov_b32_e32 v84, s14
	ds_read_b32 v84, v84
	v_add_u32_e32 v82, -1, v82
	s_add_i32 s14, s14, 4
	v_cmp_eq_u32_e32 vcc, 0, v82
	v_add_u32_e32 v80, 4, v80
	s_or_b64 s[4:5], vcc, s[4:5]
	s_waitcnt vmcnt(0) lgkmcnt(0)
	v_fmac_f32_e32 v81, v83, v84
	s_andn2_b64 exec, exec, s[4:5]
	s_cbranch_execnz .LBB31_53
; %bb.54:
	s_or_b64 exec, exec, s[4:5]
.LBB31_55:
	s_or_b64 exec, exec, s[12:13]
	v_mov_b32_e32 v80, 0
	ds_read_b32 v80, v80 offset:100
	s_waitcnt lgkmcnt(0)
	v_mul_f32_e32 v80, v81, v80
	buffer_store_dword v80, off, s[0:3], 0 offset:100
.LBB31_56:
	s_or_b64 exec, exec, s[10:11]
	buffer_load_dword v80, off, s[0:3], 0 offset:96
	v_cmp_lt_u32_e64 s[4:5], 24, v0
	s_waitcnt vmcnt(0)
	ds_write_b32 v66, v80
	s_waitcnt lgkmcnt(0)
	; wave barrier
	s_waitcnt lgkmcnt(0)
	s_and_saveexec_b64 s[10:11], s[4:5]
	s_cbranch_execz .LBB31_66
; %bb.57:
	s_andn2_b64 vcc, exec, s[8:9]
	s_cbranch_vccnz .LBB31_59
; %bb.58:
	buffer_load_dword v80, v67, s[0:3], 0 offen
	ds_read_b32 v81, v66
	s_waitcnt vmcnt(0) lgkmcnt(0)
	v_mul_f32_e32 v80, v80, v81
	s_cbranch_execz .LBB31_60
	s_branch .LBB31_61
.LBB31_59:
                                        ; implicit-def: $vgpr80
.LBB31_60:
	ds_read_b32 v80, v66
.LBB31_61:
	s_and_saveexec_b64 s[12:13], s[6:7]
	s_cbranch_execz .LBB31_65
; %bb.62:
	v_mov_b32_e32 v81, 0
	v_add_u32_e32 v81, 0x64, v81
	v_subrev_u32_e32 v82, 25, v0
	s_movk_i32 s14, 0xe4
	s_mov_b64 s[6:7], 0
.LBB31_63:                              ; =>This Inner Loop Header: Depth=1
	buffer_load_dword v83, v81, s[0:3], 0 offen
	v_mov_b32_e32 v84, s14
	ds_read_b32 v84, v84
	v_add_u32_e32 v82, -1, v82
	s_add_i32 s14, s14, 4
	v_cmp_eq_u32_e32 vcc, 0, v82
	v_add_u32_e32 v81, 4, v81
	s_or_b64 s[6:7], vcc, s[6:7]
	s_waitcnt vmcnt(0) lgkmcnt(0)
	v_fmac_f32_e32 v80, v83, v84
	s_andn2_b64 exec, exec, s[6:7]
	s_cbranch_execnz .LBB31_63
; %bb.64:
	s_or_b64 exec, exec, s[6:7]
.LBB31_65:
	s_or_b64 exec, exec, s[12:13]
	v_mov_b32_e32 v81, 0
	ds_read_b32 v81, v81 offset:96
	s_waitcnt lgkmcnt(0)
	v_mul_f32_e32 v80, v80, v81
	buffer_store_dword v80, off, s[0:3], 0 offset:96
.LBB31_66:
	s_or_b64 exec, exec, s[10:11]
	buffer_load_dword v80, off, s[0:3], 0 offset:92
	v_cmp_lt_u32_e64 s[6:7], 23, v0
	s_waitcnt vmcnt(0)
	ds_write_b32 v66, v80
	s_waitcnt lgkmcnt(0)
	; wave barrier
	s_waitcnt lgkmcnt(0)
	s_and_saveexec_b64 s[10:11], s[6:7]
	s_cbranch_execz .LBB31_76
; %bb.67:
	s_andn2_b64 vcc, exec, s[8:9]
	s_cbranch_vccnz .LBB31_69
; %bb.68:
	buffer_load_dword v80, v67, s[0:3], 0 offen
	ds_read_b32 v81, v66
	s_waitcnt vmcnt(0) lgkmcnt(0)
	v_mul_f32_e32 v80, v80, v81
	s_cbranch_execz .LBB31_70
	s_branch .LBB31_71
.LBB31_69:
                                        ; implicit-def: $vgpr80
.LBB31_70:
	ds_read_b32 v80, v66
.LBB31_71:
	s_and_saveexec_b64 s[12:13], s[4:5]
	s_cbranch_execz .LBB31_75
; %bb.72:
	v_subrev_u32_e32 v81, 24, v0
	s_movk_i32 s14, 0xe0
	s_mov_b64 s[4:5], 0
.LBB31_73:                              ; =>This Inner Loop Header: Depth=1
	buffer_load_dword v82, v79, s[0:3], 0 offen
	v_mov_b32_e32 v83, s14
	ds_read_b32 v83, v83
	v_add_u32_e32 v81, -1, v81
	s_add_i32 s14, s14, 4
	v_cmp_eq_u32_e32 vcc, 0, v81
	v_add_u32_e32 v79, 4, v79
	s_or_b64 s[4:5], vcc, s[4:5]
	s_waitcnt vmcnt(0) lgkmcnt(0)
	v_fmac_f32_e32 v80, v82, v83
	s_andn2_b64 exec, exec, s[4:5]
	s_cbranch_execnz .LBB31_73
; %bb.74:
	s_or_b64 exec, exec, s[4:5]
.LBB31_75:
	s_or_b64 exec, exec, s[12:13]
	v_mov_b32_e32 v79, 0
	ds_read_b32 v79, v79 offset:92
	s_waitcnt lgkmcnt(0)
	v_mul_f32_e32 v79, v80, v79
	buffer_store_dword v79, off, s[0:3], 0 offset:92
.LBB31_76:
	s_or_b64 exec, exec, s[10:11]
	buffer_load_dword v79, off, s[0:3], 0 offset:88
	v_cmp_lt_u32_e64 s[4:5], 22, v0
	s_waitcnt vmcnt(0)
	ds_write_b32 v66, v79
	s_waitcnt lgkmcnt(0)
	; wave barrier
	s_waitcnt lgkmcnt(0)
	s_and_saveexec_b64 s[10:11], s[4:5]
	s_cbranch_execz .LBB31_86
; %bb.77:
	s_andn2_b64 vcc, exec, s[8:9]
	s_cbranch_vccnz .LBB31_79
; %bb.78:
	buffer_load_dword v79, v67, s[0:3], 0 offen
	ds_read_b32 v80, v66
	s_waitcnt vmcnt(0) lgkmcnt(0)
	v_mul_f32_e32 v79, v79, v80
	s_cbranch_execz .LBB31_80
	s_branch .LBB31_81
.LBB31_79:
                                        ; implicit-def: $vgpr79
.LBB31_80:
	ds_read_b32 v79, v66
.LBB31_81:
	s_and_saveexec_b64 s[12:13], s[6:7]
	s_cbranch_execz .LBB31_85
; %bb.82:
	v_mov_b32_e32 v80, 0
	v_add_u32_e32 v80, 0x5c, v80
	v_subrev_u32_e32 v81, 23, v0
	s_movk_i32 s14, 0xdc
	s_mov_b64 s[6:7], 0
.LBB31_83:                              ; =>This Inner Loop Header: Depth=1
	buffer_load_dword v82, v80, s[0:3], 0 offen
	v_mov_b32_e32 v83, s14
	ds_read_b32 v83, v83
	v_add_u32_e32 v81, -1, v81
	s_add_i32 s14, s14, 4
	v_cmp_eq_u32_e32 vcc, 0, v81
	v_add_u32_e32 v80, 4, v80
	s_or_b64 s[6:7], vcc, s[6:7]
	s_waitcnt vmcnt(0) lgkmcnt(0)
	v_fmac_f32_e32 v79, v82, v83
	s_andn2_b64 exec, exec, s[6:7]
	s_cbranch_execnz .LBB31_83
; %bb.84:
	s_or_b64 exec, exec, s[6:7]
.LBB31_85:
	s_or_b64 exec, exec, s[12:13]
	v_mov_b32_e32 v80, 0
	ds_read_b32 v80, v80 offset:88
	s_waitcnt lgkmcnt(0)
	v_mul_f32_e32 v79, v79, v80
	buffer_store_dword v79, off, s[0:3], 0 offset:88
.LBB31_86:
	s_or_b64 exec, exec, s[10:11]
	buffer_load_dword v79, off, s[0:3], 0 offset:84
	v_cmp_lt_u32_e64 s[6:7], 21, v0
	s_waitcnt vmcnt(0)
	ds_write_b32 v66, v79
	s_waitcnt lgkmcnt(0)
	; wave barrier
	s_waitcnt lgkmcnt(0)
	s_and_saveexec_b64 s[10:11], s[6:7]
	s_cbranch_execz .LBB31_96
; %bb.87:
	s_andn2_b64 vcc, exec, s[8:9]
	s_cbranch_vccnz .LBB31_89
; %bb.88:
	buffer_load_dword v79, v67, s[0:3], 0 offen
	ds_read_b32 v80, v66
	s_waitcnt vmcnt(0) lgkmcnt(0)
	v_mul_f32_e32 v79, v79, v80
	s_cbranch_execz .LBB31_90
	s_branch .LBB31_91
.LBB31_89:
                                        ; implicit-def: $vgpr79
.LBB31_90:
	ds_read_b32 v79, v66
.LBB31_91:
	s_and_saveexec_b64 s[12:13], s[4:5]
	s_cbranch_execz .LBB31_95
; %bb.92:
	v_subrev_u32_e32 v80, 22, v0
	s_movk_i32 s14, 0xd8
	s_mov_b64 s[4:5], 0
.LBB31_93:                              ; =>This Inner Loop Header: Depth=1
	buffer_load_dword v81, v78, s[0:3], 0 offen
	v_mov_b32_e32 v82, s14
	ds_read_b32 v82, v82
	v_add_u32_e32 v80, -1, v80
	s_add_i32 s14, s14, 4
	v_cmp_eq_u32_e32 vcc, 0, v80
	v_add_u32_e32 v78, 4, v78
	s_or_b64 s[4:5], vcc, s[4:5]
	s_waitcnt vmcnt(0) lgkmcnt(0)
	v_fmac_f32_e32 v79, v81, v82
	s_andn2_b64 exec, exec, s[4:5]
	s_cbranch_execnz .LBB31_93
; %bb.94:
	s_or_b64 exec, exec, s[4:5]
.LBB31_95:
	s_or_b64 exec, exec, s[12:13]
	v_mov_b32_e32 v78, 0
	ds_read_b32 v78, v78 offset:84
	s_waitcnt lgkmcnt(0)
	v_mul_f32_e32 v78, v79, v78
	buffer_store_dword v78, off, s[0:3], 0 offset:84
.LBB31_96:
	s_or_b64 exec, exec, s[10:11]
	buffer_load_dword v78, off, s[0:3], 0 offset:80
	v_cmp_lt_u32_e64 s[4:5], 20, v0
	s_waitcnt vmcnt(0)
	ds_write_b32 v66, v78
	s_waitcnt lgkmcnt(0)
	; wave barrier
	s_waitcnt lgkmcnt(0)
	s_and_saveexec_b64 s[10:11], s[4:5]
	s_cbranch_execz .LBB31_106
; %bb.97:
	s_andn2_b64 vcc, exec, s[8:9]
	s_cbranch_vccnz .LBB31_99
; %bb.98:
	buffer_load_dword v78, v67, s[0:3], 0 offen
	ds_read_b32 v79, v66
	s_waitcnt vmcnt(0) lgkmcnt(0)
	v_mul_f32_e32 v78, v78, v79
	s_cbranch_execz .LBB31_100
	s_branch .LBB31_101
.LBB31_99:
                                        ; implicit-def: $vgpr78
.LBB31_100:
	ds_read_b32 v78, v66
.LBB31_101:
	s_and_saveexec_b64 s[12:13], s[6:7]
	s_cbranch_execz .LBB31_105
; %bb.102:
	v_mov_b32_e32 v79, 0
	v_add_u32_e32 v79, 0x54, v79
	v_subrev_u32_e32 v80, 21, v0
	s_movk_i32 s14, 0xd4
	s_mov_b64 s[6:7], 0
.LBB31_103:                             ; =>This Inner Loop Header: Depth=1
	buffer_load_dword v81, v79, s[0:3], 0 offen
	v_mov_b32_e32 v82, s14
	ds_read_b32 v82, v82
	v_add_u32_e32 v80, -1, v80
	s_add_i32 s14, s14, 4
	v_cmp_eq_u32_e32 vcc, 0, v80
	v_add_u32_e32 v79, 4, v79
	s_or_b64 s[6:7], vcc, s[6:7]
	s_waitcnt vmcnt(0) lgkmcnt(0)
	v_fmac_f32_e32 v78, v81, v82
	s_andn2_b64 exec, exec, s[6:7]
	s_cbranch_execnz .LBB31_103
; %bb.104:
	s_or_b64 exec, exec, s[6:7]
.LBB31_105:
	s_or_b64 exec, exec, s[12:13]
	v_mov_b32_e32 v79, 0
	ds_read_b32 v79, v79 offset:80
	s_waitcnt lgkmcnt(0)
	v_mul_f32_e32 v78, v78, v79
	buffer_store_dword v78, off, s[0:3], 0 offset:80
.LBB31_106:
	s_or_b64 exec, exec, s[10:11]
	buffer_load_dword v78, off, s[0:3], 0 offset:76
	v_cmp_lt_u32_e64 s[6:7], 19, v0
	s_waitcnt vmcnt(0)
	ds_write_b32 v66, v78
	s_waitcnt lgkmcnt(0)
	; wave barrier
	s_waitcnt lgkmcnt(0)
	s_and_saveexec_b64 s[10:11], s[6:7]
	s_cbranch_execz .LBB31_116
; %bb.107:
	s_andn2_b64 vcc, exec, s[8:9]
	s_cbranch_vccnz .LBB31_109
; %bb.108:
	buffer_load_dword v78, v67, s[0:3], 0 offen
	ds_read_b32 v79, v66
	s_waitcnt vmcnt(0) lgkmcnt(0)
	v_mul_f32_e32 v78, v78, v79
	s_cbranch_execz .LBB31_110
	s_branch .LBB31_111
.LBB31_109:
                                        ; implicit-def: $vgpr78
.LBB31_110:
	ds_read_b32 v78, v66
.LBB31_111:
	s_and_saveexec_b64 s[12:13], s[4:5]
	s_cbranch_execz .LBB31_115
; %bb.112:
	v_subrev_u32_e32 v79, 20, v0
	s_movk_i32 s14, 0xd0
	s_mov_b64 s[4:5], 0
.LBB31_113:                             ; =>This Inner Loop Header: Depth=1
	buffer_load_dword v80, v77, s[0:3], 0 offen
	v_mov_b32_e32 v81, s14
	ds_read_b32 v81, v81
	v_add_u32_e32 v79, -1, v79
	s_add_i32 s14, s14, 4
	v_cmp_eq_u32_e32 vcc, 0, v79
	v_add_u32_e32 v77, 4, v77
	s_or_b64 s[4:5], vcc, s[4:5]
	s_waitcnt vmcnt(0) lgkmcnt(0)
	v_fmac_f32_e32 v78, v80, v81
	s_andn2_b64 exec, exec, s[4:5]
	s_cbranch_execnz .LBB31_113
; %bb.114:
	s_or_b64 exec, exec, s[4:5]
.LBB31_115:
	s_or_b64 exec, exec, s[12:13]
	v_mov_b32_e32 v77, 0
	ds_read_b32 v77, v77 offset:76
	s_waitcnt lgkmcnt(0)
	v_mul_f32_e32 v77, v78, v77
	buffer_store_dword v77, off, s[0:3], 0 offset:76
.LBB31_116:
	s_or_b64 exec, exec, s[10:11]
	buffer_load_dword v77, off, s[0:3], 0 offset:72
	v_cmp_lt_u32_e64 s[4:5], 18, v0
	s_waitcnt vmcnt(0)
	ds_write_b32 v66, v77
	s_waitcnt lgkmcnt(0)
	; wave barrier
	s_waitcnt lgkmcnt(0)
	s_and_saveexec_b64 s[10:11], s[4:5]
	s_cbranch_execz .LBB31_126
; %bb.117:
	s_andn2_b64 vcc, exec, s[8:9]
	s_cbranch_vccnz .LBB31_119
; %bb.118:
	buffer_load_dword v77, v67, s[0:3], 0 offen
	ds_read_b32 v78, v66
	s_waitcnt vmcnt(0) lgkmcnt(0)
	v_mul_f32_e32 v77, v77, v78
	s_cbranch_execz .LBB31_120
	s_branch .LBB31_121
.LBB31_119:
                                        ; implicit-def: $vgpr77
.LBB31_120:
	ds_read_b32 v77, v66
.LBB31_121:
	s_and_saveexec_b64 s[12:13], s[6:7]
	s_cbranch_execz .LBB31_125
; %bb.122:
	v_mov_b32_e32 v78, 0
	v_add_u32_e32 v78, 0x4c, v78
	v_subrev_u32_e32 v79, 19, v0
	s_movk_i32 s14, 0xcc
	s_mov_b64 s[6:7], 0
.LBB31_123:                             ; =>This Inner Loop Header: Depth=1
	buffer_load_dword v80, v78, s[0:3], 0 offen
	v_mov_b32_e32 v81, s14
	ds_read_b32 v81, v81
	v_add_u32_e32 v79, -1, v79
	s_add_i32 s14, s14, 4
	v_cmp_eq_u32_e32 vcc, 0, v79
	v_add_u32_e32 v78, 4, v78
	s_or_b64 s[6:7], vcc, s[6:7]
	s_waitcnt vmcnt(0) lgkmcnt(0)
	v_fmac_f32_e32 v77, v80, v81
	s_andn2_b64 exec, exec, s[6:7]
	s_cbranch_execnz .LBB31_123
; %bb.124:
	s_or_b64 exec, exec, s[6:7]
.LBB31_125:
	s_or_b64 exec, exec, s[12:13]
	v_mov_b32_e32 v78, 0
	ds_read_b32 v78, v78 offset:72
	s_waitcnt lgkmcnt(0)
	v_mul_f32_e32 v77, v77, v78
	buffer_store_dword v77, off, s[0:3], 0 offset:72
.LBB31_126:
	s_or_b64 exec, exec, s[10:11]
	buffer_load_dword v77, off, s[0:3], 0 offset:68
	v_cmp_lt_u32_e64 s[6:7], 17, v0
	s_waitcnt vmcnt(0)
	ds_write_b32 v66, v77
	s_waitcnt lgkmcnt(0)
	; wave barrier
	s_waitcnt lgkmcnt(0)
	s_and_saveexec_b64 s[10:11], s[6:7]
	s_cbranch_execz .LBB31_136
; %bb.127:
	s_andn2_b64 vcc, exec, s[8:9]
	s_cbranch_vccnz .LBB31_129
; %bb.128:
	buffer_load_dword v77, v67, s[0:3], 0 offen
	ds_read_b32 v78, v66
	s_waitcnt vmcnt(0) lgkmcnt(0)
	v_mul_f32_e32 v77, v77, v78
	s_cbranch_execz .LBB31_130
	s_branch .LBB31_131
.LBB31_129:
                                        ; implicit-def: $vgpr77
.LBB31_130:
	ds_read_b32 v77, v66
.LBB31_131:
	s_and_saveexec_b64 s[12:13], s[4:5]
	s_cbranch_execz .LBB31_135
; %bb.132:
	v_subrev_u32_e32 v78, 18, v0
	s_movk_i32 s14, 0xc8
	s_mov_b64 s[4:5], 0
.LBB31_133:                             ; =>This Inner Loop Header: Depth=1
	buffer_load_dword v79, v76, s[0:3], 0 offen
	v_mov_b32_e32 v80, s14
	ds_read_b32 v80, v80
	v_add_u32_e32 v78, -1, v78
	s_add_i32 s14, s14, 4
	v_cmp_eq_u32_e32 vcc, 0, v78
	v_add_u32_e32 v76, 4, v76
	s_or_b64 s[4:5], vcc, s[4:5]
	s_waitcnt vmcnt(0) lgkmcnt(0)
	v_fmac_f32_e32 v77, v79, v80
	s_andn2_b64 exec, exec, s[4:5]
	s_cbranch_execnz .LBB31_133
; %bb.134:
	s_or_b64 exec, exec, s[4:5]
.LBB31_135:
	s_or_b64 exec, exec, s[12:13]
	v_mov_b32_e32 v76, 0
	ds_read_b32 v76, v76 offset:68
	s_waitcnt lgkmcnt(0)
	v_mul_f32_e32 v76, v77, v76
	buffer_store_dword v76, off, s[0:3], 0 offset:68
.LBB31_136:
	s_or_b64 exec, exec, s[10:11]
	buffer_load_dword v76, off, s[0:3], 0 offset:64
	v_cmp_lt_u32_e64 s[4:5], 16, v0
	s_waitcnt vmcnt(0)
	ds_write_b32 v66, v76
	s_waitcnt lgkmcnt(0)
	; wave barrier
	s_waitcnt lgkmcnt(0)
	s_and_saveexec_b64 s[10:11], s[4:5]
	s_cbranch_execz .LBB31_146
; %bb.137:
	s_andn2_b64 vcc, exec, s[8:9]
	s_cbranch_vccnz .LBB31_139
; %bb.138:
	buffer_load_dword v76, v67, s[0:3], 0 offen
	ds_read_b32 v77, v66
	s_waitcnt vmcnt(0) lgkmcnt(0)
	v_mul_f32_e32 v76, v76, v77
	s_cbranch_execz .LBB31_140
	s_branch .LBB31_141
.LBB31_139:
                                        ; implicit-def: $vgpr76
.LBB31_140:
	ds_read_b32 v76, v66
.LBB31_141:
	s_and_saveexec_b64 s[12:13], s[6:7]
	s_cbranch_execz .LBB31_145
; %bb.142:
	v_mov_b32_e32 v77, 0
	v_add_u32_e32 v77, 0x44, v77
	v_subrev_u32_e32 v78, 17, v0
	s_movk_i32 s14, 0xc4
	s_mov_b64 s[6:7], 0
.LBB31_143:                             ; =>This Inner Loop Header: Depth=1
	buffer_load_dword v79, v77, s[0:3], 0 offen
	v_mov_b32_e32 v80, s14
	ds_read_b32 v80, v80
	v_add_u32_e32 v78, -1, v78
	s_add_i32 s14, s14, 4
	v_cmp_eq_u32_e32 vcc, 0, v78
	v_add_u32_e32 v77, 4, v77
	s_or_b64 s[6:7], vcc, s[6:7]
	s_waitcnt vmcnt(0) lgkmcnt(0)
	v_fmac_f32_e32 v76, v79, v80
	s_andn2_b64 exec, exec, s[6:7]
	s_cbranch_execnz .LBB31_143
; %bb.144:
	s_or_b64 exec, exec, s[6:7]
.LBB31_145:
	s_or_b64 exec, exec, s[12:13]
	v_mov_b32_e32 v77, 0
	ds_read_b32 v77, v77 offset:64
	s_waitcnt lgkmcnt(0)
	v_mul_f32_e32 v76, v76, v77
	buffer_store_dword v76, off, s[0:3], 0 offset:64
.LBB31_146:
	s_or_b64 exec, exec, s[10:11]
	buffer_load_dword v76, off, s[0:3], 0 offset:60
	v_cmp_lt_u32_e64 s[6:7], 15, v0
	s_waitcnt vmcnt(0)
	ds_write_b32 v66, v76
	s_waitcnt lgkmcnt(0)
	; wave barrier
	s_waitcnt lgkmcnt(0)
	s_and_saveexec_b64 s[10:11], s[6:7]
	s_cbranch_execz .LBB31_156
; %bb.147:
	s_andn2_b64 vcc, exec, s[8:9]
	s_cbranch_vccnz .LBB31_149
; %bb.148:
	buffer_load_dword v76, v67, s[0:3], 0 offen
	ds_read_b32 v77, v66
	s_waitcnt vmcnt(0) lgkmcnt(0)
	v_mul_f32_e32 v76, v76, v77
	s_cbranch_execz .LBB31_150
	s_branch .LBB31_151
.LBB31_149:
                                        ; implicit-def: $vgpr76
.LBB31_150:
	ds_read_b32 v76, v66
.LBB31_151:
	s_and_saveexec_b64 s[12:13], s[4:5]
	s_cbranch_execz .LBB31_155
; %bb.152:
	v_add_u32_e32 v77, -16, v0
	s_movk_i32 s14, 0xc0
	s_mov_b64 s[4:5], 0
.LBB31_153:                             ; =>This Inner Loop Header: Depth=1
	buffer_load_dword v78, v75, s[0:3], 0 offen
	v_mov_b32_e32 v79, s14
	ds_read_b32 v79, v79
	v_add_u32_e32 v77, -1, v77
	s_add_i32 s14, s14, 4
	v_cmp_eq_u32_e32 vcc, 0, v77
	v_add_u32_e32 v75, 4, v75
	s_or_b64 s[4:5], vcc, s[4:5]
	s_waitcnt vmcnt(0) lgkmcnt(0)
	v_fmac_f32_e32 v76, v78, v79
	s_andn2_b64 exec, exec, s[4:5]
	s_cbranch_execnz .LBB31_153
; %bb.154:
	s_or_b64 exec, exec, s[4:5]
.LBB31_155:
	s_or_b64 exec, exec, s[12:13]
	v_mov_b32_e32 v75, 0
	ds_read_b32 v75, v75 offset:60
	s_waitcnt lgkmcnt(0)
	v_mul_f32_e32 v75, v76, v75
	buffer_store_dword v75, off, s[0:3], 0 offset:60
.LBB31_156:
	s_or_b64 exec, exec, s[10:11]
	buffer_load_dword v75, off, s[0:3], 0 offset:56
	v_cmp_lt_u32_e64 s[4:5], 14, v0
	s_waitcnt vmcnt(0)
	ds_write_b32 v66, v75
	s_waitcnt lgkmcnt(0)
	; wave barrier
	s_waitcnt lgkmcnt(0)
	s_and_saveexec_b64 s[10:11], s[4:5]
	s_cbranch_execz .LBB31_166
; %bb.157:
	s_andn2_b64 vcc, exec, s[8:9]
	s_cbranch_vccnz .LBB31_159
; %bb.158:
	buffer_load_dword v75, v67, s[0:3], 0 offen
	ds_read_b32 v76, v66
	s_waitcnt vmcnt(0) lgkmcnt(0)
	v_mul_f32_e32 v75, v75, v76
	s_cbranch_execz .LBB31_160
	s_branch .LBB31_161
.LBB31_159:
                                        ; implicit-def: $vgpr75
.LBB31_160:
	ds_read_b32 v75, v66
.LBB31_161:
	s_and_saveexec_b64 s[12:13], s[6:7]
	s_cbranch_execz .LBB31_165
; %bb.162:
	v_mov_b32_e32 v76, 0
	v_add_u32_e32 v76, 60, v76
	v_add_u32_e32 v77, -15, v0
	s_movk_i32 s14, 0xbc
	s_mov_b64 s[6:7], 0
.LBB31_163:                             ; =>This Inner Loop Header: Depth=1
	buffer_load_dword v78, v76, s[0:3], 0 offen
	v_mov_b32_e32 v79, s14
	ds_read_b32 v79, v79
	v_add_u32_e32 v77, -1, v77
	s_add_i32 s14, s14, 4
	v_cmp_eq_u32_e32 vcc, 0, v77
	v_add_u32_e32 v76, 4, v76
	s_or_b64 s[6:7], vcc, s[6:7]
	s_waitcnt vmcnt(0) lgkmcnt(0)
	v_fmac_f32_e32 v75, v78, v79
	s_andn2_b64 exec, exec, s[6:7]
	s_cbranch_execnz .LBB31_163
; %bb.164:
	s_or_b64 exec, exec, s[6:7]
.LBB31_165:
	s_or_b64 exec, exec, s[12:13]
	v_mov_b32_e32 v76, 0
	ds_read_b32 v76, v76 offset:56
	s_waitcnt lgkmcnt(0)
	v_mul_f32_e32 v75, v75, v76
	buffer_store_dword v75, off, s[0:3], 0 offset:56
.LBB31_166:
	s_or_b64 exec, exec, s[10:11]
	buffer_load_dword v75, off, s[0:3], 0 offset:52
	v_cmp_lt_u32_e64 s[6:7], 13, v0
	s_waitcnt vmcnt(0)
	ds_write_b32 v66, v75
	s_waitcnt lgkmcnt(0)
	; wave barrier
	s_waitcnt lgkmcnt(0)
	s_and_saveexec_b64 s[10:11], s[6:7]
	s_cbranch_execz .LBB31_176
; %bb.167:
	s_andn2_b64 vcc, exec, s[8:9]
	s_cbranch_vccnz .LBB31_169
; %bb.168:
	buffer_load_dword v75, v67, s[0:3], 0 offen
	ds_read_b32 v76, v66
	s_waitcnt vmcnt(0) lgkmcnt(0)
	v_mul_f32_e32 v75, v75, v76
	s_cbranch_execz .LBB31_170
	s_branch .LBB31_171
.LBB31_169:
                                        ; implicit-def: $vgpr75
.LBB31_170:
	ds_read_b32 v75, v66
.LBB31_171:
	s_and_saveexec_b64 s[12:13], s[4:5]
	s_cbranch_execz .LBB31_175
; %bb.172:
	v_add_u32_e32 v76, -14, v0
	s_movk_i32 s14, 0xb8
	s_mov_b64 s[4:5], 0
.LBB31_173:                             ; =>This Inner Loop Header: Depth=1
	buffer_load_dword v77, v74, s[0:3], 0 offen
	v_mov_b32_e32 v78, s14
	ds_read_b32 v78, v78
	v_add_u32_e32 v76, -1, v76
	s_add_i32 s14, s14, 4
	v_cmp_eq_u32_e32 vcc, 0, v76
	v_add_u32_e32 v74, 4, v74
	s_or_b64 s[4:5], vcc, s[4:5]
	s_waitcnt vmcnt(0) lgkmcnt(0)
	v_fmac_f32_e32 v75, v77, v78
	s_andn2_b64 exec, exec, s[4:5]
	s_cbranch_execnz .LBB31_173
; %bb.174:
	s_or_b64 exec, exec, s[4:5]
.LBB31_175:
	s_or_b64 exec, exec, s[12:13]
	v_mov_b32_e32 v74, 0
	ds_read_b32 v74, v74 offset:52
	s_waitcnt lgkmcnt(0)
	v_mul_f32_e32 v74, v75, v74
	buffer_store_dword v74, off, s[0:3], 0 offset:52
.LBB31_176:
	s_or_b64 exec, exec, s[10:11]
	buffer_load_dword v74, off, s[0:3], 0 offset:48
	v_cmp_lt_u32_e64 s[4:5], 12, v0
	s_waitcnt vmcnt(0)
	ds_write_b32 v66, v74
	s_waitcnt lgkmcnt(0)
	; wave barrier
	s_waitcnt lgkmcnt(0)
	s_and_saveexec_b64 s[10:11], s[4:5]
	s_cbranch_execz .LBB31_186
; %bb.177:
	s_andn2_b64 vcc, exec, s[8:9]
	s_cbranch_vccnz .LBB31_179
; %bb.178:
	buffer_load_dword v74, v67, s[0:3], 0 offen
	ds_read_b32 v75, v66
	s_waitcnt vmcnt(0) lgkmcnt(0)
	v_mul_f32_e32 v74, v74, v75
	s_cbranch_execz .LBB31_180
	s_branch .LBB31_181
.LBB31_179:
                                        ; implicit-def: $vgpr74
.LBB31_180:
	ds_read_b32 v74, v66
.LBB31_181:
	s_and_saveexec_b64 s[12:13], s[6:7]
	s_cbranch_execz .LBB31_185
; %bb.182:
	v_mov_b32_e32 v75, 0
	v_add_u32_e32 v75, 52, v75
	v_add_u32_e32 v76, -13, v0
	s_movk_i32 s14, 0xb4
	s_mov_b64 s[6:7], 0
.LBB31_183:                             ; =>This Inner Loop Header: Depth=1
	buffer_load_dword v77, v75, s[0:3], 0 offen
	v_mov_b32_e32 v78, s14
	ds_read_b32 v78, v78
	v_add_u32_e32 v76, -1, v76
	s_add_i32 s14, s14, 4
	v_cmp_eq_u32_e32 vcc, 0, v76
	v_add_u32_e32 v75, 4, v75
	s_or_b64 s[6:7], vcc, s[6:7]
	s_waitcnt vmcnt(0) lgkmcnt(0)
	v_fmac_f32_e32 v74, v77, v78
	s_andn2_b64 exec, exec, s[6:7]
	s_cbranch_execnz .LBB31_183
; %bb.184:
	s_or_b64 exec, exec, s[6:7]
.LBB31_185:
	s_or_b64 exec, exec, s[12:13]
	v_mov_b32_e32 v75, 0
	ds_read_b32 v75, v75 offset:48
	s_waitcnt lgkmcnt(0)
	v_mul_f32_e32 v74, v74, v75
	buffer_store_dword v74, off, s[0:3], 0 offset:48
.LBB31_186:
	s_or_b64 exec, exec, s[10:11]
	buffer_load_dword v74, off, s[0:3], 0 offset:44
	v_cmp_lt_u32_e64 s[6:7], 11, v0
	s_waitcnt vmcnt(0)
	ds_write_b32 v66, v74
	s_waitcnt lgkmcnt(0)
	; wave barrier
	s_waitcnt lgkmcnt(0)
	s_and_saveexec_b64 s[10:11], s[6:7]
	s_cbranch_execz .LBB31_196
; %bb.187:
	s_andn2_b64 vcc, exec, s[8:9]
	s_cbranch_vccnz .LBB31_189
; %bb.188:
	buffer_load_dword v74, v67, s[0:3], 0 offen
	ds_read_b32 v75, v66
	s_waitcnt vmcnt(0) lgkmcnt(0)
	v_mul_f32_e32 v74, v74, v75
	s_cbranch_execz .LBB31_190
	s_branch .LBB31_191
.LBB31_189:
                                        ; implicit-def: $vgpr74
.LBB31_190:
	ds_read_b32 v74, v66
.LBB31_191:
	s_and_saveexec_b64 s[12:13], s[4:5]
	s_cbranch_execz .LBB31_195
; %bb.192:
	v_add_u32_e32 v75, -12, v0
	s_movk_i32 s14, 0xb0
	s_mov_b64 s[4:5], 0
.LBB31_193:                             ; =>This Inner Loop Header: Depth=1
	buffer_load_dword v76, v73, s[0:3], 0 offen
	v_mov_b32_e32 v77, s14
	ds_read_b32 v77, v77
	v_add_u32_e32 v75, -1, v75
	s_add_i32 s14, s14, 4
	v_cmp_eq_u32_e32 vcc, 0, v75
	v_add_u32_e32 v73, 4, v73
	s_or_b64 s[4:5], vcc, s[4:5]
	s_waitcnt vmcnt(0) lgkmcnt(0)
	v_fmac_f32_e32 v74, v76, v77
	s_andn2_b64 exec, exec, s[4:5]
	s_cbranch_execnz .LBB31_193
; %bb.194:
	s_or_b64 exec, exec, s[4:5]
.LBB31_195:
	s_or_b64 exec, exec, s[12:13]
	v_mov_b32_e32 v73, 0
	ds_read_b32 v73, v73 offset:44
	s_waitcnt lgkmcnt(0)
	v_mul_f32_e32 v73, v74, v73
	buffer_store_dword v73, off, s[0:3], 0 offset:44
.LBB31_196:
	s_or_b64 exec, exec, s[10:11]
	buffer_load_dword v73, off, s[0:3], 0 offset:40
	v_cmp_lt_u32_e64 s[4:5], 10, v0
	s_waitcnt vmcnt(0)
	ds_write_b32 v66, v73
	s_waitcnt lgkmcnt(0)
	; wave barrier
	s_waitcnt lgkmcnt(0)
	s_and_saveexec_b64 s[10:11], s[4:5]
	s_cbranch_execz .LBB31_206
; %bb.197:
	s_andn2_b64 vcc, exec, s[8:9]
	s_cbranch_vccnz .LBB31_199
; %bb.198:
	buffer_load_dword v73, v67, s[0:3], 0 offen
	ds_read_b32 v74, v66
	s_waitcnt vmcnt(0) lgkmcnt(0)
	v_mul_f32_e32 v73, v73, v74
	s_cbranch_execz .LBB31_200
	s_branch .LBB31_201
.LBB31_199:
                                        ; implicit-def: $vgpr73
.LBB31_200:
	ds_read_b32 v73, v66
.LBB31_201:
	s_and_saveexec_b64 s[12:13], s[6:7]
	s_cbranch_execz .LBB31_205
; %bb.202:
	v_mov_b32_e32 v74, 0
	v_add_u32_e32 v74, 44, v74
	v_add_u32_e32 v75, -11, v0
	s_movk_i32 s14, 0xac
	s_mov_b64 s[6:7], 0
.LBB31_203:                             ; =>This Inner Loop Header: Depth=1
	buffer_load_dword v76, v74, s[0:3], 0 offen
	v_mov_b32_e32 v77, s14
	ds_read_b32 v77, v77
	v_add_u32_e32 v75, -1, v75
	s_add_i32 s14, s14, 4
	v_cmp_eq_u32_e32 vcc, 0, v75
	v_add_u32_e32 v74, 4, v74
	s_or_b64 s[6:7], vcc, s[6:7]
	s_waitcnt vmcnt(0) lgkmcnt(0)
	v_fmac_f32_e32 v73, v76, v77
	s_andn2_b64 exec, exec, s[6:7]
	s_cbranch_execnz .LBB31_203
; %bb.204:
	s_or_b64 exec, exec, s[6:7]
.LBB31_205:
	s_or_b64 exec, exec, s[12:13]
	v_mov_b32_e32 v74, 0
	ds_read_b32 v74, v74 offset:40
	s_waitcnt lgkmcnt(0)
	v_mul_f32_e32 v73, v73, v74
	buffer_store_dword v73, off, s[0:3], 0 offset:40
.LBB31_206:
	s_or_b64 exec, exec, s[10:11]
	buffer_load_dword v73, off, s[0:3], 0 offset:36
	v_cmp_lt_u32_e64 s[6:7], 9, v0
	s_waitcnt vmcnt(0)
	ds_write_b32 v66, v73
	s_waitcnt lgkmcnt(0)
	; wave barrier
	s_waitcnt lgkmcnt(0)
	s_and_saveexec_b64 s[10:11], s[6:7]
	s_cbranch_execz .LBB31_216
; %bb.207:
	s_andn2_b64 vcc, exec, s[8:9]
	s_cbranch_vccnz .LBB31_209
; %bb.208:
	buffer_load_dword v73, v67, s[0:3], 0 offen
	ds_read_b32 v74, v66
	s_waitcnt vmcnt(0) lgkmcnt(0)
	v_mul_f32_e32 v73, v73, v74
	s_cbranch_execz .LBB31_210
	s_branch .LBB31_211
.LBB31_209:
                                        ; implicit-def: $vgpr73
.LBB31_210:
	ds_read_b32 v73, v66
.LBB31_211:
	s_and_saveexec_b64 s[12:13], s[4:5]
	s_cbranch_execz .LBB31_215
; %bb.212:
	v_add_u32_e32 v74, -10, v0
	s_movk_i32 s14, 0xa8
	s_mov_b64 s[4:5], 0
.LBB31_213:                             ; =>This Inner Loop Header: Depth=1
	buffer_load_dword v75, v72, s[0:3], 0 offen
	v_mov_b32_e32 v76, s14
	ds_read_b32 v76, v76
	v_add_u32_e32 v74, -1, v74
	s_add_i32 s14, s14, 4
	v_cmp_eq_u32_e32 vcc, 0, v74
	v_add_u32_e32 v72, 4, v72
	s_or_b64 s[4:5], vcc, s[4:5]
	s_waitcnt vmcnt(0) lgkmcnt(0)
	v_fmac_f32_e32 v73, v75, v76
	s_andn2_b64 exec, exec, s[4:5]
	s_cbranch_execnz .LBB31_213
; %bb.214:
	s_or_b64 exec, exec, s[4:5]
.LBB31_215:
	s_or_b64 exec, exec, s[12:13]
	v_mov_b32_e32 v72, 0
	ds_read_b32 v72, v72 offset:36
	s_waitcnt lgkmcnt(0)
	v_mul_f32_e32 v72, v73, v72
	buffer_store_dword v72, off, s[0:3], 0 offset:36
.LBB31_216:
	s_or_b64 exec, exec, s[10:11]
	buffer_load_dword v72, off, s[0:3], 0 offset:32
	v_cmp_lt_u32_e64 s[4:5], 8, v0
	s_waitcnt vmcnt(0)
	ds_write_b32 v66, v72
	s_waitcnt lgkmcnt(0)
	; wave barrier
	s_waitcnt lgkmcnt(0)
	s_and_saveexec_b64 s[10:11], s[4:5]
	s_cbranch_execz .LBB31_226
; %bb.217:
	s_andn2_b64 vcc, exec, s[8:9]
	s_cbranch_vccnz .LBB31_219
; %bb.218:
	buffer_load_dword v72, v67, s[0:3], 0 offen
	ds_read_b32 v73, v66
	s_waitcnt vmcnt(0) lgkmcnt(0)
	v_mul_f32_e32 v72, v72, v73
	s_cbranch_execz .LBB31_220
	s_branch .LBB31_221
.LBB31_219:
                                        ; implicit-def: $vgpr72
.LBB31_220:
	ds_read_b32 v72, v66
.LBB31_221:
	s_and_saveexec_b64 s[12:13], s[6:7]
	s_cbranch_execz .LBB31_225
; %bb.222:
	v_mov_b32_e32 v73, 0
	v_add_u32_e32 v73, 36, v73
	v_add_u32_e32 v74, -9, v0
	s_movk_i32 s14, 0xa4
	s_mov_b64 s[6:7], 0
.LBB31_223:                             ; =>This Inner Loop Header: Depth=1
	buffer_load_dword v75, v73, s[0:3], 0 offen
	v_mov_b32_e32 v76, s14
	ds_read_b32 v76, v76
	v_add_u32_e32 v74, -1, v74
	s_add_i32 s14, s14, 4
	v_cmp_eq_u32_e32 vcc, 0, v74
	v_add_u32_e32 v73, 4, v73
	s_or_b64 s[6:7], vcc, s[6:7]
	s_waitcnt vmcnt(0) lgkmcnt(0)
	v_fmac_f32_e32 v72, v75, v76
	s_andn2_b64 exec, exec, s[6:7]
	s_cbranch_execnz .LBB31_223
; %bb.224:
	s_or_b64 exec, exec, s[6:7]
.LBB31_225:
	s_or_b64 exec, exec, s[12:13]
	v_mov_b32_e32 v73, 0
	ds_read_b32 v73, v73 offset:32
	s_waitcnt lgkmcnt(0)
	v_mul_f32_e32 v72, v72, v73
	buffer_store_dword v72, off, s[0:3], 0 offset:32
.LBB31_226:
	s_or_b64 exec, exec, s[10:11]
	buffer_load_dword v72, off, s[0:3], 0 offset:28
	v_cmp_lt_u32_e64 s[6:7], 7, v0
	s_waitcnt vmcnt(0)
	ds_write_b32 v66, v72
	s_waitcnt lgkmcnt(0)
	; wave barrier
	s_waitcnt lgkmcnt(0)
	s_and_saveexec_b64 s[10:11], s[6:7]
	s_cbranch_execz .LBB31_236
; %bb.227:
	s_andn2_b64 vcc, exec, s[8:9]
	s_cbranch_vccnz .LBB31_229
; %bb.228:
	buffer_load_dword v72, v67, s[0:3], 0 offen
	ds_read_b32 v73, v66
	s_waitcnt vmcnt(0) lgkmcnt(0)
	v_mul_f32_e32 v72, v72, v73
	s_cbranch_execz .LBB31_230
	s_branch .LBB31_231
.LBB31_229:
                                        ; implicit-def: $vgpr72
.LBB31_230:
	ds_read_b32 v72, v66
.LBB31_231:
	s_and_saveexec_b64 s[12:13], s[4:5]
	s_cbranch_execz .LBB31_235
; %bb.232:
	v_add_u32_e32 v73, -8, v0
	s_movk_i32 s14, 0xa0
	s_mov_b64 s[4:5], 0
.LBB31_233:                             ; =>This Inner Loop Header: Depth=1
	buffer_load_dword v74, v71, s[0:3], 0 offen
	v_mov_b32_e32 v75, s14
	ds_read_b32 v75, v75
	v_add_u32_e32 v73, -1, v73
	s_add_i32 s14, s14, 4
	v_cmp_eq_u32_e32 vcc, 0, v73
	v_add_u32_e32 v71, 4, v71
	s_or_b64 s[4:5], vcc, s[4:5]
	s_waitcnt vmcnt(0) lgkmcnt(0)
	v_fmac_f32_e32 v72, v74, v75
	s_andn2_b64 exec, exec, s[4:5]
	s_cbranch_execnz .LBB31_233
; %bb.234:
	s_or_b64 exec, exec, s[4:5]
.LBB31_235:
	s_or_b64 exec, exec, s[12:13]
	v_mov_b32_e32 v71, 0
	ds_read_b32 v71, v71 offset:28
	s_waitcnt lgkmcnt(0)
	v_mul_f32_e32 v71, v72, v71
	buffer_store_dword v71, off, s[0:3], 0 offset:28
.LBB31_236:
	s_or_b64 exec, exec, s[10:11]
	buffer_load_dword v71, off, s[0:3], 0 offset:24
	v_cmp_lt_u32_e64 s[4:5], 6, v0
	s_waitcnt vmcnt(0)
	ds_write_b32 v66, v71
	s_waitcnt lgkmcnt(0)
	; wave barrier
	s_waitcnt lgkmcnt(0)
	s_and_saveexec_b64 s[10:11], s[4:5]
	s_cbranch_execz .LBB31_246
; %bb.237:
	s_andn2_b64 vcc, exec, s[8:9]
	s_cbranch_vccnz .LBB31_239
; %bb.238:
	buffer_load_dword v71, v67, s[0:3], 0 offen
	ds_read_b32 v72, v66
	s_waitcnt vmcnt(0) lgkmcnt(0)
	v_mul_f32_e32 v71, v71, v72
	s_cbranch_execz .LBB31_240
	s_branch .LBB31_241
.LBB31_239:
                                        ; implicit-def: $vgpr71
.LBB31_240:
	ds_read_b32 v71, v66
.LBB31_241:
	s_and_saveexec_b64 s[12:13], s[6:7]
	s_cbranch_execz .LBB31_245
; %bb.242:
	v_mov_b32_e32 v72, 0
	v_add_u32_e32 v72, 28, v72
	v_add_u32_e32 v73, -7, v0
	s_movk_i32 s14, 0x9c
	s_mov_b64 s[6:7], 0
.LBB31_243:                             ; =>This Inner Loop Header: Depth=1
	buffer_load_dword v74, v72, s[0:3], 0 offen
	v_mov_b32_e32 v75, s14
	ds_read_b32 v75, v75
	v_add_u32_e32 v73, -1, v73
	s_add_i32 s14, s14, 4
	v_cmp_eq_u32_e32 vcc, 0, v73
	v_add_u32_e32 v72, 4, v72
	s_or_b64 s[6:7], vcc, s[6:7]
	s_waitcnt vmcnt(0) lgkmcnt(0)
	v_fmac_f32_e32 v71, v74, v75
	s_andn2_b64 exec, exec, s[6:7]
	s_cbranch_execnz .LBB31_243
; %bb.244:
	s_or_b64 exec, exec, s[6:7]
.LBB31_245:
	s_or_b64 exec, exec, s[12:13]
	v_mov_b32_e32 v72, 0
	ds_read_b32 v72, v72 offset:24
	s_waitcnt lgkmcnt(0)
	v_mul_f32_e32 v71, v71, v72
	buffer_store_dword v71, off, s[0:3], 0 offset:24
.LBB31_246:
	s_or_b64 exec, exec, s[10:11]
	buffer_load_dword v71, off, s[0:3], 0 offset:20
	v_cmp_lt_u32_e64 s[6:7], 5, v0
	s_waitcnt vmcnt(0)
	ds_write_b32 v66, v71
	s_waitcnt lgkmcnt(0)
	; wave barrier
	s_waitcnt lgkmcnt(0)
	s_and_saveexec_b64 s[10:11], s[6:7]
	s_cbranch_execz .LBB31_256
; %bb.247:
	s_andn2_b64 vcc, exec, s[8:9]
	s_cbranch_vccnz .LBB31_249
; %bb.248:
	buffer_load_dword v71, v67, s[0:3], 0 offen
	ds_read_b32 v72, v66
	s_waitcnt vmcnt(0) lgkmcnt(0)
	v_mul_f32_e32 v71, v71, v72
	s_cbranch_execz .LBB31_250
	s_branch .LBB31_251
.LBB31_249:
                                        ; implicit-def: $vgpr71
.LBB31_250:
	ds_read_b32 v71, v66
.LBB31_251:
	s_and_saveexec_b64 s[12:13], s[4:5]
	s_cbranch_execz .LBB31_255
; %bb.252:
	v_add_u32_e32 v72, -6, v0
	s_movk_i32 s14, 0x98
	s_mov_b64 s[4:5], 0
.LBB31_253:                             ; =>This Inner Loop Header: Depth=1
	buffer_load_dword v73, v70, s[0:3], 0 offen
	v_mov_b32_e32 v74, s14
	ds_read_b32 v74, v74
	v_add_u32_e32 v72, -1, v72
	s_add_i32 s14, s14, 4
	v_cmp_eq_u32_e32 vcc, 0, v72
	v_add_u32_e32 v70, 4, v70
	s_or_b64 s[4:5], vcc, s[4:5]
	s_waitcnt vmcnt(0) lgkmcnt(0)
	v_fmac_f32_e32 v71, v73, v74
	s_andn2_b64 exec, exec, s[4:5]
	s_cbranch_execnz .LBB31_253
; %bb.254:
	s_or_b64 exec, exec, s[4:5]
.LBB31_255:
	s_or_b64 exec, exec, s[12:13]
	v_mov_b32_e32 v70, 0
	ds_read_b32 v70, v70 offset:20
	s_waitcnt lgkmcnt(0)
	v_mul_f32_e32 v70, v71, v70
	buffer_store_dword v70, off, s[0:3], 0 offset:20
.LBB31_256:
	s_or_b64 exec, exec, s[10:11]
	buffer_load_dword v70, off, s[0:3], 0 offset:16
	v_cmp_lt_u32_e64 s[4:5], 4, v0
	s_waitcnt vmcnt(0)
	ds_write_b32 v66, v70
	s_waitcnt lgkmcnt(0)
	; wave barrier
	s_waitcnt lgkmcnt(0)
	s_and_saveexec_b64 s[10:11], s[4:5]
	s_cbranch_execz .LBB31_266
; %bb.257:
	s_andn2_b64 vcc, exec, s[8:9]
	s_cbranch_vccnz .LBB31_259
; %bb.258:
	buffer_load_dword v70, v67, s[0:3], 0 offen
	ds_read_b32 v71, v66
	s_waitcnt vmcnt(0) lgkmcnt(0)
	v_mul_f32_e32 v70, v70, v71
	s_cbranch_execz .LBB31_260
	s_branch .LBB31_261
.LBB31_259:
                                        ; implicit-def: $vgpr70
.LBB31_260:
	ds_read_b32 v70, v66
.LBB31_261:
	s_and_saveexec_b64 s[12:13], s[6:7]
	s_cbranch_execz .LBB31_265
; %bb.262:
	v_mov_b32_e32 v71, 0
	v_add_u32_e32 v71, 20, v71
	v_add_u32_e32 v72, -5, v0
	s_movk_i32 s14, 0x94
	s_mov_b64 s[6:7], 0
.LBB31_263:                             ; =>This Inner Loop Header: Depth=1
	buffer_load_dword v73, v71, s[0:3], 0 offen
	v_mov_b32_e32 v74, s14
	ds_read_b32 v74, v74
	v_add_u32_e32 v72, -1, v72
	s_add_i32 s14, s14, 4
	v_cmp_eq_u32_e32 vcc, 0, v72
	v_add_u32_e32 v71, 4, v71
	s_or_b64 s[6:7], vcc, s[6:7]
	s_waitcnt vmcnt(0) lgkmcnt(0)
	v_fmac_f32_e32 v70, v73, v74
	s_andn2_b64 exec, exec, s[6:7]
	s_cbranch_execnz .LBB31_263
; %bb.264:
	s_or_b64 exec, exec, s[6:7]
.LBB31_265:
	s_or_b64 exec, exec, s[12:13]
	v_mov_b32_e32 v71, 0
	ds_read_b32 v71, v71 offset:16
	s_waitcnt lgkmcnt(0)
	v_mul_f32_e32 v70, v70, v71
	buffer_store_dword v70, off, s[0:3], 0 offset:16
.LBB31_266:
	s_or_b64 exec, exec, s[10:11]
	buffer_load_dword v70, off, s[0:3], 0 offset:12
	v_cmp_lt_u32_e64 s[6:7], 3, v0
	s_waitcnt vmcnt(0)
	ds_write_b32 v66, v70
	s_waitcnt lgkmcnt(0)
	; wave barrier
	s_waitcnt lgkmcnt(0)
	s_and_saveexec_b64 s[10:11], s[6:7]
	s_cbranch_execz .LBB31_276
; %bb.267:
	s_andn2_b64 vcc, exec, s[8:9]
	s_cbranch_vccnz .LBB31_269
; %bb.268:
	buffer_load_dword v70, v67, s[0:3], 0 offen
	ds_read_b32 v71, v66
	s_waitcnt vmcnt(0) lgkmcnt(0)
	v_mul_f32_e32 v70, v70, v71
	s_cbranch_execz .LBB31_270
	s_branch .LBB31_271
.LBB31_269:
                                        ; implicit-def: $vgpr70
.LBB31_270:
	ds_read_b32 v70, v66
.LBB31_271:
	s_and_saveexec_b64 s[12:13], s[4:5]
	s_cbranch_execz .LBB31_275
; %bb.272:
	v_add_u32_e32 v71, -4, v0
	s_movk_i32 s14, 0x90
	s_mov_b64 s[4:5], 0
.LBB31_273:                             ; =>This Inner Loop Header: Depth=1
	buffer_load_dword v72, v69, s[0:3], 0 offen
	v_mov_b32_e32 v73, s14
	ds_read_b32 v73, v73
	v_add_u32_e32 v71, -1, v71
	s_add_i32 s14, s14, 4
	v_cmp_eq_u32_e32 vcc, 0, v71
	v_add_u32_e32 v69, 4, v69
	s_or_b64 s[4:5], vcc, s[4:5]
	s_waitcnt vmcnt(0) lgkmcnt(0)
	v_fmac_f32_e32 v70, v72, v73
	s_andn2_b64 exec, exec, s[4:5]
	s_cbranch_execnz .LBB31_273
; %bb.274:
	s_or_b64 exec, exec, s[4:5]
.LBB31_275:
	s_or_b64 exec, exec, s[12:13]
	v_mov_b32_e32 v69, 0
	ds_read_b32 v69, v69 offset:12
	s_waitcnt lgkmcnt(0)
	v_mul_f32_e32 v69, v70, v69
	buffer_store_dword v69, off, s[0:3], 0 offset:12
.LBB31_276:
	s_or_b64 exec, exec, s[10:11]
	buffer_load_dword v69, off, s[0:3], 0 offset:8
	v_cmp_lt_u32_e64 s[4:5], 2, v0
	s_waitcnt vmcnt(0)
	ds_write_b32 v66, v69
	s_waitcnt lgkmcnt(0)
	; wave barrier
	s_waitcnt lgkmcnt(0)
	s_and_saveexec_b64 s[10:11], s[4:5]
	s_cbranch_execz .LBB31_286
; %bb.277:
	s_andn2_b64 vcc, exec, s[8:9]
	s_cbranch_vccnz .LBB31_279
; %bb.278:
	buffer_load_dword v69, v67, s[0:3], 0 offen
	ds_read_b32 v70, v66
	s_waitcnt vmcnt(0) lgkmcnt(0)
	v_mul_f32_e32 v69, v69, v70
	s_cbranch_execz .LBB31_280
	s_branch .LBB31_281
.LBB31_279:
                                        ; implicit-def: $vgpr69
.LBB31_280:
	ds_read_b32 v69, v66
.LBB31_281:
	s_and_saveexec_b64 s[12:13], s[6:7]
	s_cbranch_execz .LBB31_285
; %bb.282:
	v_mov_b32_e32 v70, 0
	v_or_b32_e32 v70, 12, v70
	v_add_u32_e32 v71, -3, v0
	s_movk_i32 s14, 0x8c
	s_mov_b64 s[6:7], 0
.LBB31_283:                             ; =>This Inner Loop Header: Depth=1
	buffer_load_dword v72, v70, s[0:3], 0 offen
	v_mov_b32_e32 v73, s14
	ds_read_b32 v73, v73
	v_add_u32_e32 v71, -1, v71
	s_add_i32 s14, s14, 4
	v_cmp_eq_u32_e32 vcc, 0, v71
	v_add_u32_e32 v70, 4, v70
	s_or_b64 s[6:7], vcc, s[6:7]
	s_waitcnt vmcnt(0) lgkmcnt(0)
	v_fmac_f32_e32 v69, v72, v73
	s_andn2_b64 exec, exec, s[6:7]
	s_cbranch_execnz .LBB31_283
; %bb.284:
	s_or_b64 exec, exec, s[6:7]
.LBB31_285:
	s_or_b64 exec, exec, s[12:13]
	v_mov_b32_e32 v70, 0
	ds_read_b32 v70, v70 offset:8
	s_waitcnt lgkmcnt(0)
	v_mul_f32_e32 v69, v69, v70
	buffer_store_dword v69, off, s[0:3], 0 offset:8
.LBB31_286:
	s_or_b64 exec, exec, s[10:11]
	buffer_load_dword v69, off, s[0:3], 0 offset:4
	v_cmp_lt_u32_e64 s[6:7], 1, v0
	s_waitcnt vmcnt(0)
	ds_write_b32 v66, v69
	s_waitcnt lgkmcnt(0)
	; wave barrier
	s_waitcnt lgkmcnt(0)
	s_and_saveexec_b64 s[10:11], s[6:7]
	s_cbranch_execz .LBB31_296
; %bb.287:
	s_andn2_b64 vcc, exec, s[8:9]
	s_cbranch_vccnz .LBB31_289
; %bb.288:
	buffer_load_dword v69, v67, s[0:3], 0 offen
	ds_read_b32 v70, v66
	s_waitcnt vmcnt(0) lgkmcnt(0)
	v_mul_f32_e32 v69, v69, v70
	s_cbranch_execz .LBB31_290
	s_branch .LBB31_291
.LBB31_289:
                                        ; implicit-def: $vgpr69
.LBB31_290:
	ds_read_b32 v69, v66
.LBB31_291:
	s_and_saveexec_b64 s[12:13], s[4:5]
	s_cbranch_execz .LBB31_295
; %bb.292:
	v_add_u32_e32 v70, -2, v0
	s_movk_i32 s14, 0x88
	s_mov_b64 s[4:5], 0
.LBB31_293:                             ; =>This Inner Loop Header: Depth=1
	buffer_load_dword v71, v68, s[0:3], 0 offen
	v_mov_b32_e32 v72, s14
	ds_read_b32 v72, v72
	v_add_u32_e32 v70, -1, v70
	s_add_i32 s14, s14, 4
	v_cmp_eq_u32_e32 vcc, 0, v70
	v_add_u32_e32 v68, 4, v68
	s_or_b64 s[4:5], vcc, s[4:5]
	s_waitcnt vmcnt(0) lgkmcnt(0)
	v_fmac_f32_e32 v69, v71, v72
	s_andn2_b64 exec, exec, s[4:5]
	s_cbranch_execnz .LBB31_293
; %bb.294:
	s_or_b64 exec, exec, s[4:5]
.LBB31_295:
	s_or_b64 exec, exec, s[12:13]
	v_mov_b32_e32 v68, 0
	ds_read_b32 v68, v68 offset:4
	s_waitcnt lgkmcnt(0)
	v_mul_f32_e32 v68, v69, v68
	buffer_store_dword v68, off, s[0:3], 0 offset:4
.LBB31_296:
	s_or_b64 exec, exec, s[10:11]
	buffer_load_dword v68, off, s[0:3], 0
	v_cmp_ne_u32_e32 vcc, 0, v0
	s_waitcnt vmcnt(0)
	ds_write_b32 v66, v68
	s_waitcnt lgkmcnt(0)
	; wave barrier
	s_waitcnt lgkmcnt(0)
	s_and_saveexec_b64 s[4:5], vcc
	s_cbranch_execz .LBB31_306
; %bb.297:
	s_andn2_b64 vcc, exec, s[8:9]
	s_cbranch_vccnz .LBB31_299
; %bb.298:
	buffer_load_dword v68, v67, s[0:3], 0 offen
	ds_read_b32 v69, v66
	s_waitcnt vmcnt(0) lgkmcnt(0)
	v_mul_f32_e32 v68, v68, v69
	s_cbranch_execz .LBB31_300
	s_branch .LBB31_301
.LBB31_299:
                                        ; implicit-def: $vgpr68
.LBB31_300:
	ds_read_b32 v68, v66
.LBB31_301:
	s_and_saveexec_b64 s[10:11], s[6:7]
	s_cbranch_execz .LBB31_305
; %bb.302:
	v_mov_b32_e32 v69, 0
	v_or_b32_e32 v69, 4, v69
	v_add_u32_e32 v70, -1, v0
	s_movk_i32 s12, 0x84
	s_mov_b64 s[6:7], 0
.LBB31_303:                             ; =>This Inner Loop Header: Depth=1
	buffer_load_dword v71, v69, s[0:3], 0 offen
	v_mov_b32_e32 v72, s12
	ds_read_b32 v72, v72
	v_add_u32_e32 v70, -1, v70
	s_add_i32 s12, s12, 4
	v_cmp_eq_u32_e32 vcc, 0, v70
	v_add_u32_e32 v69, 4, v69
	s_or_b64 s[6:7], vcc, s[6:7]
	s_waitcnt vmcnt(0) lgkmcnt(0)
	v_fmac_f32_e32 v68, v71, v72
	s_andn2_b64 exec, exec, s[6:7]
	s_cbranch_execnz .LBB31_303
; %bb.304:
	s_or_b64 exec, exec, s[6:7]
.LBB31_305:
	s_or_b64 exec, exec, s[10:11]
	v_mov_b32_e32 v69, 0
	ds_read_b32 v69, v69
	s_waitcnt lgkmcnt(0)
	v_mul_f32_e32 v68, v68, v69
	buffer_store_dword v68, off, s[0:3], 0
.LBB31_306:
	s_or_b64 exec, exec, s[4:5]
	s_mov_b64 s[4:5], 0
.LBB31_307:
	s_and_b64 vcc, exec, s[4:5]
	s_cbranch_vccz .LBB31_611
; %bb.308:
	buffer_load_dword v68, off, s[0:3], 0 offset:4
	v_cmp_eq_u32_e64 s[6:7], 0, v0
	s_waitcnt vmcnt(0)
	ds_write_b32 v66, v68
	s_waitcnt lgkmcnt(0)
	; wave barrier
	s_waitcnt lgkmcnt(0)
	s_and_saveexec_b64 s[4:5], s[6:7]
	s_cbranch_execz .LBB31_314
; %bb.309:
	s_and_b64 vcc, exec, s[8:9]
	s_cbranch_vccz .LBB31_311
; %bb.310:
	buffer_load_dword v68, v67, s[0:3], 0 offen
	ds_read_b32 v69, v66
	s_waitcnt vmcnt(0) lgkmcnt(0)
	v_mul_f32_e32 v68, v68, v69
	s_cbranch_execz .LBB31_312
	s_branch .LBB31_313
.LBB31_311:
                                        ; implicit-def: $vgpr68
.LBB31_312:
	ds_read_b32 v68, v66
.LBB31_313:
	v_mov_b32_e32 v69, 0
	ds_read_b32 v69, v69 offset:4
	s_waitcnt lgkmcnt(0)
	v_mul_f32_e32 v68, v68, v69
	buffer_store_dword v68, off, s[0:3], 0 offset:4
.LBB31_314:
	s_or_b64 exec, exec, s[4:5]
	buffer_load_dword v68, off, s[0:3], 0 offset:8
	v_cndmask_b32_e64 v69, 0, 1, s[8:9]
	v_cmp_gt_u32_e32 vcc, 2, v0
	v_cmp_ne_u32_e64 s[4:5], 1, v69
	s_waitcnt vmcnt(0)
	ds_write_b32 v66, v68
	s_waitcnt lgkmcnt(0)
	; wave barrier
	s_waitcnt lgkmcnt(0)
	s_and_saveexec_b64 s[8:9], vcc
	s_cbranch_execz .LBB31_322
; %bb.315:
	s_and_b64 vcc, exec, s[4:5]
	s_cbranch_vccnz .LBB31_317
; %bb.316:
	buffer_load_dword v68, v67, s[0:3], 0 offen
	ds_read_b32 v69, v66
	s_waitcnt vmcnt(0) lgkmcnt(0)
	v_mul_f32_e32 v68, v68, v69
	s_cbranch_execz .LBB31_318
	s_branch .LBB31_319
.LBB31_317:
                                        ; implicit-def: $vgpr68
.LBB31_318:
	ds_read_b32 v68, v66
.LBB31_319:
	s_and_saveexec_b64 s[10:11], s[6:7]
	s_cbranch_execz .LBB31_321
; %bb.320:
	buffer_load_dword v69, v67, s[0:3], 0 offen offset:4
	ds_read_b32 v70, v66 offset:4
	s_waitcnt vmcnt(0) lgkmcnt(0)
	v_fmac_f32_e32 v68, v69, v70
.LBB31_321:
	s_or_b64 exec, exec, s[10:11]
	v_mov_b32_e32 v69, 0
	ds_read_b32 v69, v69 offset:8
	s_waitcnt lgkmcnt(0)
	v_mul_f32_e32 v68, v68, v69
	buffer_store_dword v68, off, s[0:3], 0 offset:8
.LBB31_322:
	s_or_b64 exec, exec, s[8:9]
	buffer_load_dword v68, off, s[0:3], 0 offset:12
	v_cmp_gt_u32_e32 vcc, 3, v0
	s_waitcnt vmcnt(0)
	ds_write_b32 v66, v68
	s_waitcnt lgkmcnt(0)
	; wave barrier
	s_waitcnt lgkmcnt(0)
	s_and_saveexec_b64 s[8:9], vcc
	s_cbranch_execz .LBB31_330
; %bb.323:
	s_and_b64 vcc, exec, s[4:5]
	s_cbranch_vccnz .LBB31_325
; %bb.324:
	buffer_load_dword v68, v67, s[0:3], 0 offen
	ds_read_b32 v69, v66
	s_waitcnt vmcnt(0) lgkmcnt(0)
	v_mul_f32_e32 v68, v68, v69
	s_cbranch_execz .LBB31_326
	s_branch .LBB31_327
.LBB31_325:
                                        ; implicit-def: $vgpr68
.LBB31_326:
	ds_read_b32 v68, v66
.LBB31_327:
	v_cmp_ne_u32_e32 vcc, 2, v0
	s_and_saveexec_b64 s[10:11], vcc
	s_cbranch_execz .LBB31_329
; %bb.328:
	buffer_load_dword v69, v67, s[0:3], 0 offen offset:4
	buffer_load_dword v70, off, s[0:3], 0 offset:8
	v_mov_b32_e32 v71, 0
	ds_read_b32 v72, v66 offset:4
	ds_read_b32 v71, v71 offset:136
	s_waitcnt vmcnt(1) lgkmcnt(1)
	v_fmac_f32_e32 v68, v69, v72
	s_waitcnt vmcnt(0) lgkmcnt(0)
	v_fma_f32 v69, v70, v71, v68
	v_cndmask_b32_e64 v68, v68, v69, s[6:7]
.LBB31_329:
	s_or_b64 exec, exec, s[10:11]
	v_mov_b32_e32 v69, 0
	ds_read_b32 v69, v69 offset:12
	s_waitcnt lgkmcnt(0)
	v_mul_f32_e32 v68, v68, v69
	buffer_store_dword v68, off, s[0:3], 0 offset:12
.LBB31_330:
	s_or_b64 exec, exec, s[8:9]
	buffer_load_dword v68, off, s[0:3], 0 offset:16
	v_cmp_gt_u32_e32 vcc, 4, v0
	s_waitcnt vmcnt(0)
	ds_write_b32 v66, v68
	s_waitcnt lgkmcnt(0)
	; wave barrier
	s_waitcnt lgkmcnt(0)
	s_and_saveexec_b64 s[6:7], vcc
	s_cbranch_execz .LBB31_340
; %bb.331:
	s_and_b64 vcc, exec, s[4:5]
	s_cbranch_vccnz .LBB31_333
; %bb.332:
	buffer_load_dword v68, v67, s[0:3], 0 offen
	ds_read_b32 v69, v66
	s_waitcnt vmcnt(0) lgkmcnt(0)
	v_mul_f32_e32 v68, v68, v69
	s_cbranch_execz .LBB31_334
	s_branch .LBB31_335
.LBB31_333:
                                        ; implicit-def: $vgpr68
.LBB31_334:
	ds_read_b32 v68, v66
.LBB31_335:
	v_cmp_ne_u32_e32 vcc, 3, v0
	s_and_saveexec_b64 s[8:9], vcc
	s_cbranch_execz .LBB31_339
; %bb.336:
	v_mov_b32_e32 v70, 0
	v_add_u32_e32 v69, 0x84, v1
	v_add3_u32 v70, v1, v70, 4
	s_mov_b64 s[10:11], 0
	v_mov_b32_e32 v71, v0
.LBB31_337:                             ; =>This Inner Loop Header: Depth=1
	buffer_load_dword v72, v70, s[0:3], 0 offen
	ds_read_b32 v73, v69
	v_add_u32_e32 v71, 1, v71
	v_cmp_lt_u32_e32 vcc, 2, v71
	v_add_u32_e32 v69, 4, v69
	v_add_u32_e32 v70, 4, v70
	s_or_b64 s[10:11], vcc, s[10:11]
	s_waitcnt vmcnt(0) lgkmcnt(0)
	v_fmac_f32_e32 v68, v72, v73
	s_andn2_b64 exec, exec, s[10:11]
	s_cbranch_execnz .LBB31_337
; %bb.338:
	s_or_b64 exec, exec, s[10:11]
.LBB31_339:
	s_or_b64 exec, exec, s[8:9]
	v_mov_b32_e32 v69, 0
	ds_read_b32 v69, v69 offset:16
	s_waitcnt lgkmcnt(0)
	v_mul_f32_e32 v68, v68, v69
	buffer_store_dword v68, off, s[0:3], 0 offset:16
.LBB31_340:
	s_or_b64 exec, exec, s[6:7]
	buffer_load_dword v68, off, s[0:3], 0 offset:20
	v_cmp_gt_u32_e32 vcc, 5, v0
	s_waitcnt vmcnt(0)
	ds_write_b32 v66, v68
	s_waitcnt lgkmcnt(0)
	; wave barrier
	s_waitcnt lgkmcnt(0)
	s_and_saveexec_b64 s[6:7], vcc
	s_cbranch_execz .LBB31_350
; %bb.341:
	s_and_b64 vcc, exec, s[4:5]
	s_cbranch_vccnz .LBB31_343
; %bb.342:
	buffer_load_dword v68, v67, s[0:3], 0 offen
	ds_read_b32 v69, v66
	s_waitcnt vmcnt(0) lgkmcnt(0)
	v_mul_f32_e32 v68, v68, v69
	s_cbranch_execz .LBB31_344
	s_branch .LBB31_345
.LBB31_343:
                                        ; implicit-def: $vgpr68
.LBB31_344:
	ds_read_b32 v68, v66
.LBB31_345:
	v_cmp_ne_u32_e32 vcc, 4, v0
	s_and_saveexec_b64 s[8:9], vcc
	s_cbranch_execz .LBB31_349
; %bb.346:
	v_mov_b32_e32 v70, 0
	v_add_u32_e32 v69, 0x84, v1
	v_add3_u32 v70, v1, v70, 4
	s_mov_b64 s[10:11], 0
	v_mov_b32_e32 v71, v0
.LBB31_347:                             ; =>This Inner Loop Header: Depth=1
	buffer_load_dword v72, v70, s[0:3], 0 offen
	ds_read_b32 v73, v69
	v_add_u32_e32 v71, 1, v71
	v_cmp_lt_u32_e32 vcc, 3, v71
	v_add_u32_e32 v69, 4, v69
	v_add_u32_e32 v70, 4, v70
	s_or_b64 s[10:11], vcc, s[10:11]
	s_waitcnt vmcnt(0) lgkmcnt(0)
	v_fmac_f32_e32 v68, v72, v73
	s_andn2_b64 exec, exec, s[10:11]
	s_cbranch_execnz .LBB31_347
; %bb.348:
	s_or_b64 exec, exec, s[10:11]
.LBB31_349:
	s_or_b64 exec, exec, s[8:9]
	v_mov_b32_e32 v69, 0
	ds_read_b32 v69, v69 offset:20
	s_waitcnt lgkmcnt(0)
	v_mul_f32_e32 v68, v68, v69
	buffer_store_dword v68, off, s[0:3], 0 offset:20
.LBB31_350:
	;; [unrolled: 56-line block ×26, first 2 shown]
	s_or_b64 exec, exec, s[6:7]
	buffer_load_dword v68, off, s[0:3], 0 offset:120
	v_cmp_gt_u32_e64 s[6:7], 30, v0
	s_waitcnt vmcnt(0)
	ds_write_b32 v66, v68
	s_waitcnt lgkmcnt(0)
	; wave barrier
	s_waitcnt lgkmcnt(0)
	s_and_saveexec_b64 s[8:9], s[6:7]
	s_cbranch_execz .LBB31_600
; %bb.591:
	s_and_b64 vcc, exec, s[4:5]
	s_cbranch_vccnz .LBB31_593
; %bb.592:
	buffer_load_dword v68, v67, s[0:3], 0 offen
	ds_read_b32 v69, v66
	s_waitcnt vmcnt(0) lgkmcnt(0)
	v_mul_f32_e32 v68, v68, v69
	s_cbranch_execz .LBB31_594
	s_branch .LBB31_595
.LBB31_593:
                                        ; implicit-def: $vgpr68
.LBB31_594:
	ds_read_b32 v68, v66
.LBB31_595:
	v_cmp_ne_u32_e32 vcc, 29, v0
	s_and_saveexec_b64 s[10:11], vcc
	s_cbranch_execz .LBB31_599
; %bb.596:
	v_mov_b32_e32 v70, 0
	v_add_u32_e32 v69, 0x84, v1
	v_add3_u32 v70, v1, v70, 4
	s_mov_b64 s[12:13], 0
	v_mov_b32_e32 v71, v0
.LBB31_597:                             ; =>This Inner Loop Header: Depth=1
	buffer_load_dword v72, v70, s[0:3], 0 offen
	ds_read_b32 v73, v69
	v_add_u32_e32 v71, 1, v71
	v_cmp_lt_u32_e32 vcc, 28, v71
	v_add_u32_e32 v69, 4, v69
	v_add_u32_e32 v70, 4, v70
	s_or_b64 s[12:13], vcc, s[12:13]
	s_waitcnt vmcnt(0) lgkmcnt(0)
	v_fmac_f32_e32 v68, v72, v73
	s_andn2_b64 exec, exec, s[12:13]
	s_cbranch_execnz .LBB31_597
; %bb.598:
	s_or_b64 exec, exec, s[12:13]
.LBB31_599:
	s_or_b64 exec, exec, s[10:11]
	v_mov_b32_e32 v69, 0
	ds_read_b32 v69, v69 offset:120
	s_waitcnt lgkmcnt(0)
	v_mul_f32_e32 v68, v68, v69
	buffer_store_dword v68, off, s[0:3], 0 offset:120
.LBB31_600:
	s_or_b64 exec, exec, s[8:9]
	buffer_load_dword v68, off, s[0:3], 0 offset:124
	v_cmp_ne_u32_e32 vcc, 31, v0
	s_waitcnt vmcnt(0)
	ds_write_b32 v66, v68
	s_waitcnt lgkmcnt(0)
	; wave barrier
	s_waitcnt lgkmcnt(0)
	s_and_saveexec_b64 s[8:9], vcc
	s_cbranch_execz .LBB31_610
; %bb.601:
	s_and_b64 vcc, exec, s[4:5]
	s_cbranch_vccnz .LBB31_603
; %bb.602:
	buffer_load_dword v67, v67, s[0:3], 0 offen
	ds_read_b32 v68, v66
	s_waitcnt vmcnt(0) lgkmcnt(0)
	v_mul_f32_e32 v67, v67, v68
	s_cbranch_execz .LBB31_604
	s_branch .LBB31_605
.LBB31_603:
                                        ; implicit-def: $vgpr67
.LBB31_604:
	ds_read_b32 v67, v66
.LBB31_605:
	s_and_saveexec_b64 s[4:5], s[6:7]
	s_cbranch_execz .LBB31_609
; %bb.606:
	v_mov_b32_e32 v68, 0
	v_add_u32_e32 v66, 0x84, v1
	v_add3_u32 v1, v1, v68, 4
	s_mov_b64 s[6:7], 0
.LBB31_607:                             ; =>This Inner Loop Header: Depth=1
	buffer_load_dword v68, v1, s[0:3], 0 offen
	ds_read_b32 v69, v66
	v_add_u32_e32 v0, 1, v0
	v_cmp_lt_u32_e32 vcc, 29, v0
	v_add_u32_e32 v66, 4, v66
	v_add_u32_e32 v1, 4, v1
	s_or_b64 s[6:7], vcc, s[6:7]
	s_waitcnt vmcnt(0) lgkmcnt(0)
	v_fmac_f32_e32 v67, v68, v69
	s_andn2_b64 exec, exec, s[6:7]
	s_cbranch_execnz .LBB31_607
; %bb.608:
	s_or_b64 exec, exec, s[6:7]
.LBB31_609:
	s_or_b64 exec, exec, s[4:5]
	v_mov_b32_e32 v0, 0
	ds_read_b32 v0, v0 offset:124
	s_waitcnt lgkmcnt(0)
	v_mul_f32_e32 v0, v67, v0
	buffer_store_dword v0, off, s[0:3], 0 offset:124
.LBB31_610:
	s_or_b64 exec, exec, s[8:9]
.LBB31_611:
	buffer_load_dword v0, off, s[0:3], 0
	buffer_load_dword v1, off, s[0:3], 0 offset:4
	buffer_load_dword v66, off, s[0:3], 0 offset:8
	;; [unrolled: 1-line block ×23, first 2 shown]
	s_waitcnt vmcnt(23)
	global_store_dword v[6:7], v0, off
	s_waitcnt vmcnt(23)
	global_store_dword v[8:9], v1, off
	buffer_load_dword v0, off, s[0:3], 0 offset:96
	s_nop 0
	buffer_load_dword v1, off, s[0:3], 0 offset:100
	buffer_load_dword v6, off, s[0:3], 0 offset:104
	;; [unrolled: 1-line block ×7, first 2 shown]
	s_waitcnt vmcnt(31)
	global_store_dword v[2:3], v66, off
	s_waitcnt vmcnt(31)
	global_store_dword v[4:5], v67, off
	;; [unrolled: 2-line block ×30, first 2 shown]
.LBB31_612:
	s_endpgm
	.section	.rodata,"a",@progbits
	.p2align	6, 0x0
	.amdhsa_kernel _ZN9rocsolver6v33100L18trti2_kernel_smallILi32EfPfEEv13rocblas_fill_17rocblas_diagonal_T1_iil
		.amdhsa_group_segment_fixed_size 256
		.amdhsa_private_segment_fixed_size 144
		.amdhsa_kernarg_size 32
		.amdhsa_user_sgpr_count 8
		.amdhsa_user_sgpr_private_segment_buffer 1
		.amdhsa_user_sgpr_dispatch_ptr 0
		.amdhsa_user_sgpr_queue_ptr 0
		.amdhsa_user_sgpr_kernarg_segment_ptr 1
		.amdhsa_user_sgpr_dispatch_id 0
		.amdhsa_user_sgpr_flat_scratch_init 1
		.amdhsa_user_sgpr_kernarg_preload_length 0
		.amdhsa_user_sgpr_kernarg_preload_offset 0
		.amdhsa_user_sgpr_private_segment_size 0
		.amdhsa_uses_dynamic_stack 0
		.amdhsa_system_sgpr_private_segment_wavefront_offset 1
		.amdhsa_system_sgpr_workgroup_id_x 1
		.amdhsa_system_sgpr_workgroup_id_y 0
		.amdhsa_system_sgpr_workgroup_id_z 0
		.amdhsa_system_sgpr_workgroup_info 0
		.amdhsa_system_vgpr_workitem_id 0
		.amdhsa_next_free_vgpr 95
		.amdhsa_next_free_sgpr 20
		.amdhsa_accum_offset 96
		.amdhsa_reserve_vcc 1
		.amdhsa_reserve_flat_scratch 0
		.amdhsa_float_round_mode_32 0
		.amdhsa_float_round_mode_16_64 0
		.amdhsa_float_denorm_mode_32 3
		.amdhsa_float_denorm_mode_16_64 3
		.amdhsa_dx10_clamp 1
		.amdhsa_ieee_mode 1
		.amdhsa_fp16_overflow 0
		.amdhsa_tg_split 0
		.amdhsa_exception_fp_ieee_invalid_op 0
		.amdhsa_exception_fp_denorm_src 0
		.amdhsa_exception_fp_ieee_div_zero 0
		.amdhsa_exception_fp_ieee_overflow 0
		.amdhsa_exception_fp_ieee_underflow 0
		.amdhsa_exception_fp_ieee_inexact 0
		.amdhsa_exception_int_div_zero 0
	.end_amdhsa_kernel
	.section	.text._ZN9rocsolver6v33100L18trti2_kernel_smallILi32EfPfEEv13rocblas_fill_17rocblas_diagonal_T1_iil,"axG",@progbits,_ZN9rocsolver6v33100L18trti2_kernel_smallILi32EfPfEEv13rocblas_fill_17rocblas_diagonal_T1_iil,comdat
.Lfunc_end31:
	.size	_ZN9rocsolver6v33100L18trti2_kernel_smallILi32EfPfEEv13rocblas_fill_17rocblas_diagonal_T1_iil, .Lfunc_end31-_ZN9rocsolver6v33100L18trti2_kernel_smallILi32EfPfEEv13rocblas_fill_17rocblas_diagonal_T1_iil
                                        ; -- End function
	.section	.AMDGPU.csdata,"",@progbits
; Kernel info:
; codeLenInByte = 15592
; NumSgprs: 24
; NumVgprs: 95
; NumAgprs: 0
; TotalNumVgprs: 95
; ScratchSize: 144
; MemoryBound: 0
; FloatMode: 240
; IeeeMode: 1
; LDSByteSize: 256 bytes/workgroup (compile time only)
; SGPRBlocks: 2
; VGPRBlocks: 11
; NumSGPRsForWavesPerEU: 24
; NumVGPRsForWavesPerEU: 95
; AccumOffset: 96
; Occupancy: 5
; WaveLimiterHint : 0
; COMPUTE_PGM_RSRC2:SCRATCH_EN: 1
; COMPUTE_PGM_RSRC2:USER_SGPR: 8
; COMPUTE_PGM_RSRC2:TRAP_HANDLER: 0
; COMPUTE_PGM_RSRC2:TGID_X_EN: 1
; COMPUTE_PGM_RSRC2:TGID_Y_EN: 0
; COMPUTE_PGM_RSRC2:TGID_Z_EN: 0
; COMPUTE_PGM_RSRC2:TIDIG_COMP_CNT: 0
; COMPUTE_PGM_RSRC3_GFX90A:ACCUM_OFFSET: 23
; COMPUTE_PGM_RSRC3_GFX90A:TG_SPLIT: 0
	.section	.text._ZN9rocsolver6v33100L18trti2_kernel_smallILi33EfPfEEv13rocblas_fill_17rocblas_diagonal_T1_iil,"axG",@progbits,_ZN9rocsolver6v33100L18trti2_kernel_smallILi33EfPfEEv13rocblas_fill_17rocblas_diagonal_T1_iil,comdat
	.globl	_ZN9rocsolver6v33100L18trti2_kernel_smallILi33EfPfEEv13rocblas_fill_17rocblas_diagonal_T1_iil ; -- Begin function _ZN9rocsolver6v33100L18trti2_kernel_smallILi33EfPfEEv13rocblas_fill_17rocblas_diagonal_T1_iil
	.p2align	8
	.type	_ZN9rocsolver6v33100L18trti2_kernel_smallILi33EfPfEEv13rocblas_fill_17rocblas_diagonal_T1_iil,@function
_ZN9rocsolver6v33100L18trti2_kernel_smallILi33EfPfEEv13rocblas_fill_17rocblas_diagonal_T1_iil: ; @_ZN9rocsolver6v33100L18trti2_kernel_smallILi33EfPfEEv13rocblas_fill_17rocblas_diagonal_T1_iil
; %bb.0:
	s_add_u32 s0, s0, s9
	s_addc_u32 s1, s1, 0
	v_cmp_gt_u32_e32 vcc, 33, v0
	s_and_saveexec_b64 s[6:7], vcc
	s_cbranch_execz .LBB32_632
; %bb.1:
	s_load_dwordx8 s[12:19], s[4:5], 0x0
	s_ashr_i32 s6, s8, 31
	v_lshlrev_b32_e32 v1, 2, v0
	s_waitcnt lgkmcnt(0)
	s_mul_i32 s7, s8, s19
	s_mul_hi_u32 s9, s8, s18
	s_add_i32 s7, s9, s7
	s_mul_i32 s6, s6, s18
	s_add_i32 s7, s7, s6
	s_mul_i32 s6, s8, s18
	s_ashr_i32 s5, s16, 31
	s_lshl_b64 s[6:7], s[6:7], 2
	s_mov_b32 s4, s16
	s_add_u32 s6, s14, s6
	s_addc_u32 s7, s15, s7
	s_lshl_b64 s[4:5], s[4:5], 2
	s_add_u32 s4, s6, s4
	s_addc_u32 s5, s7, s5
	v_mov_b32_e32 v3, s5
	v_add_co_u32_e32 v2, vcc, s4, v1
	s_ashr_i32 s7, s17, 31
	s_mov_b32 s6, s17
	v_addc_co_u32_e32 v3, vcc, 0, v3, vcc
	s_lshl_b64 s[6:7], s[6:7], 2
	v_add_co_u32_e32 v4, vcc, s6, v2
	s_add_i32 s6, s17, s17
	v_add_u32_e32 v8, s6, v0
	v_mov_b32_e32 v5, s7
	v_ashrrev_i32_e32 v9, 31, v8
	v_addc_co_u32_e32 v5, vcc, v3, v5, vcc
	v_lshlrev_b64 v[6:7], 2, v[8:9]
	v_add_u32_e32 v10, s17, v8
	v_mov_b32_e32 v9, s5
	v_add_co_u32_e32 v6, vcc, s4, v6
	v_ashrrev_i32_e32 v11, 31, v10
	v_addc_co_u32_e32 v7, vcc, v9, v7, vcc
	v_lshlrev_b64 v[8:9], 2, v[10:11]
	v_add_u32_e32 v12, s17, v10
	v_mov_b32_e32 v11, s5
	v_add_co_u32_e32 v8, vcc, s4, v8
	;; [unrolled: 6-line block ×5, first 2 shown]
	v_ashrrev_i32_e32 v19, 31, v18
	v_addc_co_u32_e32 v15, vcc, v17, v15, vcc
	v_lshlrev_b64 v[16:17], 2, v[18:19]
	v_mov_b32_e32 v19, s5
	v_add_co_u32_e32 v16, vcc, s4, v16
	global_load_dword v22, v1, s[4:5]
	global_load_dword v23, v[4:5], off
	global_load_dword v24, v[6:7], off
	;; [unrolled: 1-line block ×3, first 2 shown]
	v_addc_co_u32_e32 v17, vcc, v19, v17, vcc
	global_load_dword v26, v[10:11], off
	global_load_dword v27, v[12:13], off
	;; [unrolled: 1-line block ×4, first 2 shown]
	v_add_u32_e32 v20, s17, v18
	v_ashrrev_i32_e32 v21, 31, v20
	v_lshlrev_b64 v[18:19], 2, v[20:21]
	v_mov_b32_e32 v30, s5
	v_add_co_u32_e32 v18, vcc, s4, v18
	v_addc_co_u32_e32 v19, vcc, v30, v19, vcc
	global_load_dword v68, v[18:19], off
	v_mov_b32_e32 v84, s5
	s_cmpk_lg_i32 s13, 0x84
	s_cselect_b64 s[10:11], -1, 0
	s_cmpk_eq_i32 s13, 0x84
	s_waitcnt vmcnt(8)
	buffer_store_dword v22, off, s[0:3], 0
	s_waitcnt vmcnt(8)
	buffer_store_dword v23, off, s[0:3], 0 offset:4
	s_waitcnt vmcnt(7)
	buffer_store_dword v25, off, s[0:3], 0 offset:12
	buffer_store_dword v24, off, s[0:3], 0 offset:8
	s_waitcnt vmcnt(8)
	buffer_store_dword v26, off, s[0:3], 0 offset:16
	s_waitcnt vmcnt(8)
	;; [unrolled: 2-line block ×4, first 2 shown]
	buffer_store_dword v29, off, s[0:3], 0 offset:28
	v_add_u32_e32 v22, s17, v20
	v_ashrrev_i32_e32 v23, 31, v22
	v_lshlrev_b64 v[20:21], 2, v[22:23]
	v_add_u32_e32 v24, s17, v22
	v_mov_b32_e32 v23, s5
	v_add_co_u32_e32 v20, vcc, s4, v20
	v_ashrrev_i32_e32 v25, 31, v24
	v_addc_co_u32_e32 v21, vcc, v23, v21, vcc
	v_lshlrev_b64 v[22:23], 2, v[24:25]
	v_add_u32_e32 v26, s17, v24
	v_mov_b32_e32 v25, s5
	v_add_co_u32_e32 v22, vcc, s4, v22
	v_ashrrev_i32_e32 v27, 31, v26
	v_addc_co_u32_e32 v23, vcc, v25, v23, vcc
	;; [unrolled: 6-line block ×22, first 2 shown]
	v_lshlrev_b64 v[64:65], 2, v[66:67]
	v_mov_b32_e32 v67, s5
	v_add_co_u32_e32 v64, vcc, s4, v64
	global_load_dword v69, v[20:21], off
	global_load_dword v70, v[22:23], off
	;; [unrolled: 1-line block ×16, first 2 shown]
	v_addc_co_u32_e32 v65, vcc, v67, v65, vcc
	global_load_dword v86, v[52:53], off
	global_load_dword v87, v[54:55], off
	;; [unrolled: 1-line block ×7, first 2 shown]
	v_add_u32_e32 v66, s17, v66
	v_ashrrev_i32_e32 v67, 31, v66
	v_lshlrev_b64 v[66:67], 2, v[66:67]
	v_add_co_u32_e32 v66, vcc, s4, v66
	v_addc_co_u32_e32 v67, vcc, v84, v67, vcc
	s_waitcnt vmcnt(31)
	buffer_store_dword v68, off, s[0:3], 0 offset:32
	global_load_dword v68, v[66:67], off
	v_mov_b32_e32 v84, 0
	s_waitcnt vmcnt(24)
	buffer_store_dword v69, off, s[0:3], 0 offset:36
	s_waitcnt vmcnt(23)
	buffer_store_dword v71, off, s[0:3], 0 offset:44
	buffer_store_dword v70, off, s[0:3], 0 offset:40
	s_waitcnt vmcnt(24)
	buffer_store_dword v72, off, s[0:3], 0 offset:48
	s_waitcnt vmcnt(24)
	;; [unrolled: 2-line block ×9, first 2 shown]
	buffer_store_dword v81, off, s[0:3], 0 offset:84
	buffer_store_dword v80, off, s[0:3], 0 offset:80
	s_waitcnt vmcnt(23)
	buffer_store_dword v83, off, s[0:3], 0 offset:92
	buffer_store_dword v82, off, s[0:3], 0 offset:88
	s_waitcnt vmcnt(23)
	;; [unrolled: 3-line block ×6, first 2 shown]
	buffer_store_dword v68, off, s[0:3], 0 offset:128
	v_mov_b32_e32 v68, -1.0
	s_cbranch_scc1 .LBB32_3
; %bb.2:
	v_lshl_add_u32 v68, v0, 2, v84
	buffer_load_dword v69, v68, s[0:3], 0 offen
	s_waitcnt vmcnt(0)
	v_div_scale_f32 v70, s[4:5], v69, v69, 1.0
	v_rcp_f32_e32 v71, v70
	v_div_scale_f32 v72, vcc, 1.0, v69, 1.0
	v_fma_f32 v73, -v70, v71, 1.0
	v_fmac_f32_e32 v71, v73, v71
	v_mul_f32_e32 v73, v72, v71
	v_fma_f32 v74, -v70, v73, v72
	v_fmac_f32_e32 v73, v74, v71
	v_fma_f32 v70, -v70, v73, v72
	v_div_fmas_f32 v70, v70, v71, v73
	v_div_fixup_f32 v69, v70, v69, 1.0
	buffer_store_dword v69, v68, s[0:3], 0 offen
	v_xor_b32_e32 v68, 0x80000000, v69
.LBB32_3:
	ds_write_b32 v1, v68
	s_cmpk_eq_i32 s12, 0x79
	v_add_u32_e32 v68, 0x90, v1
	v_add_u32_e32 v69, 0, v1
	s_mov_b64 s[4:5], -1
	s_cbranch_scc1 .LBB32_317
; %bb.4:
	buffer_load_dword v70, off, s[0:3], 0 offset:124
	v_cmp_eq_u32_e64 s[4:5], 32, v0
	s_waitcnt vmcnt(0)
	ds_write_b32 v68, v70
	s_waitcnt lgkmcnt(0)
	; wave barrier
	s_waitcnt lgkmcnt(0)
	s_and_saveexec_b64 s[6:7], s[4:5]
	s_cbranch_execz .LBB32_10
; %bb.5:
	s_and_b64 vcc, exec, s[10:11]
	s_cbranch_vccz .LBB32_7
; %bb.6:
	buffer_load_dword v70, v69, s[0:3], 0 offen
	ds_read_b32 v71, v68
	s_waitcnt vmcnt(0) lgkmcnt(0)
	v_mul_f32_e32 v70, v70, v71
	s_cbranch_execz .LBB32_8
	s_branch .LBB32_9
.LBB32_7:
                                        ; implicit-def: $vgpr70
.LBB32_8:
	ds_read_b32 v70, v68
.LBB32_9:
	v_mov_b32_e32 v71, 0
	ds_read_b32 v71, v71 offset:124
	s_waitcnt lgkmcnt(0)
	v_mul_f32_e32 v70, v70, v71
	buffer_store_dword v70, off, s[0:3], 0 offset:124
.LBB32_10:
	s_or_b64 exec, exec, s[6:7]
	buffer_load_dword v85, off, s[0:3], 0 offset:120
	v_or_b32_e32 v70, 8, v84
	v_add_u32_e32 v71, 16, v84
	v_add_u32_e32 v72, 24, v84
	;; [unrolled: 1-line block ×14, first 2 shown]
	v_cmp_lt_u32_e64 s[8:9], 30, v0
	s_waitcnt vmcnt(0)
	ds_write_b32 v68, v85
	s_waitcnt lgkmcnt(0)
	; wave barrier
	s_waitcnt lgkmcnt(0)
	s_and_saveexec_b64 s[6:7], s[8:9]
	s_cbranch_execz .LBB32_16
; %bb.11:
	s_andn2_b64 vcc, exec, s[10:11]
	s_cbranch_vccnz .LBB32_13
; %bb.12:
	buffer_load_dword v85, v69, s[0:3], 0 offen
	ds_read_b32 v86, v68
	s_waitcnt vmcnt(0) lgkmcnt(0)
	v_mul_f32_e32 v85, v85, v86
	s_cbranch_execz .LBB32_14
	s_branch .LBB32_15
.LBB32_13:
                                        ; implicit-def: $vgpr85
.LBB32_14:
	ds_read_b32 v85, v68
.LBB32_15:
	buffer_load_dword v88, off, s[0:3], 0 offset:124
	v_mov_b32_e32 v86, 0
	ds_read2_b32 v[86:87], v86 offset0:30 offset1:67
	s_waitcnt vmcnt(0) lgkmcnt(0)
	v_fma_f32 v87, v88, v87, v85
	v_cndmask_b32_e64 v85, v85, v87, s[4:5]
	v_mul_f32_e32 v85, v85, v86
	buffer_store_dword v85, off, s[0:3], 0 offset:120
.LBB32_16:
	s_or_b64 exec, exec, s[6:7]
	buffer_load_dword v85, off, s[0:3], 0 offset:116
	v_cmp_lt_u32_e64 s[6:7], 29, v0
	s_waitcnt vmcnt(0)
	ds_write_b32 v68, v85
	s_waitcnt lgkmcnt(0)
	; wave barrier
	s_waitcnt lgkmcnt(0)
	s_and_saveexec_b64 s[4:5], s[6:7]
	s_cbranch_execz .LBB32_26
; %bb.17:
	s_andn2_b64 vcc, exec, s[10:11]
	s_cbranch_vccnz .LBB32_19
; %bb.18:
	buffer_load_dword v85, v69, s[0:3], 0 offen
	ds_read_b32 v86, v68
	s_waitcnt vmcnt(0) lgkmcnt(0)
	v_mul_f32_e32 v85, v85, v86
	s_cbranch_execz .LBB32_20
	s_branch .LBB32_21
.LBB32_19:
                                        ; implicit-def: $vgpr85
.LBB32_20:
	ds_read_b32 v85, v68
.LBB32_21:
	s_and_saveexec_b64 s[12:13], s[8:9]
	s_cbranch_execz .LBB32_25
; %bb.22:
	v_subrev_u32_e32 v86, 30, v0
	s_movk_i32 s14, 0x108
	s_mov_b64 s[8:9], 0
.LBB32_23:                              ; =>This Inner Loop Header: Depth=1
	buffer_load_dword v87, v84, s[0:3], 0 offen
	v_mov_b32_e32 v88, s14
	ds_read_b32 v88, v88
	v_add_u32_e32 v86, -1, v86
	s_add_i32 s14, s14, 4
	v_cmp_eq_u32_e32 vcc, 0, v86
	v_add_u32_e32 v84, 4, v84
	s_or_b64 s[8:9], vcc, s[8:9]
	s_waitcnt vmcnt(0) lgkmcnt(0)
	v_fmac_f32_e32 v85, v87, v88
	s_andn2_b64 exec, exec, s[8:9]
	s_cbranch_execnz .LBB32_23
; %bb.24:
	s_or_b64 exec, exec, s[8:9]
.LBB32_25:
	s_or_b64 exec, exec, s[12:13]
	v_mov_b32_e32 v84, 0
	ds_read_b32 v84, v84 offset:116
	s_waitcnt lgkmcnt(0)
	v_mul_f32_e32 v84, v85, v84
	buffer_store_dword v84, off, s[0:3], 0 offset:116
.LBB32_26:
	s_or_b64 exec, exec, s[4:5]
	buffer_load_dword v84, off, s[0:3], 0 offset:112
	v_cmp_lt_u32_e64 s[4:5], 28, v0
	s_waitcnt vmcnt(0)
	ds_write_b32 v68, v84
	s_waitcnt lgkmcnt(0)
	; wave barrier
	s_waitcnt lgkmcnt(0)
	s_and_saveexec_b64 s[8:9], s[4:5]
	s_cbranch_execz .LBB32_36
; %bb.27:
	s_andn2_b64 vcc, exec, s[10:11]
	s_cbranch_vccnz .LBB32_29
; %bb.28:
	buffer_load_dword v84, v69, s[0:3], 0 offen
	ds_read_b32 v85, v68
	s_waitcnt vmcnt(0) lgkmcnt(0)
	v_mul_f32_e32 v84, v84, v85
	s_cbranch_execz .LBB32_30
	s_branch .LBB32_31
.LBB32_29:
                                        ; implicit-def: $vgpr84
.LBB32_30:
	ds_read_b32 v84, v68
.LBB32_31:
	s_and_saveexec_b64 s[12:13], s[6:7]
	s_cbranch_execz .LBB32_35
; %bb.32:
	v_mov_b32_e32 v85, 0
	v_add_u32_e32 v85, 0x74, v85
	v_subrev_u32_e32 v86, 29, v0
	s_movk_i32 s14, 0x104
	s_mov_b64 s[6:7], 0
.LBB32_33:                              ; =>This Inner Loop Header: Depth=1
	buffer_load_dword v87, v85, s[0:3], 0 offen
	v_mov_b32_e32 v88, s14
	ds_read_b32 v88, v88
	v_add_u32_e32 v86, -1, v86
	s_add_i32 s14, s14, 4
	v_cmp_eq_u32_e32 vcc, 0, v86
	v_add_u32_e32 v85, 4, v85
	s_or_b64 s[6:7], vcc, s[6:7]
	s_waitcnt vmcnt(0) lgkmcnt(0)
	v_fmac_f32_e32 v84, v87, v88
	s_andn2_b64 exec, exec, s[6:7]
	s_cbranch_execnz .LBB32_33
; %bb.34:
	s_or_b64 exec, exec, s[6:7]
.LBB32_35:
	s_or_b64 exec, exec, s[12:13]
	v_mov_b32_e32 v85, 0
	ds_read_b32 v85, v85 offset:112
	s_waitcnt lgkmcnt(0)
	v_mul_f32_e32 v84, v84, v85
	buffer_store_dword v84, off, s[0:3], 0 offset:112
.LBB32_36:
	s_or_b64 exec, exec, s[8:9]
	buffer_load_dword v84, off, s[0:3], 0 offset:108
	v_cmp_lt_u32_e64 s[6:7], 27, v0
	s_waitcnt vmcnt(0)
	ds_write_b32 v68, v84
	s_waitcnt lgkmcnt(0)
	; wave barrier
	s_waitcnt lgkmcnt(0)
	s_and_saveexec_b64 s[8:9], s[6:7]
	s_cbranch_execz .LBB32_46
; %bb.37:
	s_andn2_b64 vcc, exec, s[10:11]
	s_cbranch_vccnz .LBB32_39
; %bb.38:
	buffer_load_dword v84, v69, s[0:3], 0 offen
	ds_read_b32 v85, v68
	s_waitcnt vmcnt(0) lgkmcnt(0)
	v_mul_f32_e32 v84, v84, v85
	s_cbranch_execz .LBB32_40
	s_branch .LBB32_41
.LBB32_39:
                                        ; implicit-def: $vgpr84
.LBB32_40:
	ds_read_b32 v84, v68
.LBB32_41:
	s_and_saveexec_b64 s[12:13], s[4:5]
	s_cbranch_execz .LBB32_45
; %bb.42:
	v_subrev_u32_e32 v85, 28, v0
	s_movk_i32 s14, 0x100
	s_mov_b64 s[4:5], 0
.LBB32_43:                              ; =>This Inner Loop Header: Depth=1
	buffer_load_dword v86, v83, s[0:3], 0 offen
	v_mov_b32_e32 v87, s14
	ds_read_b32 v87, v87
	v_add_u32_e32 v85, -1, v85
	s_add_i32 s14, s14, 4
	v_cmp_eq_u32_e32 vcc, 0, v85
	v_add_u32_e32 v83, 4, v83
	s_or_b64 s[4:5], vcc, s[4:5]
	s_waitcnt vmcnt(0) lgkmcnt(0)
	v_fmac_f32_e32 v84, v86, v87
	s_andn2_b64 exec, exec, s[4:5]
	s_cbranch_execnz .LBB32_43
; %bb.44:
	s_or_b64 exec, exec, s[4:5]
.LBB32_45:
	s_or_b64 exec, exec, s[12:13]
	v_mov_b32_e32 v83, 0
	ds_read_b32 v83, v83 offset:108
	s_waitcnt lgkmcnt(0)
	v_mul_f32_e32 v83, v84, v83
	buffer_store_dword v83, off, s[0:3], 0 offset:108
.LBB32_46:
	s_or_b64 exec, exec, s[8:9]
	buffer_load_dword v83, off, s[0:3], 0 offset:104
	v_cmp_lt_u32_e64 s[4:5], 26, v0
	s_waitcnt vmcnt(0)
	ds_write_b32 v68, v83
	s_waitcnt lgkmcnt(0)
	; wave barrier
	s_waitcnt lgkmcnt(0)
	s_and_saveexec_b64 s[8:9], s[4:5]
	s_cbranch_execz .LBB32_56
; %bb.47:
	s_andn2_b64 vcc, exec, s[10:11]
	s_cbranch_vccnz .LBB32_49
; %bb.48:
	buffer_load_dword v83, v69, s[0:3], 0 offen
	ds_read_b32 v84, v68
	s_waitcnt vmcnt(0) lgkmcnt(0)
	v_mul_f32_e32 v83, v83, v84
	s_cbranch_execz .LBB32_50
	s_branch .LBB32_51
.LBB32_49:
                                        ; implicit-def: $vgpr83
.LBB32_50:
	ds_read_b32 v83, v68
.LBB32_51:
	s_and_saveexec_b64 s[12:13], s[6:7]
	s_cbranch_execz .LBB32_55
; %bb.52:
	v_mov_b32_e32 v84, 0
	v_add_u32_e32 v84, 0x6c, v84
	v_subrev_u32_e32 v85, 27, v0
	s_movk_i32 s14, 0xfc
	s_mov_b64 s[6:7], 0
.LBB32_53:                              ; =>This Inner Loop Header: Depth=1
	buffer_load_dword v86, v84, s[0:3], 0 offen
	v_mov_b32_e32 v87, s14
	ds_read_b32 v87, v87
	v_add_u32_e32 v85, -1, v85
	s_add_i32 s14, s14, 4
	v_cmp_eq_u32_e32 vcc, 0, v85
	v_add_u32_e32 v84, 4, v84
	s_or_b64 s[6:7], vcc, s[6:7]
	s_waitcnt vmcnt(0) lgkmcnt(0)
	v_fmac_f32_e32 v83, v86, v87
	s_andn2_b64 exec, exec, s[6:7]
	s_cbranch_execnz .LBB32_53
; %bb.54:
	s_or_b64 exec, exec, s[6:7]
.LBB32_55:
	s_or_b64 exec, exec, s[12:13]
	v_mov_b32_e32 v84, 0
	ds_read_b32 v84, v84 offset:104
	s_waitcnt lgkmcnt(0)
	v_mul_f32_e32 v83, v83, v84
	buffer_store_dword v83, off, s[0:3], 0 offset:104
.LBB32_56:
	s_or_b64 exec, exec, s[8:9]
	buffer_load_dword v83, off, s[0:3], 0 offset:100
	v_cmp_lt_u32_e64 s[6:7], 25, v0
	s_waitcnt vmcnt(0)
	ds_write_b32 v68, v83
	s_waitcnt lgkmcnt(0)
	; wave barrier
	s_waitcnt lgkmcnt(0)
	s_and_saveexec_b64 s[8:9], s[6:7]
	s_cbranch_execz .LBB32_66
; %bb.57:
	s_andn2_b64 vcc, exec, s[10:11]
	s_cbranch_vccnz .LBB32_59
; %bb.58:
	buffer_load_dword v83, v69, s[0:3], 0 offen
	ds_read_b32 v84, v68
	s_waitcnt vmcnt(0) lgkmcnt(0)
	v_mul_f32_e32 v83, v83, v84
	s_cbranch_execz .LBB32_60
	s_branch .LBB32_61
.LBB32_59:
                                        ; implicit-def: $vgpr83
.LBB32_60:
	ds_read_b32 v83, v68
.LBB32_61:
	s_and_saveexec_b64 s[12:13], s[4:5]
	s_cbranch_execz .LBB32_65
; %bb.62:
	v_subrev_u32_e32 v84, 26, v0
	s_movk_i32 s14, 0xf8
	s_mov_b64 s[4:5], 0
.LBB32_63:                              ; =>This Inner Loop Header: Depth=1
	buffer_load_dword v85, v82, s[0:3], 0 offen
	v_mov_b32_e32 v86, s14
	ds_read_b32 v86, v86
	v_add_u32_e32 v84, -1, v84
	s_add_i32 s14, s14, 4
	v_cmp_eq_u32_e32 vcc, 0, v84
	v_add_u32_e32 v82, 4, v82
	s_or_b64 s[4:5], vcc, s[4:5]
	s_waitcnt vmcnt(0) lgkmcnt(0)
	v_fmac_f32_e32 v83, v85, v86
	s_andn2_b64 exec, exec, s[4:5]
	s_cbranch_execnz .LBB32_63
; %bb.64:
	s_or_b64 exec, exec, s[4:5]
.LBB32_65:
	s_or_b64 exec, exec, s[12:13]
	v_mov_b32_e32 v82, 0
	ds_read_b32 v82, v82 offset:100
	s_waitcnt lgkmcnt(0)
	v_mul_f32_e32 v82, v83, v82
	buffer_store_dword v82, off, s[0:3], 0 offset:100
.LBB32_66:
	s_or_b64 exec, exec, s[8:9]
	buffer_load_dword v82, off, s[0:3], 0 offset:96
	v_cmp_lt_u32_e64 s[4:5], 24, v0
	s_waitcnt vmcnt(0)
	ds_write_b32 v68, v82
	s_waitcnt lgkmcnt(0)
	; wave barrier
	s_waitcnt lgkmcnt(0)
	s_and_saveexec_b64 s[8:9], s[4:5]
	s_cbranch_execz .LBB32_76
; %bb.67:
	s_andn2_b64 vcc, exec, s[10:11]
	s_cbranch_vccnz .LBB32_69
; %bb.68:
	buffer_load_dword v82, v69, s[0:3], 0 offen
	ds_read_b32 v83, v68
	s_waitcnt vmcnt(0) lgkmcnt(0)
	v_mul_f32_e32 v82, v82, v83
	s_cbranch_execz .LBB32_70
	s_branch .LBB32_71
.LBB32_69:
                                        ; implicit-def: $vgpr82
.LBB32_70:
	ds_read_b32 v82, v68
.LBB32_71:
	s_and_saveexec_b64 s[12:13], s[6:7]
	s_cbranch_execz .LBB32_75
; %bb.72:
	v_mov_b32_e32 v83, 0
	v_add_u32_e32 v83, 0x64, v83
	v_subrev_u32_e32 v84, 25, v0
	s_movk_i32 s14, 0xf4
	s_mov_b64 s[6:7], 0
.LBB32_73:                              ; =>This Inner Loop Header: Depth=1
	buffer_load_dword v85, v83, s[0:3], 0 offen
	v_mov_b32_e32 v86, s14
	ds_read_b32 v86, v86
	v_add_u32_e32 v84, -1, v84
	s_add_i32 s14, s14, 4
	v_cmp_eq_u32_e32 vcc, 0, v84
	v_add_u32_e32 v83, 4, v83
	s_or_b64 s[6:7], vcc, s[6:7]
	s_waitcnt vmcnt(0) lgkmcnt(0)
	v_fmac_f32_e32 v82, v85, v86
	s_andn2_b64 exec, exec, s[6:7]
	s_cbranch_execnz .LBB32_73
; %bb.74:
	s_or_b64 exec, exec, s[6:7]
.LBB32_75:
	s_or_b64 exec, exec, s[12:13]
	v_mov_b32_e32 v83, 0
	ds_read_b32 v83, v83 offset:96
	s_waitcnt lgkmcnt(0)
	v_mul_f32_e32 v82, v82, v83
	buffer_store_dword v82, off, s[0:3], 0 offset:96
.LBB32_76:
	s_or_b64 exec, exec, s[8:9]
	buffer_load_dword v82, off, s[0:3], 0 offset:92
	v_cmp_lt_u32_e64 s[6:7], 23, v0
	s_waitcnt vmcnt(0)
	ds_write_b32 v68, v82
	s_waitcnt lgkmcnt(0)
	; wave barrier
	s_waitcnt lgkmcnt(0)
	s_and_saveexec_b64 s[8:9], s[6:7]
	s_cbranch_execz .LBB32_86
; %bb.77:
	s_andn2_b64 vcc, exec, s[10:11]
	s_cbranch_vccnz .LBB32_79
; %bb.78:
	buffer_load_dword v82, v69, s[0:3], 0 offen
	ds_read_b32 v83, v68
	s_waitcnt vmcnt(0) lgkmcnt(0)
	v_mul_f32_e32 v82, v82, v83
	s_cbranch_execz .LBB32_80
	s_branch .LBB32_81
.LBB32_79:
                                        ; implicit-def: $vgpr82
.LBB32_80:
	ds_read_b32 v82, v68
.LBB32_81:
	s_and_saveexec_b64 s[12:13], s[4:5]
	s_cbranch_execz .LBB32_85
; %bb.82:
	v_subrev_u32_e32 v83, 24, v0
	s_movk_i32 s14, 0xf0
	s_mov_b64 s[4:5], 0
.LBB32_83:                              ; =>This Inner Loop Header: Depth=1
	buffer_load_dword v84, v81, s[0:3], 0 offen
	v_mov_b32_e32 v85, s14
	ds_read_b32 v85, v85
	v_add_u32_e32 v83, -1, v83
	s_add_i32 s14, s14, 4
	v_cmp_eq_u32_e32 vcc, 0, v83
	v_add_u32_e32 v81, 4, v81
	s_or_b64 s[4:5], vcc, s[4:5]
	s_waitcnt vmcnt(0) lgkmcnt(0)
	v_fmac_f32_e32 v82, v84, v85
	s_andn2_b64 exec, exec, s[4:5]
	s_cbranch_execnz .LBB32_83
; %bb.84:
	s_or_b64 exec, exec, s[4:5]
.LBB32_85:
	s_or_b64 exec, exec, s[12:13]
	v_mov_b32_e32 v81, 0
	ds_read_b32 v81, v81 offset:92
	s_waitcnt lgkmcnt(0)
	v_mul_f32_e32 v81, v82, v81
	buffer_store_dword v81, off, s[0:3], 0 offset:92
.LBB32_86:
	s_or_b64 exec, exec, s[8:9]
	buffer_load_dword v81, off, s[0:3], 0 offset:88
	v_cmp_lt_u32_e64 s[4:5], 22, v0
	s_waitcnt vmcnt(0)
	ds_write_b32 v68, v81
	s_waitcnt lgkmcnt(0)
	; wave barrier
	s_waitcnt lgkmcnt(0)
	s_and_saveexec_b64 s[8:9], s[4:5]
	s_cbranch_execz .LBB32_96
; %bb.87:
	s_andn2_b64 vcc, exec, s[10:11]
	s_cbranch_vccnz .LBB32_89
; %bb.88:
	buffer_load_dword v81, v69, s[0:3], 0 offen
	ds_read_b32 v82, v68
	s_waitcnt vmcnt(0) lgkmcnt(0)
	v_mul_f32_e32 v81, v81, v82
	s_cbranch_execz .LBB32_90
	s_branch .LBB32_91
.LBB32_89:
                                        ; implicit-def: $vgpr81
.LBB32_90:
	ds_read_b32 v81, v68
.LBB32_91:
	s_and_saveexec_b64 s[12:13], s[6:7]
	s_cbranch_execz .LBB32_95
; %bb.92:
	v_mov_b32_e32 v82, 0
	v_add_u32_e32 v82, 0x5c, v82
	v_subrev_u32_e32 v83, 23, v0
	s_movk_i32 s14, 0xec
	s_mov_b64 s[6:7], 0
.LBB32_93:                              ; =>This Inner Loop Header: Depth=1
	buffer_load_dword v84, v82, s[0:3], 0 offen
	v_mov_b32_e32 v85, s14
	ds_read_b32 v85, v85
	v_add_u32_e32 v83, -1, v83
	s_add_i32 s14, s14, 4
	v_cmp_eq_u32_e32 vcc, 0, v83
	v_add_u32_e32 v82, 4, v82
	s_or_b64 s[6:7], vcc, s[6:7]
	s_waitcnt vmcnt(0) lgkmcnt(0)
	v_fmac_f32_e32 v81, v84, v85
	s_andn2_b64 exec, exec, s[6:7]
	s_cbranch_execnz .LBB32_93
; %bb.94:
	s_or_b64 exec, exec, s[6:7]
.LBB32_95:
	s_or_b64 exec, exec, s[12:13]
	v_mov_b32_e32 v82, 0
	ds_read_b32 v82, v82 offset:88
	s_waitcnt lgkmcnt(0)
	v_mul_f32_e32 v81, v81, v82
	buffer_store_dword v81, off, s[0:3], 0 offset:88
.LBB32_96:
	s_or_b64 exec, exec, s[8:9]
	buffer_load_dword v81, off, s[0:3], 0 offset:84
	v_cmp_lt_u32_e64 s[6:7], 21, v0
	s_waitcnt vmcnt(0)
	ds_write_b32 v68, v81
	s_waitcnt lgkmcnt(0)
	; wave barrier
	s_waitcnt lgkmcnt(0)
	s_and_saveexec_b64 s[8:9], s[6:7]
	s_cbranch_execz .LBB32_106
; %bb.97:
	s_andn2_b64 vcc, exec, s[10:11]
	s_cbranch_vccnz .LBB32_99
; %bb.98:
	buffer_load_dword v81, v69, s[0:3], 0 offen
	ds_read_b32 v82, v68
	s_waitcnt vmcnt(0) lgkmcnt(0)
	v_mul_f32_e32 v81, v81, v82
	s_cbranch_execz .LBB32_100
	s_branch .LBB32_101
.LBB32_99:
                                        ; implicit-def: $vgpr81
.LBB32_100:
	ds_read_b32 v81, v68
.LBB32_101:
	s_and_saveexec_b64 s[12:13], s[4:5]
	s_cbranch_execz .LBB32_105
; %bb.102:
	v_subrev_u32_e32 v82, 22, v0
	s_movk_i32 s14, 0xe8
	s_mov_b64 s[4:5], 0
.LBB32_103:                             ; =>This Inner Loop Header: Depth=1
	buffer_load_dword v83, v80, s[0:3], 0 offen
	v_mov_b32_e32 v84, s14
	ds_read_b32 v84, v84
	v_add_u32_e32 v82, -1, v82
	s_add_i32 s14, s14, 4
	v_cmp_eq_u32_e32 vcc, 0, v82
	v_add_u32_e32 v80, 4, v80
	s_or_b64 s[4:5], vcc, s[4:5]
	s_waitcnt vmcnt(0) lgkmcnt(0)
	v_fmac_f32_e32 v81, v83, v84
	s_andn2_b64 exec, exec, s[4:5]
	s_cbranch_execnz .LBB32_103
; %bb.104:
	s_or_b64 exec, exec, s[4:5]
.LBB32_105:
	s_or_b64 exec, exec, s[12:13]
	v_mov_b32_e32 v80, 0
	ds_read_b32 v80, v80 offset:84
	s_waitcnt lgkmcnt(0)
	v_mul_f32_e32 v80, v81, v80
	buffer_store_dword v80, off, s[0:3], 0 offset:84
.LBB32_106:
	s_or_b64 exec, exec, s[8:9]
	buffer_load_dword v80, off, s[0:3], 0 offset:80
	v_cmp_lt_u32_e64 s[4:5], 20, v0
	s_waitcnt vmcnt(0)
	ds_write_b32 v68, v80
	s_waitcnt lgkmcnt(0)
	; wave barrier
	s_waitcnt lgkmcnt(0)
	s_and_saveexec_b64 s[8:9], s[4:5]
	s_cbranch_execz .LBB32_116
; %bb.107:
	s_andn2_b64 vcc, exec, s[10:11]
	s_cbranch_vccnz .LBB32_109
; %bb.108:
	buffer_load_dword v80, v69, s[0:3], 0 offen
	ds_read_b32 v81, v68
	s_waitcnt vmcnt(0) lgkmcnt(0)
	v_mul_f32_e32 v80, v80, v81
	s_cbranch_execz .LBB32_110
	s_branch .LBB32_111
.LBB32_109:
                                        ; implicit-def: $vgpr80
.LBB32_110:
	ds_read_b32 v80, v68
.LBB32_111:
	s_and_saveexec_b64 s[12:13], s[6:7]
	s_cbranch_execz .LBB32_115
; %bb.112:
	v_mov_b32_e32 v81, 0
	v_add_u32_e32 v81, 0x54, v81
	v_subrev_u32_e32 v82, 21, v0
	s_movk_i32 s14, 0xe4
	s_mov_b64 s[6:7], 0
.LBB32_113:                             ; =>This Inner Loop Header: Depth=1
	buffer_load_dword v83, v81, s[0:3], 0 offen
	v_mov_b32_e32 v84, s14
	ds_read_b32 v84, v84
	v_add_u32_e32 v82, -1, v82
	s_add_i32 s14, s14, 4
	v_cmp_eq_u32_e32 vcc, 0, v82
	v_add_u32_e32 v81, 4, v81
	s_or_b64 s[6:7], vcc, s[6:7]
	s_waitcnt vmcnt(0) lgkmcnt(0)
	v_fmac_f32_e32 v80, v83, v84
	s_andn2_b64 exec, exec, s[6:7]
	s_cbranch_execnz .LBB32_113
; %bb.114:
	s_or_b64 exec, exec, s[6:7]
.LBB32_115:
	s_or_b64 exec, exec, s[12:13]
	v_mov_b32_e32 v81, 0
	ds_read_b32 v81, v81 offset:80
	s_waitcnt lgkmcnt(0)
	v_mul_f32_e32 v80, v80, v81
	buffer_store_dword v80, off, s[0:3], 0 offset:80
.LBB32_116:
	s_or_b64 exec, exec, s[8:9]
	buffer_load_dword v80, off, s[0:3], 0 offset:76
	v_cmp_lt_u32_e64 s[6:7], 19, v0
	s_waitcnt vmcnt(0)
	ds_write_b32 v68, v80
	s_waitcnt lgkmcnt(0)
	; wave barrier
	s_waitcnt lgkmcnt(0)
	s_and_saveexec_b64 s[8:9], s[6:7]
	s_cbranch_execz .LBB32_126
; %bb.117:
	s_andn2_b64 vcc, exec, s[10:11]
	s_cbranch_vccnz .LBB32_119
; %bb.118:
	buffer_load_dword v80, v69, s[0:3], 0 offen
	ds_read_b32 v81, v68
	s_waitcnt vmcnt(0) lgkmcnt(0)
	v_mul_f32_e32 v80, v80, v81
	s_cbranch_execz .LBB32_120
	s_branch .LBB32_121
.LBB32_119:
                                        ; implicit-def: $vgpr80
.LBB32_120:
	ds_read_b32 v80, v68
.LBB32_121:
	s_and_saveexec_b64 s[12:13], s[4:5]
	s_cbranch_execz .LBB32_125
; %bb.122:
	v_subrev_u32_e32 v81, 20, v0
	s_movk_i32 s14, 0xe0
	s_mov_b64 s[4:5], 0
.LBB32_123:                             ; =>This Inner Loop Header: Depth=1
	buffer_load_dword v82, v79, s[0:3], 0 offen
	v_mov_b32_e32 v83, s14
	ds_read_b32 v83, v83
	v_add_u32_e32 v81, -1, v81
	s_add_i32 s14, s14, 4
	v_cmp_eq_u32_e32 vcc, 0, v81
	v_add_u32_e32 v79, 4, v79
	s_or_b64 s[4:5], vcc, s[4:5]
	s_waitcnt vmcnt(0) lgkmcnt(0)
	v_fmac_f32_e32 v80, v82, v83
	s_andn2_b64 exec, exec, s[4:5]
	s_cbranch_execnz .LBB32_123
; %bb.124:
	s_or_b64 exec, exec, s[4:5]
.LBB32_125:
	s_or_b64 exec, exec, s[12:13]
	v_mov_b32_e32 v79, 0
	ds_read_b32 v79, v79 offset:76
	s_waitcnt lgkmcnt(0)
	v_mul_f32_e32 v79, v80, v79
	buffer_store_dword v79, off, s[0:3], 0 offset:76
.LBB32_126:
	s_or_b64 exec, exec, s[8:9]
	buffer_load_dword v79, off, s[0:3], 0 offset:72
	v_cmp_lt_u32_e64 s[4:5], 18, v0
	s_waitcnt vmcnt(0)
	ds_write_b32 v68, v79
	s_waitcnt lgkmcnt(0)
	; wave barrier
	s_waitcnt lgkmcnt(0)
	s_and_saveexec_b64 s[8:9], s[4:5]
	s_cbranch_execz .LBB32_136
; %bb.127:
	s_andn2_b64 vcc, exec, s[10:11]
	s_cbranch_vccnz .LBB32_129
; %bb.128:
	buffer_load_dword v79, v69, s[0:3], 0 offen
	ds_read_b32 v80, v68
	s_waitcnt vmcnt(0) lgkmcnt(0)
	v_mul_f32_e32 v79, v79, v80
	s_cbranch_execz .LBB32_130
	s_branch .LBB32_131
.LBB32_129:
                                        ; implicit-def: $vgpr79
.LBB32_130:
	ds_read_b32 v79, v68
.LBB32_131:
	s_and_saveexec_b64 s[12:13], s[6:7]
	s_cbranch_execz .LBB32_135
; %bb.132:
	v_mov_b32_e32 v80, 0
	v_add_u32_e32 v80, 0x4c, v80
	v_subrev_u32_e32 v81, 19, v0
	s_movk_i32 s14, 0xdc
	s_mov_b64 s[6:7], 0
.LBB32_133:                             ; =>This Inner Loop Header: Depth=1
	buffer_load_dword v82, v80, s[0:3], 0 offen
	v_mov_b32_e32 v83, s14
	ds_read_b32 v83, v83
	v_add_u32_e32 v81, -1, v81
	s_add_i32 s14, s14, 4
	v_cmp_eq_u32_e32 vcc, 0, v81
	v_add_u32_e32 v80, 4, v80
	s_or_b64 s[6:7], vcc, s[6:7]
	s_waitcnt vmcnt(0) lgkmcnt(0)
	v_fmac_f32_e32 v79, v82, v83
	s_andn2_b64 exec, exec, s[6:7]
	s_cbranch_execnz .LBB32_133
; %bb.134:
	s_or_b64 exec, exec, s[6:7]
.LBB32_135:
	s_or_b64 exec, exec, s[12:13]
	v_mov_b32_e32 v80, 0
	ds_read_b32 v80, v80 offset:72
	s_waitcnt lgkmcnt(0)
	v_mul_f32_e32 v79, v79, v80
	buffer_store_dword v79, off, s[0:3], 0 offset:72
.LBB32_136:
	s_or_b64 exec, exec, s[8:9]
	buffer_load_dword v79, off, s[0:3], 0 offset:68
	v_cmp_lt_u32_e64 s[6:7], 17, v0
	s_waitcnt vmcnt(0)
	ds_write_b32 v68, v79
	s_waitcnt lgkmcnt(0)
	; wave barrier
	s_waitcnt lgkmcnt(0)
	s_and_saveexec_b64 s[8:9], s[6:7]
	s_cbranch_execz .LBB32_146
; %bb.137:
	s_andn2_b64 vcc, exec, s[10:11]
	s_cbranch_vccnz .LBB32_139
; %bb.138:
	buffer_load_dword v79, v69, s[0:3], 0 offen
	ds_read_b32 v80, v68
	s_waitcnt vmcnt(0) lgkmcnt(0)
	v_mul_f32_e32 v79, v79, v80
	s_cbranch_execz .LBB32_140
	s_branch .LBB32_141
.LBB32_139:
                                        ; implicit-def: $vgpr79
.LBB32_140:
	ds_read_b32 v79, v68
.LBB32_141:
	s_and_saveexec_b64 s[12:13], s[4:5]
	s_cbranch_execz .LBB32_145
; %bb.142:
	v_subrev_u32_e32 v80, 18, v0
	s_movk_i32 s14, 0xd8
	s_mov_b64 s[4:5], 0
.LBB32_143:                             ; =>This Inner Loop Header: Depth=1
	buffer_load_dword v81, v78, s[0:3], 0 offen
	v_mov_b32_e32 v82, s14
	ds_read_b32 v82, v82
	v_add_u32_e32 v80, -1, v80
	s_add_i32 s14, s14, 4
	v_cmp_eq_u32_e32 vcc, 0, v80
	v_add_u32_e32 v78, 4, v78
	s_or_b64 s[4:5], vcc, s[4:5]
	s_waitcnt vmcnt(0) lgkmcnt(0)
	v_fmac_f32_e32 v79, v81, v82
	s_andn2_b64 exec, exec, s[4:5]
	s_cbranch_execnz .LBB32_143
; %bb.144:
	s_or_b64 exec, exec, s[4:5]
.LBB32_145:
	s_or_b64 exec, exec, s[12:13]
	v_mov_b32_e32 v78, 0
	ds_read_b32 v78, v78 offset:68
	s_waitcnt lgkmcnt(0)
	v_mul_f32_e32 v78, v79, v78
	buffer_store_dword v78, off, s[0:3], 0 offset:68
.LBB32_146:
	s_or_b64 exec, exec, s[8:9]
	buffer_load_dword v78, off, s[0:3], 0 offset:64
	v_cmp_lt_u32_e64 s[4:5], 16, v0
	s_waitcnt vmcnt(0)
	ds_write_b32 v68, v78
	s_waitcnt lgkmcnt(0)
	; wave barrier
	s_waitcnt lgkmcnt(0)
	s_and_saveexec_b64 s[8:9], s[4:5]
	s_cbranch_execz .LBB32_156
; %bb.147:
	s_andn2_b64 vcc, exec, s[10:11]
	s_cbranch_vccnz .LBB32_149
; %bb.148:
	buffer_load_dword v78, v69, s[0:3], 0 offen
	ds_read_b32 v79, v68
	s_waitcnt vmcnt(0) lgkmcnt(0)
	v_mul_f32_e32 v78, v78, v79
	s_cbranch_execz .LBB32_150
	s_branch .LBB32_151
.LBB32_149:
                                        ; implicit-def: $vgpr78
.LBB32_150:
	ds_read_b32 v78, v68
.LBB32_151:
	s_and_saveexec_b64 s[12:13], s[6:7]
	s_cbranch_execz .LBB32_155
; %bb.152:
	v_mov_b32_e32 v79, 0
	v_add_u32_e32 v79, 0x44, v79
	v_subrev_u32_e32 v80, 17, v0
	s_movk_i32 s14, 0xd4
	s_mov_b64 s[6:7], 0
.LBB32_153:                             ; =>This Inner Loop Header: Depth=1
	buffer_load_dword v81, v79, s[0:3], 0 offen
	v_mov_b32_e32 v82, s14
	ds_read_b32 v82, v82
	v_add_u32_e32 v80, -1, v80
	s_add_i32 s14, s14, 4
	v_cmp_eq_u32_e32 vcc, 0, v80
	v_add_u32_e32 v79, 4, v79
	s_or_b64 s[6:7], vcc, s[6:7]
	s_waitcnt vmcnt(0) lgkmcnt(0)
	v_fmac_f32_e32 v78, v81, v82
	s_andn2_b64 exec, exec, s[6:7]
	s_cbranch_execnz .LBB32_153
; %bb.154:
	s_or_b64 exec, exec, s[6:7]
.LBB32_155:
	s_or_b64 exec, exec, s[12:13]
	v_mov_b32_e32 v79, 0
	ds_read_b32 v79, v79 offset:64
	s_waitcnt lgkmcnt(0)
	v_mul_f32_e32 v78, v78, v79
	buffer_store_dword v78, off, s[0:3], 0 offset:64
.LBB32_156:
	s_or_b64 exec, exec, s[8:9]
	buffer_load_dword v78, off, s[0:3], 0 offset:60
	v_cmp_lt_u32_e64 s[6:7], 15, v0
	s_waitcnt vmcnt(0)
	ds_write_b32 v68, v78
	s_waitcnt lgkmcnt(0)
	; wave barrier
	s_waitcnt lgkmcnt(0)
	s_and_saveexec_b64 s[8:9], s[6:7]
	s_cbranch_execz .LBB32_166
; %bb.157:
	s_andn2_b64 vcc, exec, s[10:11]
	s_cbranch_vccnz .LBB32_159
; %bb.158:
	buffer_load_dword v78, v69, s[0:3], 0 offen
	ds_read_b32 v79, v68
	s_waitcnt vmcnt(0) lgkmcnt(0)
	v_mul_f32_e32 v78, v78, v79
	s_cbranch_execz .LBB32_160
	s_branch .LBB32_161
.LBB32_159:
                                        ; implicit-def: $vgpr78
.LBB32_160:
	ds_read_b32 v78, v68
.LBB32_161:
	s_and_saveexec_b64 s[12:13], s[4:5]
	s_cbranch_execz .LBB32_165
; %bb.162:
	v_add_u32_e32 v79, -16, v0
	s_movk_i32 s14, 0xd0
	s_mov_b64 s[4:5], 0
.LBB32_163:                             ; =>This Inner Loop Header: Depth=1
	buffer_load_dword v80, v77, s[0:3], 0 offen
	v_mov_b32_e32 v81, s14
	ds_read_b32 v81, v81
	v_add_u32_e32 v79, -1, v79
	s_add_i32 s14, s14, 4
	v_cmp_eq_u32_e32 vcc, 0, v79
	v_add_u32_e32 v77, 4, v77
	s_or_b64 s[4:5], vcc, s[4:5]
	s_waitcnt vmcnt(0) lgkmcnt(0)
	v_fmac_f32_e32 v78, v80, v81
	s_andn2_b64 exec, exec, s[4:5]
	s_cbranch_execnz .LBB32_163
; %bb.164:
	s_or_b64 exec, exec, s[4:5]
.LBB32_165:
	s_or_b64 exec, exec, s[12:13]
	v_mov_b32_e32 v77, 0
	ds_read_b32 v77, v77 offset:60
	s_waitcnt lgkmcnt(0)
	v_mul_f32_e32 v77, v78, v77
	buffer_store_dword v77, off, s[0:3], 0 offset:60
.LBB32_166:
	s_or_b64 exec, exec, s[8:9]
	buffer_load_dword v77, off, s[0:3], 0 offset:56
	v_cmp_lt_u32_e64 s[4:5], 14, v0
	s_waitcnt vmcnt(0)
	ds_write_b32 v68, v77
	s_waitcnt lgkmcnt(0)
	; wave barrier
	s_waitcnt lgkmcnt(0)
	s_and_saveexec_b64 s[8:9], s[4:5]
	s_cbranch_execz .LBB32_176
; %bb.167:
	s_andn2_b64 vcc, exec, s[10:11]
	s_cbranch_vccnz .LBB32_169
; %bb.168:
	buffer_load_dword v77, v69, s[0:3], 0 offen
	ds_read_b32 v78, v68
	s_waitcnt vmcnt(0) lgkmcnt(0)
	v_mul_f32_e32 v77, v77, v78
	s_cbranch_execz .LBB32_170
	s_branch .LBB32_171
.LBB32_169:
                                        ; implicit-def: $vgpr77
.LBB32_170:
	ds_read_b32 v77, v68
.LBB32_171:
	s_and_saveexec_b64 s[12:13], s[6:7]
	s_cbranch_execz .LBB32_175
; %bb.172:
	v_mov_b32_e32 v78, 0
	v_add_u32_e32 v78, 60, v78
	v_add_u32_e32 v79, -15, v0
	s_movk_i32 s14, 0xcc
	s_mov_b64 s[6:7], 0
.LBB32_173:                             ; =>This Inner Loop Header: Depth=1
	buffer_load_dword v80, v78, s[0:3], 0 offen
	v_mov_b32_e32 v81, s14
	ds_read_b32 v81, v81
	v_add_u32_e32 v79, -1, v79
	s_add_i32 s14, s14, 4
	v_cmp_eq_u32_e32 vcc, 0, v79
	v_add_u32_e32 v78, 4, v78
	s_or_b64 s[6:7], vcc, s[6:7]
	s_waitcnt vmcnt(0) lgkmcnt(0)
	v_fmac_f32_e32 v77, v80, v81
	s_andn2_b64 exec, exec, s[6:7]
	s_cbranch_execnz .LBB32_173
; %bb.174:
	s_or_b64 exec, exec, s[6:7]
.LBB32_175:
	s_or_b64 exec, exec, s[12:13]
	v_mov_b32_e32 v78, 0
	ds_read_b32 v78, v78 offset:56
	s_waitcnt lgkmcnt(0)
	v_mul_f32_e32 v77, v77, v78
	buffer_store_dword v77, off, s[0:3], 0 offset:56
.LBB32_176:
	s_or_b64 exec, exec, s[8:9]
	buffer_load_dword v77, off, s[0:3], 0 offset:52
	v_cmp_lt_u32_e64 s[6:7], 13, v0
	s_waitcnt vmcnt(0)
	ds_write_b32 v68, v77
	s_waitcnt lgkmcnt(0)
	; wave barrier
	s_waitcnt lgkmcnt(0)
	s_and_saveexec_b64 s[8:9], s[6:7]
	s_cbranch_execz .LBB32_186
; %bb.177:
	s_andn2_b64 vcc, exec, s[10:11]
	s_cbranch_vccnz .LBB32_179
; %bb.178:
	buffer_load_dword v77, v69, s[0:3], 0 offen
	ds_read_b32 v78, v68
	s_waitcnt vmcnt(0) lgkmcnt(0)
	v_mul_f32_e32 v77, v77, v78
	s_cbranch_execz .LBB32_180
	s_branch .LBB32_181
.LBB32_179:
                                        ; implicit-def: $vgpr77
.LBB32_180:
	ds_read_b32 v77, v68
.LBB32_181:
	s_and_saveexec_b64 s[12:13], s[4:5]
	s_cbranch_execz .LBB32_185
; %bb.182:
	v_add_u32_e32 v78, -14, v0
	s_movk_i32 s14, 0xc8
	s_mov_b64 s[4:5], 0
.LBB32_183:                             ; =>This Inner Loop Header: Depth=1
	buffer_load_dword v79, v76, s[0:3], 0 offen
	v_mov_b32_e32 v80, s14
	ds_read_b32 v80, v80
	v_add_u32_e32 v78, -1, v78
	s_add_i32 s14, s14, 4
	v_cmp_eq_u32_e32 vcc, 0, v78
	v_add_u32_e32 v76, 4, v76
	s_or_b64 s[4:5], vcc, s[4:5]
	s_waitcnt vmcnt(0) lgkmcnt(0)
	v_fmac_f32_e32 v77, v79, v80
	s_andn2_b64 exec, exec, s[4:5]
	s_cbranch_execnz .LBB32_183
; %bb.184:
	s_or_b64 exec, exec, s[4:5]
.LBB32_185:
	s_or_b64 exec, exec, s[12:13]
	v_mov_b32_e32 v76, 0
	ds_read_b32 v76, v76 offset:52
	s_waitcnt lgkmcnt(0)
	v_mul_f32_e32 v76, v77, v76
	buffer_store_dword v76, off, s[0:3], 0 offset:52
.LBB32_186:
	s_or_b64 exec, exec, s[8:9]
	buffer_load_dword v76, off, s[0:3], 0 offset:48
	v_cmp_lt_u32_e64 s[4:5], 12, v0
	s_waitcnt vmcnt(0)
	ds_write_b32 v68, v76
	s_waitcnt lgkmcnt(0)
	; wave barrier
	s_waitcnt lgkmcnt(0)
	s_and_saveexec_b64 s[8:9], s[4:5]
	s_cbranch_execz .LBB32_196
; %bb.187:
	s_andn2_b64 vcc, exec, s[10:11]
	s_cbranch_vccnz .LBB32_189
; %bb.188:
	buffer_load_dword v76, v69, s[0:3], 0 offen
	ds_read_b32 v77, v68
	s_waitcnt vmcnt(0) lgkmcnt(0)
	v_mul_f32_e32 v76, v76, v77
	s_cbranch_execz .LBB32_190
	s_branch .LBB32_191
.LBB32_189:
                                        ; implicit-def: $vgpr76
.LBB32_190:
	ds_read_b32 v76, v68
.LBB32_191:
	s_and_saveexec_b64 s[12:13], s[6:7]
	s_cbranch_execz .LBB32_195
; %bb.192:
	v_mov_b32_e32 v77, 0
	v_add_u32_e32 v77, 52, v77
	v_add_u32_e32 v78, -13, v0
	s_movk_i32 s14, 0xc4
	s_mov_b64 s[6:7], 0
.LBB32_193:                             ; =>This Inner Loop Header: Depth=1
	buffer_load_dword v79, v77, s[0:3], 0 offen
	v_mov_b32_e32 v80, s14
	ds_read_b32 v80, v80
	v_add_u32_e32 v78, -1, v78
	s_add_i32 s14, s14, 4
	v_cmp_eq_u32_e32 vcc, 0, v78
	v_add_u32_e32 v77, 4, v77
	s_or_b64 s[6:7], vcc, s[6:7]
	s_waitcnt vmcnt(0) lgkmcnt(0)
	v_fmac_f32_e32 v76, v79, v80
	s_andn2_b64 exec, exec, s[6:7]
	s_cbranch_execnz .LBB32_193
; %bb.194:
	s_or_b64 exec, exec, s[6:7]
.LBB32_195:
	s_or_b64 exec, exec, s[12:13]
	v_mov_b32_e32 v77, 0
	ds_read_b32 v77, v77 offset:48
	s_waitcnt lgkmcnt(0)
	v_mul_f32_e32 v76, v76, v77
	buffer_store_dword v76, off, s[0:3], 0 offset:48
.LBB32_196:
	s_or_b64 exec, exec, s[8:9]
	buffer_load_dword v76, off, s[0:3], 0 offset:44
	v_cmp_lt_u32_e64 s[6:7], 11, v0
	s_waitcnt vmcnt(0)
	ds_write_b32 v68, v76
	s_waitcnt lgkmcnt(0)
	; wave barrier
	s_waitcnt lgkmcnt(0)
	s_and_saveexec_b64 s[8:9], s[6:7]
	s_cbranch_execz .LBB32_206
; %bb.197:
	s_andn2_b64 vcc, exec, s[10:11]
	s_cbranch_vccnz .LBB32_199
; %bb.198:
	buffer_load_dword v76, v69, s[0:3], 0 offen
	ds_read_b32 v77, v68
	s_waitcnt vmcnt(0) lgkmcnt(0)
	v_mul_f32_e32 v76, v76, v77
	s_cbranch_execz .LBB32_200
	s_branch .LBB32_201
.LBB32_199:
                                        ; implicit-def: $vgpr76
.LBB32_200:
	ds_read_b32 v76, v68
.LBB32_201:
	s_and_saveexec_b64 s[12:13], s[4:5]
	s_cbranch_execz .LBB32_205
; %bb.202:
	v_add_u32_e32 v77, -12, v0
	s_movk_i32 s14, 0xc0
	s_mov_b64 s[4:5], 0
.LBB32_203:                             ; =>This Inner Loop Header: Depth=1
	buffer_load_dword v78, v75, s[0:3], 0 offen
	v_mov_b32_e32 v79, s14
	ds_read_b32 v79, v79
	v_add_u32_e32 v77, -1, v77
	s_add_i32 s14, s14, 4
	v_cmp_eq_u32_e32 vcc, 0, v77
	v_add_u32_e32 v75, 4, v75
	s_or_b64 s[4:5], vcc, s[4:5]
	s_waitcnt vmcnt(0) lgkmcnt(0)
	v_fmac_f32_e32 v76, v78, v79
	s_andn2_b64 exec, exec, s[4:5]
	s_cbranch_execnz .LBB32_203
; %bb.204:
	s_or_b64 exec, exec, s[4:5]
.LBB32_205:
	s_or_b64 exec, exec, s[12:13]
	v_mov_b32_e32 v75, 0
	ds_read_b32 v75, v75 offset:44
	s_waitcnt lgkmcnt(0)
	v_mul_f32_e32 v75, v76, v75
	buffer_store_dword v75, off, s[0:3], 0 offset:44
.LBB32_206:
	s_or_b64 exec, exec, s[8:9]
	buffer_load_dword v75, off, s[0:3], 0 offset:40
	v_cmp_lt_u32_e64 s[4:5], 10, v0
	s_waitcnt vmcnt(0)
	ds_write_b32 v68, v75
	s_waitcnt lgkmcnt(0)
	; wave barrier
	s_waitcnt lgkmcnt(0)
	s_and_saveexec_b64 s[8:9], s[4:5]
	s_cbranch_execz .LBB32_216
; %bb.207:
	s_andn2_b64 vcc, exec, s[10:11]
	s_cbranch_vccnz .LBB32_209
; %bb.208:
	buffer_load_dword v75, v69, s[0:3], 0 offen
	ds_read_b32 v76, v68
	s_waitcnt vmcnt(0) lgkmcnt(0)
	v_mul_f32_e32 v75, v75, v76
	s_cbranch_execz .LBB32_210
	s_branch .LBB32_211
.LBB32_209:
                                        ; implicit-def: $vgpr75
.LBB32_210:
	ds_read_b32 v75, v68
.LBB32_211:
	s_and_saveexec_b64 s[12:13], s[6:7]
	s_cbranch_execz .LBB32_215
; %bb.212:
	v_mov_b32_e32 v76, 0
	v_add_u32_e32 v76, 44, v76
	v_add_u32_e32 v77, -11, v0
	s_movk_i32 s14, 0xbc
	s_mov_b64 s[6:7], 0
.LBB32_213:                             ; =>This Inner Loop Header: Depth=1
	buffer_load_dword v78, v76, s[0:3], 0 offen
	v_mov_b32_e32 v79, s14
	ds_read_b32 v79, v79
	v_add_u32_e32 v77, -1, v77
	s_add_i32 s14, s14, 4
	v_cmp_eq_u32_e32 vcc, 0, v77
	v_add_u32_e32 v76, 4, v76
	s_or_b64 s[6:7], vcc, s[6:7]
	s_waitcnt vmcnt(0) lgkmcnt(0)
	v_fmac_f32_e32 v75, v78, v79
	s_andn2_b64 exec, exec, s[6:7]
	s_cbranch_execnz .LBB32_213
; %bb.214:
	s_or_b64 exec, exec, s[6:7]
.LBB32_215:
	s_or_b64 exec, exec, s[12:13]
	v_mov_b32_e32 v76, 0
	ds_read_b32 v76, v76 offset:40
	s_waitcnt lgkmcnt(0)
	v_mul_f32_e32 v75, v75, v76
	buffer_store_dword v75, off, s[0:3], 0 offset:40
.LBB32_216:
	s_or_b64 exec, exec, s[8:9]
	buffer_load_dword v75, off, s[0:3], 0 offset:36
	v_cmp_lt_u32_e64 s[6:7], 9, v0
	s_waitcnt vmcnt(0)
	ds_write_b32 v68, v75
	s_waitcnt lgkmcnt(0)
	; wave barrier
	s_waitcnt lgkmcnt(0)
	s_and_saveexec_b64 s[8:9], s[6:7]
	s_cbranch_execz .LBB32_226
; %bb.217:
	s_andn2_b64 vcc, exec, s[10:11]
	s_cbranch_vccnz .LBB32_219
; %bb.218:
	buffer_load_dword v75, v69, s[0:3], 0 offen
	ds_read_b32 v76, v68
	s_waitcnt vmcnt(0) lgkmcnt(0)
	v_mul_f32_e32 v75, v75, v76
	s_cbranch_execz .LBB32_220
	s_branch .LBB32_221
.LBB32_219:
                                        ; implicit-def: $vgpr75
.LBB32_220:
	ds_read_b32 v75, v68
.LBB32_221:
	s_and_saveexec_b64 s[12:13], s[4:5]
	s_cbranch_execz .LBB32_225
; %bb.222:
	v_add_u32_e32 v76, -10, v0
	s_movk_i32 s14, 0xb8
	s_mov_b64 s[4:5], 0
.LBB32_223:                             ; =>This Inner Loop Header: Depth=1
	buffer_load_dword v77, v74, s[0:3], 0 offen
	v_mov_b32_e32 v78, s14
	ds_read_b32 v78, v78
	v_add_u32_e32 v76, -1, v76
	s_add_i32 s14, s14, 4
	v_cmp_eq_u32_e32 vcc, 0, v76
	v_add_u32_e32 v74, 4, v74
	s_or_b64 s[4:5], vcc, s[4:5]
	s_waitcnt vmcnt(0) lgkmcnt(0)
	v_fmac_f32_e32 v75, v77, v78
	s_andn2_b64 exec, exec, s[4:5]
	s_cbranch_execnz .LBB32_223
; %bb.224:
	s_or_b64 exec, exec, s[4:5]
.LBB32_225:
	s_or_b64 exec, exec, s[12:13]
	v_mov_b32_e32 v74, 0
	ds_read_b32 v74, v74 offset:36
	s_waitcnt lgkmcnt(0)
	v_mul_f32_e32 v74, v75, v74
	buffer_store_dword v74, off, s[0:3], 0 offset:36
.LBB32_226:
	s_or_b64 exec, exec, s[8:9]
	buffer_load_dword v74, off, s[0:3], 0 offset:32
	v_cmp_lt_u32_e64 s[4:5], 8, v0
	s_waitcnt vmcnt(0)
	ds_write_b32 v68, v74
	s_waitcnt lgkmcnt(0)
	; wave barrier
	s_waitcnt lgkmcnt(0)
	s_and_saveexec_b64 s[8:9], s[4:5]
	s_cbranch_execz .LBB32_236
; %bb.227:
	s_andn2_b64 vcc, exec, s[10:11]
	s_cbranch_vccnz .LBB32_229
; %bb.228:
	buffer_load_dword v74, v69, s[0:3], 0 offen
	ds_read_b32 v75, v68
	s_waitcnt vmcnt(0) lgkmcnt(0)
	v_mul_f32_e32 v74, v74, v75
	s_cbranch_execz .LBB32_230
	s_branch .LBB32_231
.LBB32_229:
                                        ; implicit-def: $vgpr74
.LBB32_230:
	ds_read_b32 v74, v68
.LBB32_231:
	s_and_saveexec_b64 s[12:13], s[6:7]
	s_cbranch_execz .LBB32_235
; %bb.232:
	v_mov_b32_e32 v75, 0
	v_add_u32_e32 v75, 36, v75
	v_add_u32_e32 v76, -9, v0
	s_movk_i32 s14, 0xb4
	s_mov_b64 s[6:7], 0
.LBB32_233:                             ; =>This Inner Loop Header: Depth=1
	buffer_load_dword v77, v75, s[0:3], 0 offen
	v_mov_b32_e32 v78, s14
	ds_read_b32 v78, v78
	v_add_u32_e32 v76, -1, v76
	s_add_i32 s14, s14, 4
	v_cmp_eq_u32_e32 vcc, 0, v76
	v_add_u32_e32 v75, 4, v75
	s_or_b64 s[6:7], vcc, s[6:7]
	s_waitcnt vmcnt(0) lgkmcnt(0)
	v_fmac_f32_e32 v74, v77, v78
	s_andn2_b64 exec, exec, s[6:7]
	s_cbranch_execnz .LBB32_233
; %bb.234:
	s_or_b64 exec, exec, s[6:7]
.LBB32_235:
	s_or_b64 exec, exec, s[12:13]
	v_mov_b32_e32 v75, 0
	ds_read_b32 v75, v75 offset:32
	s_waitcnt lgkmcnt(0)
	v_mul_f32_e32 v74, v74, v75
	buffer_store_dword v74, off, s[0:3], 0 offset:32
.LBB32_236:
	s_or_b64 exec, exec, s[8:9]
	buffer_load_dword v74, off, s[0:3], 0 offset:28
	v_cmp_lt_u32_e64 s[6:7], 7, v0
	s_waitcnt vmcnt(0)
	ds_write_b32 v68, v74
	s_waitcnt lgkmcnt(0)
	; wave barrier
	s_waitcnt lgkmcnt(0)
	s_and_saveexec_b64 s[8:9], s[6:7]
	s_cbranch_execz .LBB32_246
; %bb.237:
	s_andn2_b64 vcc, exec, s[10:11]
	s_cbranch_vccnz .LBB32_239
; %bb.238:
	buffer_load_dword v74, v69, s[0:3], 0 offen
	ds_read_b32 v75, v68
	s_waitcnt vmcnt(0) lgkmcnt(0)
	v_mul_f32_e32 v74, v74, v75
	s_cbranch_execz .LBB32_240
	s_branch .LBB32_241
.LBB32_239:
                                        ; implicit-def: $vgpr74
.LBB32_240:
	ds_read_b32 v74, v68
.LBB32_241:
	s_and_saveexec_b64 s[12:13], s[4:5]
	s_cbranch_execz .LBB32_245
; %bb.242:
	v_add_u32_e32 v75, -8, v0
	s_movk_i32 s14, 0xb0
	s_mov_b64 s[4:5], 0
.LBB32_243:                             ; =>This Inner Loop Header: Depth=1
	buffer_load_dword v76, v73, s[0:3], 0 offen
	v_mov_b32_e32 v77, s14
	ds_read_b32 v77, v77
	v_add_u32_e32 v75, -1, v75
	s_add_i32 s14, s14, 4
	v_cmp_eq_u32_e32 vcc, 0, v75
	v_add_u32_e32 v73, 4, v73
	s_or_b64 s[4:5], vcc, s[4:5]
	s_waitcnt vmcnt(0) lgkmcnt(0)
	v_fmac_f32_e32 v74, v76, v77
	s_andn2_b64 exec, exec, s[4:5]
	s_cbranch_execnz .LBB32_243
; %bb.244:
	s_or_b64 exec, exec, s[4:5]
.LBB32_245:
	s_or_b64 exec, exec, s[12:13]
	v_mov_b32_e32 v73, 0
	ds_read_b32 v73, v73 offset:28
	s_waitcnt lgkmcnt(0)
	v_mul_f32_e32 v73, v74, v73
	buffer_store_dword v73, off, s[0:3], 0 offset:28
.LBB32_246:
	s_or_b64 exec, exec, s[8:9]
	buffer_load_dword v73, off, s[0:3], 0 offset:24
	v_cmp_lt_u32_e64 s[4:5], 6, v0
	s_waitcnt vmcnt(0)
	ds_write_b32 v68, v73
	s_waitcnt lgkmcnt(0)
	; wave barrier
	s_waitcnt lgkmcnt(0)
	s_and_saveexec_b64 s[8:9], s[4:5]
	s_cbranch_execz .LBB32_256
; %bb.247:
	s_andn2_b64 vcc, exec, s[10:11]
	s_cbranch_vccnz .LBB32_249
; %bb.248:
	buffer_load_dword v73, v69, s[0:3], 0 offen
	ds_read_b32 v74, v68
	s_waitcnt vmcnt(0) lgkmcnt(0)
	v_mul_f32_e32 v73, v73, v74
	s_cbranch_execz .LBB32_250
	s_branch .LBB32_251
.LBB32_249:
                                        ; implicit-def: $vgpr73
.LBB32_250:
	ds_read_b32 v73, v68
.LBB32_251:
	s_and_saveexec_b64 s[12:13], s[6:7]
	s_cbranch_execz .LBB32_255
; %bb.252:
	v_mov_b32_e32 v74, 0
	v_add_u32_e32 v74, 28, v74
	v_add_u32_e32 v75, -7, v0
	s_movk_i32 s14, 0xac
	s_mov_b64 s[6:7], 0
.LBB32_253:                             ; =>This Inner Loop Header: Depth=1
	buffer_load_dword v76, v74, s[0:3], 0 offen
	v_mov_b32_e32 v77, s14
	ds_read_b32 v77, v77
	v_add_u32_e32 v75, -1, v75
	s_add_i32 s14, s14, 4
	v_cmp_eq_u32_e32 vcc, 0, v75
	v_add_u32_e32 v74, 4, v74
	s_or_b64 s[6:7], vcc, s[6:7]
	s_waitcnt vmcnt(0) lgkmcnt(0)
	v_fmac_f32_e32 v73, v76, v77
	s_andn2_b64 exec, exec, s[6:7]
	s_cbranch_execnz .LBB32_253
; %bb.254:
	s_or_b64 exec, exec, s[6:7]
.LBB32_255:
	s_or_b64 exec, exec, s[12:13]
	v_mov_b32_e32 v74, 0
	ds_read_b32 v74, v74 offset:24
	s_waitcnt lgkmcnt(0)
	v_mul_f32_e32 v73, v73, v74
	buffer_store_dword v73, off, s[0:3], 0 offset:24
.LBB32_256:
	s_or_b64 exec, exec, s[8:9]
	buffer_load_dword v73, off, s[0:3], 0 offset:20
	v_cmp_lt_u32_e64 s[6:7], 5, v0
	s_waitcnt vmcnt(0)
	ds_write_b32 v68, v73
	s_waitcnt lgkmcnt(0)
	; wave barrier
	s_waitcnt lgkmcnt(0)
	s_and_saveexec_b64 s[8:9], s[6:7]
	s_cbranch_execz .LBB32_266
; %bb.257:
	s_andn2_b64 vcc, exec, s[10:11]
	s_cbranch_vccnz .LBB32_259
; %bb.258:
	buffer_load_dword v73, v69, s[0:3], 0 offen
	ds_read_b32 v74, v68
	s_waitcnt vmcnt(0) lgkmcnt(0)
	v_mul_f32_e32 v73, v73, v74
	s_cbranch_execz .LBB32_260
	s_branch .LBB32_261
.LBB32_259:
                                        ; implicit-def: $vgpr73
.LBB32_260:
	ds_read_b32 v73, v68
.LBB32_261:
	s_and_saveexec_b64 s[12:13], s[4:5]
	s_cbranch_execz .LBB32_265
; %bb.262:
	v_add_u32_e32 v74, -6, v0
	s_movk_i32 s14, 0xa8
	s_mov_b64 s[4:5], 0
.LBB32_263:                             ; =>This Inner Loop Header: Depth=1
	buffer_load_dword v75, v72, s[0:3], 0 offen
	v_mov_b32_e32 v76, s14
	ds_read_b32 v76, v76
	v_add_u32_e32 v74, -1, v74
	s_add_i32 s14, s14, 4
	v_cmp_eq_u32_e32 vcc, 0, v74
	v_add_u32_e32 v72, 4, v72
	s_or_b64 s[4:5], vcc, s[4:5]
	s_waitcnt vmcnt(0) lgkmcnt(0)
	v_fmac_f32_e32 v73, v75, v76
	s_andn2_b64 exec, exec, s[4:5]
	s_cbranch_execnz .LBB32_263
; %bb.264:
	s_or_b64 exec, exec, s[4:5]
.LBB32_265:
	s_or_b64 exec, exec, s[12:13]
	v_mov_b32_e32 v72, 0
	ds_read_b32 v72, v72 offset:20
	s_waitcnt lgkmcnt(0)
	v_mul_f32_e32 v72, v73, v72
	buffer_store_dword v72, off, s[0:3], 0 offset:20
.LBB32_266:
	s_or_b64 exec, exec, s[8:9]
	buffer_load_dword v72, off, s[0:3], 0 offset:16
	v_cmp_lt_u32_e64 s[4:5], 4, v0
	s_waitcnt vmcnt(0)
	ds_write_b32 v68, v72
	s_waitcnt lgkmcnt(0)
	; wave barrier
	s_waitcnt lgkmcnt(0)
	s_and_saveexec_b64 s[8:9], s[4:5]
	s_cbranch_execz .LBB32_276
; %bb.267:
	s_andn2_b64 vcc, exec, s[10:11]
	s_cbranch_vccnz .LBB32_269
; %bb.268:
	buffer_load_dword v72, v69, s[0:3], 0 offen
	ds_read_b32 v73, v68
	s_waitcnt vmcnt(0) lgkmcnt(0)
	v_mul_f32_e32 v72, v72, v73
	s_cbranch_execz .LBB32_270
	s_branch .LBB32_271
.LBB32_269:
                                        ; implicit-def: $vgpr72
.LBB32_270:
	ds_read_b32 v72, v68
.LBB32_271:
	s_and_saveexec_b64 s[12:13], s[6:7]
	s_cbranch_execz .LBB32_275
; %bb.272:
	v_mov_b32_e32 v73, 0
	v_add_u32_e32 v73, 20, v73
	v_add_u32_e32 v74, -5, v0
	s_movk_i32 s14, 0xa4
	s_mov_b64 s[6:7], 0
.LBB32_273:                             ; =>This Inner Loop Header: Depth=1
	buffer_load_dword v75, v73, s[0:3], 0 offen
	v_mov_b32_e32 v76, s14
	ds_read_b32 v76, v76
	v_add_u32_e32 v74, -1, v74
	s_add_i32 s14, s14, 4
	v_cmp_eq_u32_e32 vcc, 0, v74
	v_add_u32_e32 v73, 4, v73
	s_or_b64 s[6:7], vcc, s[6:7]
	s_waitcnt vmcnt(0) lgkmcnt(0)
	v_fmac_f32_e32 v72, v75, v76
	s_andn2_b64 exec, exec, s[6:7]
	s_cbranch_execnz .LBB32_273
; %bb.274:
	s_or_b64 exec, exec, s[6:7]
.LBB32_275:
	s_or_b64 exec, exec, s[12:13]
	v_mov_b32_e32 v73, 0
	ds_read_b32 v73, v73 offset:16
	s_waitcnt lgkmcnt(0)
	v_mul_f32_e32 v72, v72, v73
	buffer_store_dword v72, off, s[0:3], 0 offset:16
.LBB32_276:
	s_or_b64 exec, exec, s[8:9]
	buffer_load_dword v72, off, s[0:3], 0 offset:12
	v_cmp_lt_u32_e64 s[6:7], 3, v0
	s_waitcnt vmcnt(0)
	ds_write_b32 v68, v72
	s_waitcnt lgkmcnt(0)
	; wave barrier
	s_waitcnt lgkmcnt(0)
	s_and_saveexec_b64 s[8:9], s[6:7]
	s_cbranch_execz .LBB32_286
; %bb.277:
	s_andn2_b64 vcc, exec, s[10:11]
	s_cbranch_vccnz .LBB32_279
; %bb.278:
	buffer_load_dword v72, v69, s[0:3], 0 offen
	ds_read_b32 v73, v68
	s_waitcnt vmcnt(0) lgkmcnt(0)
	v_mul_f32_e32 v72, v72, v73
	s_cbranch_execz .LBB32_280
	s_branch .LBB32_281
.LBB32_279:
                                        ; implicit-def: $vgpr72
.LBB32_280:
	ds_read_b32 v72, v68
.LBB32_281:
	s_and_saveexec_b64 s[12:13], s[4:5]
	s_cbranch_execz .LBB32_285
; %bb.282:
	v_add_u32_e32 v73, -4, v0
	s_movk_i32 s14, 0xa0
	s_mov_b64 s[4:5], 0
.LBB32_283:                             ; =>This Inner Loop Header: Depth=1
	buffer_load_dword v74, v71, s[0:3], 0 offen
	v_mov_b32_e32 v75, s14
	ds_read_b32 v75, v75
	v_add_u32_e32 v73, -1, v73
	s_add_i32 s14, s14, 4
	v_cmp_eq_u32_e32 vcc, 0, v73
	v_add_u32_e32 v71, 4, v71
	s_or_b64 s[4:5], vcc, s[4:5]
	s_waitcnt vmcnt(0) lgkmcnt(0)
	v_fmac_f32_e32 v72, v74, v75
	s_andn2_b64 exec, exec, s[4:5]
	s_cbranch_execnz .LBB32_283
; %bb.284:
	s_or_b64 exec, exec, s[4:5]
.LBB32_285:
	s_or_b64 exec, exec, s[12:13]
	v_mov_b32_e32 v71, 0
	ds_read_b32 v71, v71 offset:12
	s_waitcnt lgkmcnt(0)
	v_mul_f32_e32 v71, v72, v71
	buffer_store_dword v71, off, s[0:3], 0 offset:12
.LBB32_286:
	s_or_b64 exec, exec, s[8:9]
	buffer_load_dword v71, off, s[0:3], 0 offset:8
	v_cmp_lt_u32_e64 s[4:5], 2, v0
	s_waitcnt vmcnt(0)
	ds_write_b32 v68, v71
	s_waitcnt lgkmcnt(0)
	; wave barrier
	s_waitcnt lgkmcnt(0)
	s_and_saveexec_b64 s[8:9], s[4:5]
	s_cbranch_execz .LBB32_296
; %bb.287:
	s_andn2_b64 vcc, exec, s[10:11]
	s_cbranch_vccnz .LBB32_289
; %bb.288:
	buffer_load_dword v71, v69, s[0:3], 0 offen
	ds_read_b32 v72, v68
	s_waitcnt vmcnt(0) lgkmcnt(0)
	v_mul_f32_e32 v71, v71, v72
	s_cbranch_execz .LBB32_290
	s_branch .LBB32_291
.LBB32_289:
                                        ; implicit-def: $vgpr71
.LBB32_290:
	ds_read_b32 v71, v68
.LBB32_291:
	s_and_saveexec_b64 s[12:13], s[6:7]
	s_cbranch_execz .LBB32_295
; %bb.292:
	v_mov_b32_e32 v72, 0
	v_or_b32_e32 v72, 12, v72
	v_add_u32_e32 v73, -3, v0
	s_movk_i32 s14, 0x9c
	s_mov_b64 s[6:7], 0
.LBB32_293:                             ; =>This Inner Loop Header: Depth=1
	buffer_load_dword v74, v72, s[0:3], 0 offen
	v_mov_b32_e32 v75, s14
	ds_read_b32 v75, v75
	v_add_u32_e32 v73, -1, v73
	s_add_i32 s14, s14, 4
	v_cmp_eq_u32_e32 vcc, 0, v73
	v_add_u32_e32 v72, 4, v72
	s_or_b64 s[6:7], vcc, s[6:7]
	s_waitcnt vmcnt(0) lgkmcnt(0)
	v_fmac_f32_e32 v71, v74, v75
	s_andn2_b64 exec, exec, s[6:7]
	s_cbranch_execnz .LBB32_293
; %bb.294:
	s_or_b64 exec, exec, s[6:7]
.LBB32_295:
	s_or_b64 exec, exec, s[12:13]
	v_mov_b32_e32 v72, 0
	ds_read_b32 v72, v72 offset:8
	s_waitcnt lgkmcnt(0)
	v_mul_f32_e32 v71, v71, v72
	buffer_store_dword v71, off, s[0:3], 0 offset:8
.LBB32_296:
	s_or_b64 exec, exec, s[8:9]
	buffer_load_dword v71, off, s[0:3], 0 offset:4
	v_cmp_lt_u32_e64 s[6:7], 1, v0
	s_waitcnt vmcnt(0)
	ds_write_b32 v68, v71
	s_waitcnt lgkmcnt(0)
	; wave barrier
	s_waitcnt lgkmcnt(0)
	s_and_saveexec_b64 s[8:9], s[6:7]
	s_cbranch_execz .LBB32_306
; %bb.297:
	s_andn2_b64 vcc, exec, s[10:11]
	s_cbranch_vccnz .LBB32_299
; %bb.298:
	buffer_load_dword v71, v69, s[0:3], 0 offen
	ds_read_b32 v72, v68
	s_waitcnt vmcnt(0) lgkmcnt(0)
	v_mul_f32_e32 v71, v71, v72
	s_cbranch_execz .LBB32_300
	s_branch .LBB32_301
.LBB32_299:
                                        ; implicit-def: $vgpr71
.LBB32_300:
	ds_read_b32 v71, v68
.LBB32_301:
	s_and_saveexec_b64 s[12:13], s[4:5]
	s_cbranch_execz .LBB32_305
; %bb.302:
	v_add_u32_e32 v72, -2, v0
	s_movk_i32 s14, 0x98
	s_mov_b64 s[4:5], 0
.LBB32_303:                             ; =>This Inner Loop Header: Depth=1
	buffer_load_dword v73, v70, s[0:3], 0 offen
	v_mov_b32_e32 v74, s14
	ds_read_b32 v74, v74
	v_add_u32_e32 v72, -1, v72
	s_add_i32 s14, s14, 4
	v_cmp_eq_u32_e32 vcc, 0, v72
	v_add_u32_e32 v70, 4, v70
	s_or_b64 s[4:5], vcc, s[4:5]
	s_waitcnt vmcnt(0) lgkmcnt(0)
	v_fmac_f32_e32 v71, v73, v74
	s_andn2_b64 exec, exec, s[4:5]
	s_cbranch_execnz .LBB32_303
; %bb.304:
	s_or_b64 exec, exec, s[4:5]
.LBB32_305:
	s_or_b64 exec, exec, s[12:13]
	v_mov_b32_e32 v70, 0
	ds_read_b32 v70, v70 offset:4
	s_waitcnt lgkmcnt(0)
	v_mul_f32_e32 v70, v71, v70
	buffer_store_dword v70, off, s[0:3], 0 offset:4
.LBB32_306:
	s_or_b64 exec, exec, s[8:9]
	buffer_load_dword v70, off, s[0:3], 0
	v_cmp_ne_u32_e32 vcc, 0, v0
	s_waitcnt vmcnt(0)
	ds_write_b32 v68, v70
	s_waitcnt lgkmcnt(0)
	; wave barrier
	s_waitcnt lgkmcnt(0)
	s_and_saveexec_b64 s[4:5], vcc
	s_cbranch_execz .LBB32_316
; %bb.307:
	s_andn2_b64 vcc, exec, s[10:11]
	s_cbranch_vccnz .LBB32_309
; %bb.308:
	buffer_load_dword v70, v69, s[0:3], 0 offen
	ds_read_b32 v71, v68
	s_waitcnt vmcnt(0) lgkmcnt(0)
	v_mul_f32_e32 v70, v70, v71
	s_cbranch_execz .LBB32_310
	s_branch .LBB32_311
.LBB32_309:
                                        ; implicit-def: $vgpr70
.LBB32_310:
	ds_read_b32 v70, v68
.LBB32_311:
	s_and_saveexec_b64 s[8:9], s[6:7]
	s_cbranch_execz .LBB32_315
; %bb.312:
	v_mov_b32_e32 v71, 0
	v_or_b32_e32 v71, 4, v71
	v_add_u32_e32 v72, -1, v0
	s_movk_i32 s12, 0x94
	s_mov_b64 s[6:7], 0
.LBB32_313:                             ; =>This Inner Loop Header: Depth=1
	buffer_load_dword v73, v71, s[0:3], 0 offen
	v_mov_b32_e32 v74, s12
	ds_read_b32 v74, v74
	v_add_u32_e32 v72, -1, v72
	s_add_i32 s12, s12, 4
	v_cmp_eq_u32_e32 vcc, 0, v72
	v_add_u32_e32 v71, 4, v71
	s_or_b64 s[6:7], vcc, s[6:7]
	s_waitcnt vmcnt(0) lgkmcnt(0)
	v_fmac_f32_e32 v70, v73, v74
	s_andn2_b64 exec, exec, s[6:7]
	s_cbranch_execnz .LBB32_313
; %bb.314:
	s_or_b64 exec, exec, s[6:7]
.LBB32_315:
	s_or_b64 exec, exec, s[8:9]
	v_mov_b32_e32 v71, 0
	ds_read_b32 v71, v71
	s_waitcnt lgkmcnt(0)
	v_mul_f32_e32 v70, v70, v71
	buffer_store_dword v70, off, s[0:3], 0
.LBB32_316:
	s_or_b64 exec, exec, s[4:5]
	s_mov_b64 s[4:5], 0
.LBB32_317:
	s_and_b64 vcc, exec, s[4:5]
	s_cbranch_vccz .LBB32_631
; %bb.318:
	buffer_load_dword v70, off, s[0:3], 0 offset:4
	v_cmp_eq_u32_e64 s[6:7], 0, v0
	s_waitcnt vmcnt(0)
	ds_write_b32 v68, v70
	s_waitcnt lgkmcnt(0)
	; wave barrier
	s_waitcnt lgkmcnt(0)
	s_and_saveexec_b64 s[4:5], s[6:7]
	s_cbranch_execz .LBB32_324
; %bb.319:
	s_and_b64 vcc, exec, s[10:11]
	s_cbranch_vccz .LBB32_321
; %bb.320:
	buffer_load_dword v70, v69, s[0:3], 0 offen
	ds_read_b32 v71, v68
	s_waitcnt vmcnt(0) lgkmcnt(0)
	v_mul_f32_e32 v70, v70, v71
	s_cbranch_execz .LBB32_322
	s_branch .LBB32_323
.LBB32_321:
                                        ; implicit-def: $vgpr70
.LBB32_322:
	ds_read_b32 v70, v68
.LBB32_323:
	v_mov_b32_e32 v71, 0
	ds_read_b32 v71, v71 offset:4
	s_waitcnt lgkmcnt(0)
	v_mul_f32_e32 v70, v70, v71
	buffer_store_dword v70, off, s[0:3], 0 offset:4
.LBB32_324:
	s_or_b64 exec, exec, s[4:5]
	buffer_load_dword v70, off, s[0:3], 0 offset:8
	v_cndmask_b32_e64 v71, 0, 1, s[10:11]
	v_cmp_gt_u32_e32 vcc, 2, v0
	v_cmp_ne_u32_e64 s[4:5], 1, v71
	s_waitcnt vmcnt(0)
	ds_write_b32 v68, v70
	s_waitcnt lgkmcnt(0)
	; wave barrier
	s_waitcnt lgkmcnt(0)
	s_and_saveexec_b64 s[8:9], vcc
	s_cbranch_execz .LBB32_332
; %bb.325:
	s_and_b64 vcc, exec, s[4:5]
	s_cbranch_vccnz .LBB32_327
; %bb.326:
	buffer_load_dword v70, v69, s[0:3], 0 offen
	ds_read_b32 v71, v68
	s_waitcnt vmcnt(0) lgkmcnt(0)
	v_mul_f32_e32 v70, v70, v71
	s_cbranch_execz .LBB32_328
	s_branch .LBB32_329
.LBB32_327:
                                        ; implicit-def: $vgpr70
.LBB32_328:
	ds_read_b32 v70, v68
.LBB32_329:
	s_and_saveexec_b64 s[10:11], s[6:7]
	s_cbranch_execz .LBB32_331
; %bb.330:
	buffer_load_dword v71, v69, s[0:3], 0 offen offset:4
	ds_read_b32 v72, v68 offset:4
	s_waitcnt vmcnt(0) lgkmcnt(0)
	v_fmac_f32_e32 v70, v71, v72
.LBB32_331:
	s_or_b64 exec, exec, s[10:11]
	v_mov_b32_e32 v71, 0
	ds_read_b32 v71, v71 offset:8
	s_waitcnt lgkmcnt(0)
	v_mul_f32_e32 v70, v70, v71
	buffer_store_dword v70, off, s[0:3], 0 offset:8
.LBB32_332:
	s_or_b64 exec, exec, s[8:9]
	buffer_load_dword v70, off, s[0:3], 0 offset:12
	v_cmp_gt_u32_e32 vcc, 3, v0
	s_waitcnt vmcnt(0)
	ds_write_b32 v68, v70
	s_waitcnt lgkmcnt(0)
	; wave barrier
	s_waitcnt lgkmcnt(0)
	s_and_saveexec_b64 s[8:9], vcc
	s_cbranch_execz .LBB32_340
; %bb.333:
	s_and_b64 vcc, exec, s[4:5]
	s_cbranch_vccnz .LBB32_335
; %bb.334:
	buffer_load_dword v70, v69, s[0:3], 0 offen
	ds_read_b32 v71, v68
	s_waitcnt vmcnt(0) lgkmcnt(0)
	v_mul_f32_e32 v70, v70, v71
	s_cbranch_execz .LBB32_336
	s_branch .LBB32_337
.LBB32_335:
                                        ; implicit-def: $vgpr70
.LBB32_336:
	ds_read_b32 v70, v68
.LBB32_337:
	v_cmp_ne_u32_e32 vcc, 2, v0
	s_and_saveexec_b64 s[10:11], vcc
	s_cbranch_execz .LBB32_339
; %bb.338:
	buffer_load_dword v71, v69, s[0:3], 0 offen offset:4
	buffer_load_dword v72, off, s[0:3], 0 offset:8
	v_mov_b32_e32 v73, 0
	ds_read_b32 v74, v68 offset:4
	ds_read_b32 v73, v73 offset:152
	s_waitcnt vmcnt(1) lgkmcnt(1)
	v_fmac_f32_e32 v70, v71, v74
	s_waitcnt vmcnt(0) lgkmcnt(0)
	v_fma_f32 v71, v72, v73, v70
	v_cndmask_b32_e64 v70, v70, v71, s[6:7]
.LBB32_339:
	s_or_b64 exec, exec, s[10:11]
	v_mov_b32_e32 v71, 0
	ds_read_b32 v71, v71 offset:12
	s_waitcnt lgkmcnt(0)
	v_mul_f32_e32 v70, v70, v71
	buffer_store_dword v70, off, s[0:3], 0 offset:12
.LBB32_340:
	s_or_b64 exec, exec, s[8:9]
	buffer_load_dword v70, off, s[0:3], 0 offset:16
	v_cmp_gt_u32_e32 vcc, 4, v0
	s_waitcnt vmcnt(0)
	ds_write_b32 v68, v70
	s_waitcnt lgkmcnt(0)
	; wave barrier
	s_waitcnt lgkmcnt(0)
	s_and_saveexec_b64 s[6:7], vcc
	s_cbranch_execz .LBB32_350
; %bb.341:
	s_and_b64 vcc, exec, s[4:5]
	s_cbranch_vccnz .LBB32_343
; %bb.342:
	buffer_load_dword v70, v69, s[0:3], 0 offen
	ds_read_b32 v71, v68
	s_waitcnt vmcnt(0) lgkmcnt(0)
	v_mul_f32_e32 v70, v70, v71
	s_cbranch_execz .LBB32_344
	s_branch .LBB32_345
.LBB32_343:
                                        ; implicit-def: $vgpr70
.LBB32_344:
	ds_read_b32 v70, v68
.LBB32_345:
	v_cmp_ne_u32_e32 vcc, 3, v0
	s_and_saveexec_b64 s[8:9], vcc
	s_cbranch_execz .LBB32_349
; %bb.346:
	v_mov_b32_e32 v72, 0
	v_add_u32_e32 v71, 0x94, v1
	v_add3_u32 v72, v1, v72, 4
	s_mov_b64 s[10:11], 0
	v_mov_b32_e32 v73, v0
.LBB32_347:                             ; =>This Inner Loop Header: Depth=1
	buffer_load_dword v74, v72, s[0:3], 0 offen
	ds_read_b32 v75, v71
	v_add_u32_e32 v73, 1, v73
	v_cmp_lt_u32_e32 vcc, 2, v73
	v_add_u32_e32 v71, 4, v71
	v_add_u32_e32 v72, 4, v72
	s_or_b64 s[10:11], vcc, s[10:11]
	s_waitcnt vmcnt(0) lgkmcnt(0)
	v_fmac_f32_e32 v70, v74, v75
	s_andn2_b64 exec, exec, s[10:11]
	s_cbranch_execnz .LBB32_347
; %bb.348:
	s_or_b64 exec, exec, s[10:11]
.LBB32_349:
	s_or_b64 exec, exec, s[8:9]
	v_mov_b32_e32 v71, 0
	ds_read_b32 v71, v71 offset:16
	s_waitcnt lgkmcnt(0)
	v_mul_f32_e32 v70, v70, v71
	buffer_store_dword v70, off, s[0:3], 0 offset:16
.LBB32_350:
	s_or_b64 exec, exec, s[6:7]
	buffer_load_dword v70, off, s[0:3], 0 offset:20
	v_cmp_gt_u32_e32 vcc, 5, v0
	s_waitcnt vmcnt(0)
	ds_write_b32 v68, v70
	s_waitcnt lgkmcnt(0)
	; wave barrier
	s_waitcnt lgkmcnt(0)
	s_and_saveexec_b64 s[6:7], vcc
	s_cbranch_execz .LBB32_360
; %bb.351:
	s_and_b64 vcc, exec, s[4:5]
	s_cbranch_vccnz .LBB32_353
; %bb.352:
	buffer_load_dword v70, v69, s[0:3], 0 offen
	ds_read_b32 v71, v68
	s_waitcnt vmcnt(0) lgkmcnt(0)
	v_mul_f32_e32 v70, v70, v71
	s_cbranch_execz .LBB32_354
	s_branch .LBB32_355
.LBB32_353:
                                        ; implicit-def: $vgpr70
.LBB32_354:
	ds_read_b32 v70, v68
.LBB32_355:
	v_cmp_ne_u32_e32 vcc, 4, v0
	s_and_saveexec_b64 s[8:9], vcc
	s_cbranch_execz .LBB32_359
; %bb.356:
	v_mov_b32_e32 v72, 0
	v_add_u32_e32 v71, 0x94, v1
	v_add3_u32 v72, v1, v72, 4
	s_mov_b64 s[10:11], 0
	v_mov_b32_e32 v73, v0
.LBB32_357:                             ; =>This Inner Loop Header: Depth=1
	buffer_load_dword v74, v72, s[0:3], 0 offen
	ds_read_b32 v75, v71
	v_add_u32_e32 v73, 1, v73
	v_cmp_lt_u32_e32 vcc, 3, v73
	v_add_u32_e32 v71, 4, v71
	v_add_u32_e32 v72, 4, v72
	s_or_b64 s[10:11], vcc, s[10:11]
	s_waitcnt vmcnt(0) lgkmcnt(0)
	v_fmac_f32_e32 v70, v74, v75
	s_andn2_b64 exec, exec, s[10:11]
	s_cbranch_execnz .LBB32_357
; %bb.358:
	s_or_b64 exec, exec, s[10:11]
.LBB32_359:
	s_or_b64 exec, exec, s[8:9]
	v_mov_b32_e32 v71, 0
	ds_read_b32 v71, v71 offset:20
	s_waitcnt lgkmcnt(0)
	v_mul_f32_e32 v70, v70, v71
	buffer_store_dword v70, off, s[0:3], 0 offset:20
.LBB32_360:
	;; [unrolled: 56-line block ×27, first 2 shown]
	s_or_b64 exec, exec, s[6:7]
	buffer_load_dword v70, off, s[0:3], 0 offset:124
	v_cmp_gt_u32_e64 s[6:7], 31, v0
	s_waitcnt vmcnt(0)
	ds_write_b32 v68, v70
	s_waitcnt lgkmcnt(0)
	; wave barrier
	s_waitcnt lgkmcnt(0)
	s_and_saveexec_b64 s[8:9], s[6:7]
	s_cbranch_execz .LBB32_620
; %bb.611:
	s_and_b64 vcc, exec, s[4:5]
	s_cbranch_vccnz .LBB32_613
; %bb.612:
	buffer_load_dword v70, v69, s[0:3], 0 offen
	ds_read_b32 v71, v68
	s_waitcnt vmcnt(0) lgkmcnt(0)
	v_mul_f32_e32 v70, v70, v71
	s_cbranch_execz .LBB32_614
	s_branch .LBB32_615
.LBB32_613:
                                        ; implicit-def: $vgpr70
.LBB32_614:
	ds_read_b32 v70, v68
.LBB32_615:
	v_cmp_ne_u32_e32 vcc, 30, v0
	s_and_saveexec_b64 s[10:11], vcc
	s_cbranch_execz .LBB32_619
; %bb.616:
	v_mov_b32_e32 v72, 0
	v_add_u32_e32 v71, 0x94, v1
	v_add3_u32 v72, v1, v72, 4
	s_mov_b64 s[12:13], 0
	v_mov_b32_e32 v73, v0
.LBB32_617:                             ; =>This Inner Loop Header: Depth=1
	buffer_load_dword v74, v72, s[0:3], 0 offen
	ds_read_b32 v75, v71
	v_add_u32_e32 v73, 1, v73
	v_cmp_lt_u32_e32 vcc, 29, v73
	v_add_u32_e32 v71, 4, v71
	v_add_u32_e32 v72, 4, v72
	s_or_b64 s[12:13], vcc, s[12:13]
	s_waitcnt vmcnt(0) lgkmcnt(0)
	v_fmac_f32_e32 v70, v74, v75
	s_andn2_b64 exec, exec, s[12:13]
	s_cbranch_execnz .LBB32_617
; %bb.618:
	s_or_b64 exec, exec, s[12:13]
.LBB32_619:
	s_or_b64 exec, exec, s[10:11]
	v_mov_b32_e32 v71, 0
	ds_read_b32 v71, v71 offset:124
	s_waitcnt lgkmcnt(0)
	v_mul_f32_e32 v70, v70, v71
	buffer_store_dword v70, off, s[0:3], 0 offset:124
.LBB32_620:
	s_or_b64 exec, exec, s[8:9]
	buffer_load_dword v70, off, s[0:3], 0 offset:128
	v_cmp_ne_u32_e32 vcc, 32, v0
	s_waitcnt vmcnt(0)
	ds_write_b32 v68, v70
	s_waitcnt lgkmcnt(0)
	; wave barrier
	s_waitcnt lgkmcnt(0)
	s_and_saveexec_b64 s[8:9], vcc
	s_cbranch_execz .LBB32_630
; %bb.621:
	s_and_b64 vcc, exec, s[4:5]
	s_cbranch_vccnz .LBB32_623
; %bb.622:
	buffer_load_dword v69, v69, s[0:3], 0 offen
	ds_read_b32 v70, v68
	s_waitcnt vmcnt(0) lgkmcnt(0)
	v_mul_f32_e32 v69, v69, v70
	s_cbranch_execz .LBB32_624
	s_branch .LBB32_625
.LBB32_623:
                                        ; implicit-def: $vgpr69
.LBB32_624:
	ds_read_b32 v69, v68
.LBB32_625:
	s_and_saveexec_b64 s[4:5], s[6:7]
	s_cbranch_execz .LBB32_629
; %bb.626:
	v_mov_b32_e32 v70, 0
	v_add_u32_e32 v68, 0x94, v1
	v_add3_u32 v1, v1, v70, 4
	s_mov_b64 s[6:7], 0
.LBB32_627:                             ; =>This Inner Loop Header: Depth=1
	buffer_load_dword v70, v1, s[0:3], 0 offen
	ds_read_b32 v71, v68
	v_add_u32_e32 v0, 1, v0
	v_cmp_lt_u32_e32 vcc, 30, v0
	v_add_u32_e32 v68, 4, v68
	v_add_u32_e32 v1, 4, v1
	s_or_b64 s[6:7], vcc, s[6:7]
	s_waitcnt vmcnt(0) lgkmcnt(0)
	v_fmac_f32_e32 v69, v70, v71
	s_andn2_b64 exec, exec, s[6:7]
	s_cbranch_execnz .LBB32_627
; %bb.628:
	s_or_b64 exec, exec, s[6:7]
.LBB32_629:
	s_or_b64 exec, exec, s[4:5]
	v_mov_b32_e32 v0, 0
	ds_read_b32 v0, v0 offset:128
	s_waitcnt lgkmcnt(0)
	v_mul_f32_e32 v0, v69, v0
	buffer_store_dword v0, off, s[0:3], 0 offset:128
.LBB32_630:
	s_or_b64 exec, exec, s[8:9]
.LBB32_631:
	buffer_load_dword v0, off, s[0:3], 0
	buffer_load_dword v1, off, s[0:3], 0 offset:4
	buffer_load_dword v68, off, s[0:3], 0 offset:8
	;; [unrolled: 1-line block ×23, first 2 shown]
	s_waitcnt vmcnt(23)
	global_store_dword v[2:3], v0, off
	s_waitcnt vmcnt(23)
	global_store_dword v[4:5], v1, off
	buffer_load_dword v0, off, s[0:3], 0 offset:96
	s_nop 0
	buffer_load_dword v1, off, s[0:3], 0 offset:100
	buffer_load_dword v2, off, s[0:3], 0 offset:104
	;; [unrolled: 1-line block ×7, first 2 shown]
	s_waitcnt vmcnt(31)
	global_store_dword v[6:7], v68, off
	buffer_load_dword v6, off, s[0:3], 0 offset:128
	s_waitcnt vmcnt(32)
	global_store_dword v[8:9], v69, off
	s_waitcnt vmcnt(32)
	global_store_dword v[10:11], v70, off
	;; [unrolled: 2-line block ×30, first 2 shown]
.LBB32_632:
	s_endpgm
	.section	.rodata,"a",@progbits
	.p2align	6, 0x0
	.amdhsa_kernel _ZN9rocsolver6v33100L18trti2_kernel_smallILi33EfPfEEv13rocblas_fill_17rocblas_diagonal_T1_iil
		.amdhsa_group_segment_fixed_size 276
		.amdhsa_private_segment_fixed_size 144
		.amdhsa_kernarg_size 32
		.amdhsa_user_sgpr_count 8
		.amdhsa_user_sgpr_private_segment_buffer 1
		.amdhsa_user_sgpr_dispatch_ptr 0
		.amdhsa_user_sgpr_queue_ptr 0
		.amdhsa_user_sgpr_kernarg_segment_ptr 1
		.amdhsa_user_sgpr_dispatch_id 0
		.amdhsa_user_sgpr_flat_scratch_init 1
		.amdhsa_user_sgpr_kernarg_preload_length 0
		.amdhsa_user_sgpr_kernarg_preload_offset 0
		.amdhsa_user_sgpr_private_segment_size 0
		.amdhsa_uses_dynamic_stack 0
		.amdhsa_system_sgpr_private_segment_wavefront_offset 1
		.amdhsa_system_sgpr_workgroup_id_x 1
		.amdhsa_system_sgpr_workgroup_id_y 0
		.amdhsa_system_sgpr_workgroup_id_z 0
		.amdhsa_system_sgpr_workgroup_info 0
		.amdhsa_system_vgpr_workitem_id 0
		.amdhsa_next_free_vgpr 93
		.amdhsa_next_free_sgpr 20
		.amdhsa_accum_offset 96
		.amdhsa_reserve_vcc 1
		.amdhsa_reserve_flat_scratch 0
		.amdhsa_float_round_mode_32 0
		.amdhsa_float_round_mode_16_64 0
		.amdhsa_float_denorm_mode_32 3
		.amdhsa_float_denorm_mode_16_64 3
		.amdhsa_dx10_clamp 1
		.amdhsa_ieee_mode 1
		.amdhsa_fp16_overflow 0
		.amdhsa_tg_split 0
		.amdhsa_exception_fp_ieee_invalid_op 0
		.amdhsa_exception_fp_denorm_src 0
		.amdhsa_exception_fp_ieee_div_zero 0
		.amdhsa_exception_fp_ieee_overflow 0
		.amdhsa_exception_fp_ieee_underflow 0
		.amdhsa_exception_fp_ieee_inexact 0
		.amdhsa_exception_int_div_zero 0
	.end_amdhsa_kernel
	.section	.text._ZN9rocsolver6v33100L18trti2_kernel_smallILi33EfPfEEv13rocblas_fill_17rocblas_diagonal_T1_iil,"axG",@progbits,_ZN9rocsolver6v33100L18trti2_kernel_smallILi33EfPfEEv13rocblas_fill_17rocblas_diagonal_T1_iil,comdat
.Lfunc_end32:
	.size	_ZN9rocsolver6v33100L18trti2_kernel_smallILi33EfPfEEv13rocblas_fill_17rocblas_diagonal_T1_iil, .Lfunc_end32-_ZN9rocsolver6v33100L18trti2_kernel_smallILi33EfPfEEv13rocblas_fill_17rocblas_diagonal_T1_iil
                                        ; -- End function
	.section	.AMDGPU.csdata,"",@progbits
; Kernel info:
; codeLenInByte = 16092
; NumSgprs: 24
; NumVgprs: 93
; NumAgprs: 0
; TotalNumVgprs: 93
; ScratchSize: 144
; MemoryBound: 0
; FloatMode: 240
; IeeeMode: 1
; LDSByteSize: 276 bytes/workgroup (compile time only)
; SGPRBlocks: 2
; VGPRBlocks: 11
; NumSGPRsForWavesPerEU: 24
; NumVGPRsForWavesPerEU: 93
; AccumOffset: 96
; Occupancy: 5
; WaveLimiterHint : 0
; COMPUTE_PGM_RSRC2:SCRATCH_EN: 1
; COMPUTE_PGM_RSRC2:USER_SGPR: 8
; COMPUTE_PGM_RSRC2:TRAP_HANDLER: 0
; COMPUTE_PGM_RSRC2:TGID_X_EN: 1
; COMPUTE_PGM_RSRC2:TGID_Y_EN: 0
; COMPUTE_PGM_RSRC2:TGID_Z_EN: 0
; COMPUTE_PGM_RSRC2:TIDIG_COMP_CNT: 0
; COMPUTE_PGM_RSRC3_GFX90A:ACCUM_OFFSET: 23
; COMPUTE_PGM_RSRC3_GFX90A:TG_SPLIT: 0
	.section	.text._ZN9rocsolver6v33100L18trti2_kernel_smallILi34EfPfEEv13rocblas_fill_17rocblas_diagonal_T1_iil,"axG",@progbits,_ZN9rocsolver6v33100L18trti2_kernel_smallILi34EfPfEEv13rocblas_fill_17rocblas_diagonal_T1_iil,comdat
	.globl	_ZN9rocsolver6v33100L18trti2_kernel_smallILi34EfPfEEv13rocblas_fill_17rocblas_diagonal_T1_iil ; -- Begin function _ZN9rocsolver6v33100L18trti2_kernel_smallILi34EfPfEEv13rocblas_fill_17rocblas_diagonal_T1_iil
	.p2align	8
	.type	_ZN9rocsolver6v33100L18trti2_kernel_smallILi34EfPfEEv13rocblas_fill_17rocblas_diagonal_T1_iil,@function
_ZN9rocsolver6v33100L18trti2_kernel_smallILi34EfPfEEv13rocblas_fill_17rocblas_diagonal_T1_iil: ; @_ZN9rocsolver6v33100L18trti2_kernel_smallILi34EfPfEEv13rocblas_fill_17rocblas_diagonal_T1_iil
; %bb.0:
	s_add_u32 s0, s0, s9
	s_addc_u32 s1, s1, 0
	v_cmp_gt_u32_e32 vcc, 34, v0
	s_and_saveexec_b64 s[6:7], vcc
	s_cbranch_execz .LBB33_652
; %bb.1:
	s_load_dwordx8 s[12:19], s[4:5], 0x0
	s_ashr_i32 s6, s8, 31
	s_waitcnt lgkmcnt(0)
	s_mul_i32 s7, s8, s19
	s_mul_hi_u32 s9, s8, s18
	s_add_i32 s7, s9, s7
	s_mul_i32 s6, s6, s18
	s_add_i32 s7, s7, s6
	s_mul_i32 s6, s8, s18
	s_ashr_i32 s5, s16, 31
	s_lshl_b64 s[6:7], s[6:7], 2
	s_mov_b32 s4, s16
	s_add_u32 s6, s14, s6
	s_addc_u32 s7, s15, s7
	s_lshl_b64 s[4:5], s[4:5], 2
	s_add_u32 s4, s6, s4
	s_addc_u32 s5, s7, s5
	s_add_i32 s6, s17, s17
	v_add_u32_e32 v2, s6, v0
	v_ashrrev_i32_e32 v3, 31, v2
	v_lshlrev_b64 v[4:5], 2, v[2:3]
	v_add_u32_e32 v6, s17, v2
	v_mov_b32_e32 v1, s5
	v_add_co_u32_e32 v4, vcc, s4, v4
	v_ashrrev_i32_e32 v7, 31, v6
	v_addc_co_u32_e32 v5, vcc, v1, v5, vcc
	v_lshlrev_b64 v[2:3], 2, v[6:7]
	v_add_u32_e32 v8, s17, v6
	v_add_co_u32_e32 v2, vcc, s4, v2
	v_ashrrev_i32_e32 v9, 31, v8
	v_addc_co_u32_e32 v3, vcc, v1, v3, vcc
	v_lshlrev_b64 v[6:7], 2, v[8:9]
	v_add_u32_e32 v10, s17, v8
	;; [unrolled: 5-line block ×21, first 2 shown]
	v_add_co_u32_e32 v44, vcc, s4, v44
	v_ashrrev_i32_e32 v49, 31, v48
	v_addc_co_u32_e32 v45, vcc, v1, v45, vcc
	v_lshlrev_b64 v[46:47], 2, v[48:49]
	v_add_co_u32_e32 v46, vcc, s4, v46
	v_addc_co_u32_e32 v47, vcc, v1, v47, vcc
	v_lshlrev_b32_e32 v1, 2, v0
	v_mov_b32_e32 v53, s5
	v_add_co_u32_e32 v52, vcc, s4, v1
	s_ashr_i32 s7, s17, 31
	s_mov_b32 s6, s17
	v_addc_co_u32_e32 v53, vcc, 0, v53, vcc
	s_lshl_b64 s[6:7], s[6:7], 2
	v_mov_b32_e32 v55, s7
	v_add_co_u32_e32 v54, vcc, s6, v52
	v_addc_co_u32_e32 v55, vcc, v53, v55, vcc
	global_load_dword v70, v1, s[4:5]
	global_load_dword v71, v[54:55], off
	global_load_dword v72, v[6:7], off
	;; [unrolled: 1-line block ×16, first 2 shown]
	v_add_u32_e32 v50, s17, v48
	v_ashrrev_i32_e32 v51, 31, v50
	v_lshlrev_b64 v[48:49], 2, v[50:51]
	v_add_u32_e32 v56, s17, v50
	v_mov_b32_e32 v51, s5
	v_add_co_u32_e32 v48, vcc, s4, v48
	v_ashrrev_i32_e32 v57, 31, v56
	v_addc_co_u32_e32 v49, vcc, v51, v49, vcc
	v_lshlrev_b64 v[50:51], 2, v[56:57]
	v_add_u32_e32 v58, s17, v56
	v_mov_b32_e32 v57, s5
	v_add_co_u32_e32 v50, vcc, s4, v50
	v_ashrrev_i32_e32 v59, 31, v58
	v_addc_co_u32_e32 v51, vcc, v57, v51, vcc
	;; [unrolled: 6-line block ×5, first 2 shown]
	v_lshlrev_b64 v[62:63], 2, v[64:65]
	v_mov_b32_e32 v66, s5
	v_add_co_u32_e32 v62, vcc, s4, v62
	v_addc_co_u32_e32 v63, vcc, v66, v63, vcc
	v_add_u32_e32 v66, s17, v64
	v_ashrrev_i32_e32 v67, 31, v66
	v_lshlrev_b64 v[64:65], 2, v[66:67]
	v_mov_b32_e32 v68, s5
	v_add_co_u32_e32 v64, vcc, s4, v64
	v_addc_co_u32_e32 v65, vcc, v68, v65, vcc
	v_add_u32_e32 v68, s17, v66
	v_ashrrev_i32_e32 v69, 31, v68
	v_lshlrev_b64 v[66:67], 2, v[68:69]
	v_add_u32_e32 v68, s17, v68
	v_mov_b32_e32 v87, s5
	v_add_co_u32_e32 v66, vcc, s4, v66
	v_ashrrev_i32_e32 v69, 31, v68
	v_addc_co_u32_e32 v67, vcc, v87, v67, vcc
	v_lshlrev_b64 v[68:69], 2, v[68:69]
	v_add_co_u32_e32 v68, vcc, s4, v68
	v_addc_co_u32_e32 v69, vcc, v87, v69, vcc
	global_load_dword v87, v[68:69], off
	s_waitcnt vmcnt(17)
	buffer_store_dword v70, off, s[0:3], 0
	s_waitcnt vmcnt(17)
	buffer_store_dword v71, off, s[0:3], 0 offset:4
	s_waitcnt vmcnt(12)
	buffer_store_dword v77, off, s[0:3], 0 offset:12
	;; [unrolled: 2-line block ×3, first 2 shown]
	buffer_store_dword v72, off, s[0:3], 0 offset:16
	buffer_store_dword v73, off, s[0:3], 0 offset:20
	;; [unrolled: 1-line block ×5, first 2 shown]
	s_waitcnt vmcnt(17)
	buffer_store_dword v79, off, s[0:3], 0 offset:36
	s_waitcnt vmcnt(17)
	buffer_store_dword v80, off, s[0:3], 0 offset:44
	global_load_dword v70, v[32:33], off
	global_load_dword v71, v[34:35], off
	;; [unrolled: 1-line block ×15, first 2 shown]
	s_cmpk_lg_i32 s13, 0x84
	s_waitcnt vmcnt(27)
	buffer_store_dword v86, off, s[0:3], 0 offset:40
	global_load_dword v86, v[64:65], off
	s_nop 0
	buffer_store_dword v81, off, s[0:3], 0 offset:48
	buffer_store_dword v82, off, s[0:3], 0 offset:52
	;; [unrolled: 1-line block ×5, first 2 shown]
	s_waitcnt vmcnt(21)
	buffer_store_dword v70, off, s[0:3], 0 offset:68
	s_waitcnt vmcnt(21)
	buffer_store_dword v71, off, s[0:3], 0 offset:72
	s_waitcnt vmcnt(21)
	buffer_store_dword v72, off, s[0:3], 0 offset:76
	s_waitcnt vmcnt(18)
	buffer_store_dword v76, off, s[0:3], 0 offset:84
	s_waitcnt vmcnt(18)
	buffer_store_dword v77, off, s[0:3], 0 offset:80
	buffer_store_dword v74, off, s[0:3], 0 offset:92
	buffer_store_dword v75, off, s[0:3], 0 offset:88
	s_waitcnt vmcnt(20)
	buffer_store_dword v78, off, s[0:3], 0 offset:100
	buffer_store_dword v73, off, s[0:3], 0 offset:96
	s_waitcnt vmcnt(18)
	buffer_store_dword v89, off, s[0:3], 0 offset:108
	s_waitcnt vmcnt(18)
	buffer_store_dword v90, off, s[0:3], 0 offset:104
	s_waitcnt vmcnt(18)
	buffer_store_dword v91, off, s[0:3], 0 offset:116
	buffer_store_dword v88, off, s[0:3], 0 offset:112
	s_waitcnt vmcnt(18)
	buffer_store_dword v86, off, s[0:3], 0 offset:124
	buffer_store_dword v80, off, s[0:3], 0 offset:120
	buffer_store_dword v87, off, s[0:3], 0 offset:132
	buffer_store_dword v79, off, s[0:3], 0 offset:128
	s_cselect_b64 s[8:9], -1, 0
	s_cmpk_eq_i32 s13, 0x84
	v_mov_b32_e32 v86, 0
	v_mov_b32_e32 v70, -1.0
	s_cbranch_scc1 .LBB33_3
; %bb.2:
	v_lshl_add_u32 v70, v0, 2, v86
	buffer_load_dword v71, v70, s[0:3], 0 offen
	s_waitcnt vmcnt(0)
	v_div_scale_f32 v72, s[4:5], v71, v71, 1.0
	v_rcp_f32_e32 v73, v72
	v_div_scale_f32 v74, vcc, 1.0, v71, 1.0
	v_fma_f32 v75, -v72, v73, 1.0
	v_fmac_f32_e32 v73, v75, v73
	v_mul_f32_e32 v75, v74, v73
	v_fma_f32 v76, -v72, v75, v74
	v_fmac_f32_e32 v75, v76, v73
	v_fma_f32 v72, -v72, v75, v74
	v_div_fmas_f32 v72, v72, v73, v75
	v_div_fixup_f32 v71, v72, v71, 1.0
	buffer_store_dword v71, v70, s[0:3], 0 offen
	v_xor_b32_e32 v70, 0x80000000, v71
.LBB33_3:
	ds_write_b32 v1, v70
	s_cmpk_eq_i32 s12, 0x79
	v_add_u32_e32 v70, 0x90, v1
	v_add_u32_e32 v71, 0, v1
	s_mov_b64 s[4:5], -1
	s_cbranch_scc1 .LBB33_327
; %bb.4:
	buffer_load_dword v72, off, s[0:3], 0 offset:128
	v_cmp_eq_u32_e64 s[4:5], 33, v0
	s_waitcnt vmcnt(0)
	ds_write_b32 v70, v72
	s_waitcnt lgkmcnt(0)
	; wave barrier
	s_waitcnt lgkmcnt(0)
	s_and_saveexec_b64 s[6:7], s[4:5]
	s_cbranch_execz .LBB33_10
; %bb.5:
	s_and_b64 vcc, exec, s[8:9]
	s_cbranch_vccz .LBB33_7
; %bb.6:
	buffer_load_dword v72, v71, s[0:3], 0 offen
	ds_read_b32 v73, v70
	s_waitcnt vmcnt(0) lgkmcnt(0)
	v_mul_f32_e32 v72, v72, v73
	s_cbranch_execz .LBB33_8
	s_branch .LBB33_9
.LBB33_7:
                                        ; implicit-def: $vgpr72
.LBB33_8:
	ds_read_b32 v72, v70
.LBB33_9:
	v_mov_b32_e32 v73, 0
	ds_read_b32 v73, v73 offset:128
	s_waitcnt lgkmcnt(0)
	v_mul_f32_e32 v72, v72, v73
	buffer_store_dword v72, off, s[0:3], 0 offset:128
.LBB33_10:
	s_or_b64 exec, exec, s[6:7]
	buffer_load_dword v87, off, s[0:3], 0 offset:124
	v_or_b32_e32 v72, 8, v86
	v_add_u32_e32 v73, 16, v86
	v_add_u32_e32 v74, 24, v86
	;; [unrolled: 1-line block ×14, first 2 shown]
	v_cmp_lt_u32_e64 s[6:7], 31, v0
	s_waitcnt vmcnt(0)
	ds_write_b32 v70, v87
	s_waitcnt lgkmcnt(0)
	; wave barrier
	s_waitcnt lgkmcnt(0)
	s_and_saveexec_b64 s[10:11], s[6:7]
	s_cbranch_execz .LBB33_16
; %bb.11:
	s_andn2_b64 vcc, exec, s[8:9]
	s_cbranch_vccnz .LBB33_13
; %bb.12:
	buffer_load_dword v87, v71, s[0:3], 0 offen
	ds_read_b32 v88, v70
	s_waitcnt vmcnt(0) lgkmcnt(0)
	v_mul_f32_e32 v87, v87, v88
	s_cbranch_execz .LBB33_14
	s_branch .LBB33_15
.LBB33_13:
                                        ; implicit-def: $vgpr87
.LBB33_14:
	ds_read_b32 v87, v70
.LBB33_15:
	buffer_load_dword v90, off, s[0:3], 0 offset:128
	v_mov_b32_e32 v88, 0
	ds_read2_b32 v[88:89], v88 offset0:31 offset1:68
	s_waitcnt vmcnt(0) lgkmcnt(0)
	v_fma_f32 v89, v90, v89, v87
	v_cndmask_b32_e64 v87, v87, v89, s[4:5]
	v_mul_f32_e32 v87, v87, v88
	buffer_store_dword v87, off, s[0:3], 0 offset:124
.LBB33_16:
	s_or_b64 exec, exec, s[10:11]
	buffer_load_dword v87, off, s[0:3], 0 offset:120
	v_cmp_lt_u32_e64 s[4:5], 30, v0
	s_waitcnt vmcnt(0)
	ds_write_b32 v70, v87
	s_waitcnt lgkmcnt(0)
	; wave barrier
	s_waitcnt lgkmcnt(0)
	s_and_saveexec_b64 s[10:11], s[4:5]
	s_cbranch_execz .LBB33_26
; %bb.17:
	s_andn2_b64 vcc, exec, s[8:9]
	s_cbranch_vccnz .LBB33_19
; %bb.18:
	buffer_load_dword v87, v71, s[0:3], 0 offen
	ds_read_b32 v88, v70
	s_waitcnt vmcnt(0) lgkmcnt(0)
	v_mul_f32_e32 v87, v87, v88
	s_cbranch_execz .LBB33_20
	s_branch .LBB33_21
.LBB33_19:
                                        ; implicit-def: $vgpr87
.LBB33_20:
	ds_read_b32 v87, v70
.LBB33_21:
	s_and_saveexec_b64 s[12:13], s[6:7]
	s_cbranch_execz .LBB33_25
; %bb.22:
	v_mov_b32_e32 v88, 0
	v_add_u32_e32 v88, 0x7c, v88
	v_subrev_u32_e32 v89, 31, v0
	s_movk_i32 s14, 0x10c
	s_mov_b64 s[6:7], 0
.LBB33_23:                              ; =>This Inner Loop Header: Depth=1
	buffer_load_dword v90, v88, s[0:3], 0 offen
	v_mov_b32_e32 v91, s14
	ds_read_b32 v91, v91
	v_add_u32_e32 v89, -1, v89
	s_add_i32 s14, s14, 4
	v_cmp_eq_u32_e32 vcc, 0, v89
	v_add_u32_e32 v88, 4, v88
	s_or_b64 s[6:7], vcc, s[6:7]
	s_waitcnt vmcnt(0) lgkmcnt(0)
	v_fmac_f32_e32 v87, v90, v91
	s_andn2_b64 exec, exec, s[6:7]
	s_cbranch_execnz .LBB33_23
; %bb.24:
	s_or_b64 exec, exec, s[6:7]
.LBB33_25:
	s_or_b64 exec, exec, s[12:13]
	v_mov_b32_e32 v88, 0
	ds_read_b32 v88, v88 offset:120
	s_waitcnt lgkmcnt(0)
	v_mul_f32_e32 v87, v87, v88
	buffer_store_dword v87, off, s[0:3], 0 offset:120
.LBB33_26:
	s_or_b64 exec, exec, s[10:11]
	buffer_load_dword v87, off, s[0:3], 0 offset:116
	v_cmp_lt_u32_e64 s[6:7], 29, v0
	s_waitcnt vmcnt(0)
	ds_write_b32 v70, v87
	s_waitcnt lgkmcnt(0)
	; wave barrier
	s_waitcnt lgkmcnt(0)
	s_and_saveexec_b64 s[10:11], s[6:7]
	s_cbranch_execz .LBB33_36
; %bb.27:
	s_andn2_b64 vcc, exec, s[8:9]
	s_cbranch_vccnz .LBB33_29
; %bb.28:
	buffer_load_dword v87, v71, s[0:3], 0 offen
	ds_read_b32 v88, v70
	s_waitcnt vmcnt(0) lgkmcnt(0)
	v_mul_f32_e32 v87, v87, v88
	s_cbranch_execz .LBB33_30
	s_branch .LBB33_31
.LBB33_29:
                                        ; implicit-def: $vgpr87
.LBB33_30:
	ds_read_b32 v87, v70
.LBB33_31:
	s_and_saveexec_b64 s[12:13], s[4:5]
	s_cbranch_execz .LBB33_35
; %bb.32:
	v_subrev_u32_e32 v88, 30, v0
	s_movk_i32 s14, 0x108
	s_mov_b64 s[4:5], 0
.LBB33_33:                              ; =>This Inner Loop Header: Depth=1
	buffer_load_dword v89, v86, s[0:3], 0 offen
	v_mov_b32_e32 v90, s14
	ds_read_b32 v90, v90
	v_add_u32_e32 v88, -1, v88
	s_add_i32 s14, s14, 4
	v_cmp_eq_u32_e32 vcc, 0, v88
	v_add_u32_e32 v86, 4, v86
	s_or_b64 s[4:5], vcc, s[4:5]
	s_waitcnt vmcnt(0) lgkmcnt(0)
	v_fmac_f32_e32 v87, v89, v90
	s_andn2_b64 exec, exec, s[4:5]
	s_cbranch_execnz .LBB33_33
; %bb.34:
	s_or_b64 exec, exec, s[4:5]
.LBB33_35:
	s_or_b64 exec, exec, s[12:13]
	v_mov_b32_e32 v86, 0
	ds_read_b32 v86, v86 offset:116
	s_waitcnt lgkmcnt(0)
	v_mul_f32_e32 v86, v87, v86
	buffer_store_dword v86, off, s[0:3], 0 offset:116
.LBB33_36:
	s_or_b64 exec, exec, s[10:11]
	buffer_load_dword v86, off, s[0:3], 0 offset:112
	v_cmp_lt_u32_e64 s[4:5], 28, v0
	s_waitcnt vmcnt(0)
	ds_write_b32 v70, v86
	s_waitcnt lgkmcnt(0)
	; wave barrier
	s_waitcnt lgkmcnt(0)
	s_and_saveexec_b64 s[10:11], s[4:5]
	s_cbranch_execz .LBB33_46
; %bb.37:
	s_andn2_b64 vcc, exec, s[8:9]
	s_cbranch_vccnz .LBB33_39
; %bb.38:
	buffer_load_dword v86, v71, s[0:3], 0 offen
	ds_read_b32 v87, v70
	s_waitcnt vmcnt(0) lgkmcnt(0)
	v_mul_f32_e32 v86, v86, v87
	s_cbranch_execz .LBB33_40
	s_branch .LBB33_41
.LBB33_39:
                                        ; implicit-def: $vgpr86
.LBB33_40:
	ds_read_b32 v86, v70
.LBB33_41:
	s_and_saveexec_b64 s[12:13], s[6:7]
	s_cbranch_execz .LBB33_45
; %bb.42:
	v_mov_b32_e32 v87, 0
	v_add_u32_e32 v87, 0x74, v87
	v_subrev_u32_e32 v88, 29, v0
	s_movk_i32 s14, 0x104
	s_mov_b64 s[6:7], 0
.LBB33_43:                              ; =>This Inner Loop Header: Depth=1
	buffer_load_dword v89, v87, s[0:3], 0 offen
	v_mov_b32_e32 v90, s14
	ds_read_b32 v90, v90
	v_add_u32_e32 v88, -1, v88
	s_add_i32 s14, s14, 4
	v_cmp_eq_u32_e32 vcc, 0, v88
	v_add_u32_e32 v87, 4, v87
	s_or_b64 s[6:7], vcc, s[6:7]
	s_waitcnt vmcnt(0) lgkmcnt(0)
	v_fmac_f32_e32 v86, v89, v90
	s_andn2_b64 exec, exec, s[6:7]
	s_cbranch_execnz .LBB33_43
; %bb.44:
	s_or_b64 exec, exec, s[6:7]
.LBB33_45:
	s_or_b64 exec, exec, s[12:13]
	v_mov_b32_e32 v87, 0
	ds_read_b32 v87, v87 offset:112
	s_waitcnt lgkmcnt(0)
	v_mul_f32_e32 v86, v86, v87
	buffer_store_dword v86, off, s[0:3], 0 offset:112
.LBB33_46:
	s_or_b64 exec, exec, s[10:11]
	buffer_load_dword v86, off, s[0:3], 0 offset:108
	v_cmp_lt_u32_e64 s[6:7], 27, v0
	s_waitcnt vmcnt(0)
	ds_write_b32 v70, v86
	s_waitcnt lgkmcnt(0)
	; wave barrier
	s_waitcnt lgkmcnt(0)
	s_and_saveexec_b64 s[10:11], s[6:7]
	s_cbranch_execz .LBB33_56
; %bb.47:
	s_andn2_b64 vcc, exec, s[8:9]
	s_cbranch_vccnz .LBB33_49
; %bb.48:
	buffer_load_dword v86, v71, s[0:3], 0 offen
	ds_read_b32 v87, v70
	s_waitcnt vmcnt(0) lgkmcnt(0)
	v_mul_f32_e32 v86, v86, v87
	s_cbranch_execz .LBB33_50
	s_branch .LBB33_51
.LBB33_49:
                                        ; implicit-def: $vgpr86
.LBB33_50:
	ds_read_b32 v86, v70
.LBB33_51:
	s_and_saveexec_b64 s[12:13], s[4:5]
	s_cbranch_execz .LBB33_55
; %bb.52:
	v_subrev_u32_e32 v87, 28, v0
	s_movk_i32 s14, 0x100
	s_mov_b64 s[4:5], 0
.LBB33_53:                              ; =>This Inner Loop Header: Depth=1
	buffer_load_dword v88, v85, s[0:3], 0 offen
	v_mov_b32_e32 v89, s14
	ds_read_b32 v89, v89
	v_add_u32_e32 v87, -1, v87
	s_add_i32 s14, s14, 4
	v_cmp_eq_u32_e32 vcc, 0, v87
	v_add_u32_e32 v85, 4, v85
	s_or_b64 s[4:5], vcc, s[4:5]
	s_waitcnt vmcnt(0) lgkmcnt(0)
	v_fmac_f32_e32 v86, v88, v89
	s_andn2_b64 exec, exec, s[4:5]
	s_cbranch_execnz .LBB33_53
; %bb.54:
	s_or_b64 exec, exec, s[4:5]
.LBB33_55:
	s_or_b64 exec, exec, s[12:13]
	v_mov_b32_e32 v85, 0
	ds_read_b32 v85, v85 offset:108
	s_waitcnt lgkmcnt(0)
	v_mul_f32_e32 v85, v86, v85
	buffer_store_dword v85, off, s[0:3], 0 offset:108
.LBB33_56:
	s_or_b64 exec, exec, s[10:11]
	buffer_load_dword v85, off, s[0:3], 0 offset:104
	v_cmp_lt_u32_e64 s[4:5], 26, v0
	s_waitcnt vmcnt(0)
	ds_write_b32 v70, v85
	s_waitcnt lgkmcnt(0)
	; wave barrier
	s_waitcnt lgkmcnt(0)
	s_and_saveexec_b64 s[10:11], s[4:5]
	s_cbranch_execz .LBB33_66
; %bb.57:
	s_andn2_b64 vcc, exec, s[8:9]
	s_cbranch_vccnz .LBB33_59
; %bb.58:
	buffer_load_dword v85, v71, s[0:3], 0 offen
	ds_read_b32 v86, v70
	s_waitcnt vmcnt(0) lgkmcnt(0)
	v_mul_f32_e32 v85, v85, v86
	s_cbranch_execz .LBB33_60
	s_branch .LBB33_61
.LBB33_59:
                                        ; implicit-def: $vgpr85
.LBB33_60:
	ds_read_b32 v85, v70
.LBB33_61:
	s_and_saveexec_b64 s[12:13], s[6:7]
	s_cbranch_execz .LBB33_65
; %bb.62:
	v_mov_b32_e32 v86, 0
	v_add_u32_e32 v86, 0x6c, v86
	v_subrev_u32_e32 v87, 27, v0
	s_movk_i32 s14, 0xfc
	s_mov_b64 s[6:7], 0
.LBB33_63:                              ; =>This Inner Loop Header: Depth=1
	buffer_load_dword v88, v86, s[0:3], 0 offen
	v_mov_b32_e32 v89, s14
	ds_read_b32 v89, v89
	v_add_u32_e32 v87, -1, v87
	s_add_i32 s14, s14, 4
	v_cmp_eq_u32_e32 vcc, 0, v87
	v_add_u32_e32 v86, 4, v86
	s_or_b64 s[6:7], vcc, s[6:7]
	s_waitcnt vmcnt(0) lgkmcnt(0)
	v_fmac_f32_e32 v85, v88, v89
	s_andn2_b64 exec, exec, s[6:7]
	s_cbranch_execnz .LBB33_63
; %bb.64:
	s_or_b64 exec, exec, s[6:7]
.LBB33_65:
	s_or_b64 exec, exec, s[12:13]
	v_mov_b32_e32 v86, 0
	ds_read_b32 v86, v86 offset:104
	s_waitcnt lgkmcnt(0)
	v_mul_f32_e32 v85, v85, v86
	buffer_store_dword v85, off, s[0:3], 0 offset:104
.LBB33_66:
	s_or_b64 exec, exec, s[10:11]
	buffer_load_dword v85, off, s[0:3], 0 offset:100
	v_cmp_lt_u32_e64 s[6:7], 25, v0
	s_waitcnt vmcnt(0)
	ds_write_b32 v70, v85
	s_waitcnt lgkmcnt(0)
	; wave barrier
	s_waitcnt lgkmcnt(0)
	s_and_saveexec_b64 s[10:11], s[6:7]
	s_cbranch_execz .LBB33_76
; %bb.67:
	s_andn2_b64 vcc, exec, s[8:9]
	s_cbranch_vccnz .LBB33_69
; %bb.68:
	buffer_load_dword v85, v71, s[0:3], 0 offen
	ds_read_b32 v86, v70
	s_waitcnt vmcnt(0) lgkmcnt(0)
	v_mul_f32_e32 v85, v85, v86
	s_cbranch_execz .LBB33_70
	s_branch .LBB33_71
.LBB33_69:
                                        ; implicit-def: $vgpr85
.LBB33_70:
	ds_read_b32 v85, v70
.LBB33_71:
	s_and_saveexec_b64 s[12:13], s[4:5]
	s_cbranch_execz .LBB33_75
; %bb.72:
	v_subrev_u32_e32 v86, 26, v0
	s_movk_i32 s14, 0xf8
	s_mov_b64 s[4:5], 0
.LBB33_73:                              ; =>This Inner Loop Header: Depth=1
	buffer_load_dword v87, v84, s[0:3], 0 offen
	v_mov_b32_e32 v88, s14
	ds_read_b32 v88, v88
	v_add_u32_e32 v86, -1, v86
	s_add_i32 s14, s14, 4
	v_cmp_eq_u32_e32 vcc, 0, v86
	v_add_u32_e32 v84, 4, v84
	s_or_b64 s[4:5], vcc, s[4:5]
	s_waitcnt vmcnt(0) lgkmcnt(0)
	v_fmac_f32_e32 v85, v87, v88
	s_andn2_b64 exec, exec, s[4:5]
	s_cbranch_execnz .LBB33_73
; %bb.74:
	s_or_b64 exec, exec, s[4:5]
.LBB33_75:
	s_or_b64 exec, exec, s[12:13]
	v_mov_b32_e32 v84, 0
	ds_read_b32 v84, v84 offset:100
	s_waitcnt lgkmcnt(0)
	v_mul_f32_e32 v84, v85, v84
	buffer_store_dword v84, off, s[0:3], 0 offset:100
.LBB33_76:
	s_or_b64 exec, exec, s[10:11]
	buffer_load_dword v84, off, s[0:3], 0 offset:96
	v_cmp_lt_u32_e64 s[4:5], 24, v0
	s_waitcnt vmcnt(0)
	ds_write_b32 v70, v84
	s_waitcnt lgkmcnt(0)
	; wave barrier
	s_waitcnt lgkmcnt(0)
	s_and_saveexec_b64 s[10:11], s[4:5]
	s_cbranch_execz .LBB33_86
; %bb.77:
	s_andn2_b64 vcc, exec, s[8:9]
	s_cbranch_vccnz .LBB33_79
; %bb.78:
	buffer_load_dword v84, v71, s[0:3], 0 offen
	ds_read_b32 v85, v70
	s_waitcnt vmcnt(0) lgkmcnt(0)
	v_mul_f32_e32 v84, v84, v85
	s_cbranch_execz .LBB33_80
	s_branch .LBB33_81
.LBB33_79:
                                        ; implicit-def: $vgpr84
.LBB33_80:
	ds_read_b32 v84, v70
.LBB33_81:
	s_and_saveexec_b64 s[12:13], s[6:7]
	s_cbranch_execz .LBB33_85
; %bb.82:
	v_mov_b32_e32 v85, 0
	v_add_u32_e32 v85, 0x64, v85
	v_subrev_u32_e32 v86, 25, v0
	s_movk_i32 s14, 0xf4
	s_mov_b64 s[6:7], 0
.LBB33_83:                              ; =>This Inner Loop Header: Depth=1
	buffer_load_dword v87, v85, s[0:3], 0 offen
	v_mov_b32_e32 v88, s14
	ds_read_b32 v88, v88
	v_add_u32_e32 v86, -1, v86
	s_add_i32 s14, s14, 4
	v_cmp_eq_u32_e32 vcc, 0, v86
	v_add_u32_e32 v85, 4, v85
	s_or_b64 s[6:7], vcc, s[6:7]
	s_waitcnt vmcnt(0) lgkmcnt(0)
	v_fmac_f32_e32 v84, v87, v88
	s_andn2_b64 exec, exec, s[6:7]
	s_cbranch_execnz .LBB33_83
; %bb.84:
	s_or_b64 exec, exec, s[6:7]
.LBB33_85:
	s_or_b64 exec, exec, s[12:13]
	v_mov_b32_e32 v85, 0
	ds_read_b32 v85, v85 offset:96
	s_waitcnt lgkmcnt(0)
	v_mul_f32_e32 v84, v84, v85
	buffer_store_dword v84, off, s[0:3], 0 offset:96
.LBB33_86:
	s_or_b64 exec, exec, s[10:11]
	buffer_load_dword v84, off, s[0:3], 0 offset:92
	v_cmp_lt_u32_e64 s[6:7], 23, v0
	s_waitcnt vmcnt(0)
	ds_write_b32 v70, v84
	s_waitcnt lgkmcnt(0)
	; wave barrier
	s_waitcnt lgkmcnt(0)
	s_and_saveexec_b64 s[10:11], s[6:7]
	s_cbranch_execz .LBB33_96
; %bb.87:
	s_andn2_b64 vcc, exec, s[8:9]
	s_cbranch_vccnz .LBB33_89
; %bb.88:
	buffer_load_dword v84, v71, s[0:3], 0 offen
	ds_read_b32 v85, v70
	s_waitcnt vmcnt(0) lgkmcnt(0)
	v_mul_f32_e32 v84, v84, v85
	s_cbranch_execz .LBB33_90
	s_branch .LBB33_91
.LBB33_89:
                                        ; implicit-def: $vgpr84
.LBB33_90:
	ds_read_b32 v84, v70
.LBB33_91:
	s_and_saveexec_b64 s[12:13], s[4:5]
	s_cbranch_execz .LBB33_95
; %bb.92:
	v_subrev_u32_e32 v85, 24, v0
	s_movk_i32 s14, 0xf0
	s_mov_b64 s[4:5], 0
.LBB33_93:                              ; =>This Inner Loop Header: Depth=1
	buffer_load_dword v86, v83, s[0:3], 0 offen
	v_mov_b32_e32 v87, s14
	ds_read_b32 v87, v87
	v_add_u32_e32 v85, -1, v85
	s_add_i32 s14, s14, 4
	v_cmp_eq_u32_e32 vcc, 0, v85
	v_add_u32_e32 v83, 4, v83
	s_or_b64 s[4:5], vcc, s[4:5]
	s_waitcnt vmcnt(0) lgkmcnt(0)
	v_fmac_f32_e32 v84, v86, v87
	s_andn2_b64 exec, exec, s[4:5]
	s_cbranch_execnz .LBB33_93
; %bb.94:
	s_or_b64 exec, exec, s[4:5]
.LBB33_95:
	s_or_b64 exec, exec, s[12:13]
	v_mov_b32_e32 v83, 0
	ds_read_b32 v83, v83 offset:92
	s_waitcnt lgkmcnt(0)
	v_mul_f32_e32 v83, v84, v83
	buffer_store_dword v83, off, s[0:3], 0 offset:92
.LBB33_96:
	s_or_b64 exec, exec, s[10:11]
	buffer_load_dword v83, off, s[0:3], 0 offset:88
	v_cmp_lt_u32_e64 s[4:5], 22, v0
	s_waitcnt vmcnt(0)
	ds_write_b32 v70, v83
	s_waitcnt lgkmcnt(0)
	; wave barrier
	s_waitcnt lgkmcnt(0)
	s_and_saveexec_b64 s[10:11], s[4:5]
	s_cbranch_execz .LBB33_106
; %bb.97:
	s_andn2_b64 vcc, exec, s[8:9]
	s_cbranch_vccnz .LBB33_99
; %bb.98:
	buffer_load_dword v83, v71, s[0:3], 0 offen
	ds_read_b32 v84, v70
	s_waitcnt vmcnt(0) lgkmcnt(0)
	v_mul_f32_e32 v83, v83, v84
	s_cbranch_execz .LBB33_100
	s_branch .LBB33_101
.LBB33_99:
                                        ; implicit-def: $vgpr83
.LBB33_100:
	ds_read_b32 v83, v70
.LBB33_101:
	s_and_saveexec_b64 s[12:13], s[6:7]
	s_cbranch_execz .LBB33_105
; %bb.102:
	v_mov_b32_e32 v84, 0
	v_add_u32_e32 v84, 0x5c, v84
	v_subrev_u32_e32 v85, 23, v0
	s_movk_i32 s14, 0xec
	s_mov_b64 s[6:7], 0
.LBB33_103:                             ; =>This Inner Loop Header: Depth=1
	buffer_load_dword v86, v84, s[0:3], 0 offen
	v_mov_b32_e32 v87, s14
	ds_read_b32 v87, v87
	v_add_u32_e32 v85, -1, v85
	s_add_i32 s14, s14, 4
	v_cmp_eq_u32_e32 vcc, 0, v85
	v_add_u32_e32 v84, 4, v84
	s_or_b64 s[6:7], vcc, s[6:7]
	s_waitcnt vmcnt(0) lgkmcnt(0)
	v_fmac_f32_e32 v83, v86, v87
	s_andn2_b64 exec, exec, s[6:7]
	s_cbranch_execnz .LBB33_103
; %bb.104:
	s_or_b64 exec, exec, s[6:7]
.LBB33_105:
	s_or_b64 exec, exec, s[12:13]
	v_mov_b32_e32 v84, 0
	ds_read_b32 v84, v84 offset:88
	s_waitcnt lgkmcnt(0)
	v_mul_f32_e32 v83, v83, v84
	buffer_store_dword v83, off, s[0:3], 0 offset:88
.LBB33_106:
	s_or_b64 exec, exec, s[10:11]
	buffer_load_dword v83, off, s[0:3], 0 offset:84
	v_cmp_lt_u32_e64 s[6:7], 21, v0
	s_waitcnt vmcnt(0)
	ds_write_b32 v70, v83
	s_waitcnt lgkmcnt(0)
	; wave barrier
	s_waitcnt lgkmcnt(0)
	s_and_saveexec_b64 s[10:11], s[6:7]
	s_cbranch_execz .LBB33_116
; %bb.107:
	s_andn2_b64 vcc, exec, s[8:9]
	s_cbranch_vccnz .LBB33_109
; %bb.108:
	buffer_load_dword v83, v71, s[0:3], 0 offen
	ds_read_b32 v84, v70
	s_waitcnt vmcnt(0) lgkmcnt(0)
	v_mul_f32_e32 v83, v83, v84
	s_cbranch_execz .LBB33_110
	s_branch .LBB33_111
.LBB33_109:
                                        ; implicit-def: $vgpr83
.LBB33_110:
	ds_read_b32 v83, v70
.LBB33_111:
	s_and_saveexec_b64 s[12:13], s[4:5]
	s_cbranch_execz .LBB33_115
; %bb.112:
	v_subrev_u32_e32 v84, 22, v0
	s_movk_i32 s14, 0xe8
	s_mov_b64 s[4:5], 0
.LBB33_113:                             ; =>This Inner Loop Header: Depth=1
	buffer_load_dword v85, v82, s[0:3], 0 offen
	v_mov_b32_e32 v86, s14
	ds_read_b32 v86, v86
	v_add_u32_e32 v84, -1, v84
	s_add_i32 s14, s14, 4
	v_cmp_eq_u32_e32 vcc, 0, v84
	v_add_u32_e32 v82, 4, v82
	s_or_b64 s[4:5], vcc, s[4:5]
	s_waitcnt vmcnt(0) lgkmcnt(0)
	v_fmac_f32_e32 v83, v85, v86
	s_andn2_b64 exec, exec, s[4:5]
	s_cbranch_execnz .LBB33_113
; %bb.114:
	s_or_b64 exec, exec, s[4:5]
.LBB33_115:
	s_or_b64 exec, exec, s[12:13]
	v_mov_b32_e32 v82, 0
	ds_read_b32 v82, v82 offset:84
	s_waitcnt lgkmcnt(0)
	v_mul_f32_e32 v82, v83, v82
	buffer_store_dword v82, off, s[0:3], 0 offset:84
.LBB33_116:
	s_or_b64 exec, exec, s[10:11]
	buffer_load_dword v82, off, s[0:3], 0 offset:80
	v_cmp_lt_u32_e64 s[4:5], 20, v0
	s_waitcnt vmcnt(0)
	ds_write_b32 v70, v82
	s_waitcnt lgkmcnt(0)
	; wave barrier
	s_waitcnt lgkmcnt(0)
	s_and_saveexec_b64 s[10:11], s[4:5]
	s_cbranch_execz .LBB33_126
; %bb.117:
	s_andn2_b64 vcc, exec, s[8:9]
	s_cbranch_vccnz .LBB33_119
; %bb.118:
	buffer_load_dword v82, v71, s[0:3], 0 offen
	ds_read_b32 v83, v70
	s_waitcnt vmcnt(0) lgkmcnt(0)
	v_mul_f32_e32 v82, v82, v83
	s_cbranch_execz .LBB33_120
	s_branch .LBB33_121
.LBB33_119:
                                        ; implicit-def: $vgpr82
.LBB33_120:
	ds_read_b32 v82, v70
.LBB33_121:
	s_and_saveexec_b64 s[12:13], s[6:7]
	s_cbranch_execz .LBB33_125
; %bb.122:
	v_mov_b32_e32 v83, 0
	v_add_u32_e32 v83, 0x54, v83
	v_subrev_u32_e32 v84, 21, v0
	s_movk_i32 s14, 0xe4
	s_mov_b64 s[6:7], 0
.LBB33_123:                             ; =>This Inner Loop Header: Depth=1
	buffer_load_dword v85, v83, s[0:3], 0 offen
	v_mov_b32_e32 v86, s14
	ds_read_b32 v86, v86
	v_add_u32_e32 v84, -1, v84
	s_add_i32 s14, s14, 4
	v_cmp_eq_u32_e32 vcc, 0, v84
	v_add_u32_e32 v83, 4, v83
	s_or_b64 s[6:7], vcc, s[6:7]
	s_waitcnt vmcnt(0) lgkmcnt(0)
	v_fmac_f32_e32 v82, v85, v86
	s_andn2_b64 exec, exec, s[6:7]
	s_cbranch_execnz .LBB33_123
; %bb.124:
	s_or_b64 exec, exec, s[6:7]
.LBB33_125:
	s_or_b64 exec, exec, s[12:13]
	v_mov_b32_e32 v83, 0
	ds_read_b32 v83, v83 offset:80
	s_waitcnt lgkmcnt(0)
	v_mul_f32_e32 v82, v82, v83
	buffer_store_dword v82, off, s[0:3], 0 offset:80
.LBB33_126:
	s_or_b64 exec, exec, s[10:11]
	buffer_load_dword v82, off, s[0:3], 0 offset:76
	v_cmp_lt_u32_e64 s[6:7], 19, v0
	s_waitcnt vmcnt(0)
	ds_write_b32 v70, v82
	s_waitcnt lgkmcnt(0)
	; wave barrier
	s_waitcnt lgkmcnt(0)
	s_and_saveexec_b64 s[10:11], s[6:7]
	s_cbranch_execz .LBB33_136
; %bb.127:
	s_andn2_b64 vcc, exec, s[8:9]
	s_cbranch_vccnz .LBB33_129
; %bb.128:
	buffer_load_dword v82, v71, s[0:3], 0 offen
	ds_read_b32 v83, v70
	s_waitcnt vmcnt(0) lgkmcnt(0)
	v_mul_f32_e32 v82, v82, v83
	s_cbranch_execz .LBB33_130
	s_branch .LBB33_131
.LBB33_129:
                                        ; implicit-def: $vgpr82
.LBB33_130:
	ds_read_b32 v82, v70
.LBB33_131:
	s_and_saveexec_b64 s[12:13], s[4:5]
	s_cbranch_execz .LBB33_135
; %bb.132:
	v_subrev_u32_e32 v83, 20, v0
	s_movk_i32 s14, 0xe0
	s_mov_b64 s[4:5], 0
.LBB33_133:                             ; =>This Inner Loop Header: Depth=1
	buffer_load_dword v84, v81, s[0:3], 0 offen
	v_mov_b32_e32 v85, s14
	ds_read_b32 v85, v85
	v_add_u32_e32 v83, -1, v83
	s_add_i32 s14, s14, 4
	v_cmp_eq_u32_e32 vcc, 0, v83
	v_add_u32_e32 v81, 4, v81
	s_or_b64 s[4:5], vcc, s[4:5]
	s_waitcnt vmcnt(0) lgkmcnt(0)
	v_fmac_f32_e32 v82, v84, v85
	s_andn2_b64 exec, exec, s[4:5]
	s_cbranch_execnz .LBB33_133
; %bb.134:
	s_or_b64 exec, exec, s[4:5]
.LBB33_135:
	s_or_b64 exec, exec, s[12:13]
	v_mov_b32_e32 v81, 0
	ds_read_b32 v81, v81 offset:76
	s_waitcnt lgkmcnt(0)
	v_mul_f32_e32 v81, v82, v81
	buffer_store_dword v81, off, s[0:3], 0 offset:76
.LBB33_136:
	s_or_b64 exec, exec, s[10:11]
	buffer_load_dword v81, off, s[0:3], 0 offset:72
	v_cmp_lt_u32_e64 s[4:5], 18, v0
	s_waitcnt vmcnt(0)
	ds_write_b32 v70, v81
	s_waitcnt lgkmcnt(0)
	; wave barrier
	s_waitcnt lgkmcnt(0)
	s_and_saveexec_b64 s[10:11], s[4:5]
	s_cbranch_execz .LBB33_146
; %bb.137:
	s_andn2_b64 vcc, exec, s[8:9]
	s_cbranch_vccnz .LBB33_139
; %bb.138:
	buffer_load_dword v81, v71, s[0:3], 0 offen
	ds_read_b32 v82, v70
	s_waitcnt vmcnt(0) lgkmcnt(0)
	v_mul_f32_e32 v81, v81, v82
	s_cbranch_execz .LBB33_140
	s_branch .LBB33_141
.LBB33_139:
                                        ; implicit-def: $vgpr81
.LBB33_140:
	ds_read_b32 v81, v70
.LBB33_141:
	s_and_saveexec_b64 s[12:13], s[6:7]
	s_cbranch_execz .LBB33_145
; %bb.142:
	v_mov_b32_e32 v82, 0
	v_add_u32_e32 v82, 0x4c, v82
	v_subrev_u32_e32 v83, 19, v0
	s_movk_i32 s14, 0xdc
	s_mov_b64 s[6:7], 0
.LBB33_143:                             ; =>This Inner Loop Header: Depth=1
	buffer_load_dword v84, v82, s[0:3], 0 offen
	v_mov_b32_e32 v85, s14
	ds_read_b32 v85, v85
	v_add_u32_e32 v83, -1, v83
	s_add_i32 s14, s14, 4
	v_cmp_eq_u32_e32 vcc, 0, v83
	v_add_u32_e32 v82, 4, v82
	s_or_b64 s[6:7], vcc, s[6:7]
	s_waitcnt vmcnt(0) lgkmcnt(0)
	v_fmac_f32_e32 v81, v84, v85
	s_andn2_b64 exec, exec, s[6:7]
	s_cbranch_execnz .LBB33_143
; %bb.144:
	s_or_b64 exec, exec, s[6:7]
.LBB33_145:
	s_or_b64 exec, exec, s[12:13]
	v_mov_b32_e32 v82, 0
	ds_read_b32 v82, v82 offset:72
	s_waitcnt lgkmcnt(0)
	v_mul_f32_e32 v81, v81, v82
	buffer_store_dword v81, off, s[0:3], 0 offset:72
.LBB33_146:
	s_or_b64 exec, exec, s[10:11]
	buffer_load_dword v81, off, s[0:3], 0 offset:68
	v_cmp_lt_u32_e64 s[6:7], 17, v0
	s_waitcnt vmcnt(0)
	ds_write_b32 v70, v81
	s_waitcnt lgkmcnt(0)
	; wave barrier
	s_waitcnt lgkmcnt(0)
	s_and_saveexec_b64 s[10:11], s[6:7]
	s_cbranch_execz .LBB33_156
; %bb.147:
	s_andn2_b64 vcc, exec, s[8:9]
	s_cbranch_vccnz .LBB33_149
; %bb.148:
	buffer_load_dword v81, v71, s[0:3], 0 offen
	ds_read_b32 v82, v70
	s_waitcnt vmcnt(0) lgkmcnt(0)
	v_mul_f32_e32 v81, v81, v82
	s_cbranch_execz .LBB33_150
	s_branch .LBB33_151
.LBB33_149:
                                        ; implicit-def: $vgpr81
.LBB33_150:
	ds_read_b32 v81, v70
.LBB33_151:
	s_and_saveexec_b64 s[12:13], s[4:5]
	s_cbranch_execz .LBB33_155
; %bb.152:
	v_subrev_u32_e32 v82, 18, v0
	s_movk_i32 s14, 0xd8
	s_mov_b64 s[4:5], 0
.LBB33_153:                             ; =>This Inner Loop Header: Depth=1
	buffer_load_dword v83, v80, s[0:3], 0 offen
	v_mov_b32_e32 v84, s14
	ds_read_b32 v84, v84
	v_add_u32_e32 v82, -1, v82
	s_add_i32 s14, s14, 4
	v_cmp_eq_u32_e32 vcc, 0, v82
	v_add_u32_e32 v80, 4, v80
	s_or_b64 s[4:5], vcc, s[4:5]
	s_waitcnt vmcnt(0) lgkmcnt(0)
	v_fmac_f32_e32 v81, v83, v84
	s_andn2_b64 exec, exec, s[4:5]
	s_cbranch_execnz .LBB33_153
; %bb.154:
	s_or_b64 exec, exec, s[4:5]
.LBB33_155:
	s_or_b64 exec, exec, s[12:13]
	v_mov_b32_e32 v80, 0
	ds_read_b32 v80, v80 offset:68
	s_waitcnt lgkmcnt(0)
	v_mul_f32_e32 v80, v81, v80
	buffer_store_dword v80, off, s[0:3], 0 offset:68
.LBB33_156:
	s_or_b64 exec, exec, s[10:11]
	buffer_load_dword v80, off, s[0:3], 0 offset:64
	v_cmp_lt_u32_e64 s[4:5], 16, v0
	s_waitcnt vmcnt(0)
	ds_write_b32 v70, v80
	s_waitcnt lgkmcnt(0)
	; wave barrier
	s_waitcnt lgkmcnt(0)
	s_and_saveexec_b64 s[10:11], s[4:5]
	s_cbranch_execz .LBB33_166
; %bb.157:
	s_andn2_b64 vcc, exec, s[8:9]
	s_cbranch_vccnz .LBB33_159
; %bb.158:
	buffer_load_dword v80, v71, s[0:3], 0 offen
	ds_read_b32 v81, v70
	s_waitcnt vmcnt(0) lgkmcnt(0)
	v_mul_f32_e32 v80, v80, v81
	s_cbranch_execz .LBB33_160
	s_branch .LBB33_161
.LBB33_159:
                                        ; implicit-def: $vgpr80
.LBB33_160:
	ds_read_b32 v80, v70
.LBB33_161:
	s_and_saveexec_b64 s[12:13], s[6:7]
	s_cbranch_execz .LBB33_165
; %bb.162:
	v_mov_b32_e32 v81, 0
	v_add_u32_e32 v81, 0x44, v81
	v_subrev_u32_e32 v82, 17, v0
	s_movk_i32 s14, 0xd4
	s_mov_b64 s[6:7], 0
.LBB33_163:                             ; =>This Inner Loop Header: Depth=1
	buffer_load_dword v83, v81, s[0:3], 0 offen
	v_mov_b32_e32 v84, s14
	ds_read_b32 v84, v84
	v_add_u32_e32 v82, -1, v82
	s_add_i32 s14, s14, 4
	v_cmp_eq_u32_e32 vcc, 0, v82
	v_add_u32_e32 v81, 4, v81
	s_or_b64 s[6:7], vcc, s[6:7]
	s_waitcnt vmcnt(0) lgkmcnt(0)
	v_fmac_f32_e32 v80, v83, v84
	s_andn2_b64 exec, exec, s[6:7]
	s_cbranch_execnz .LBB33_163
; %bb.164:
	s_or_b64 exec, exec, s[6:7]
.LBB33_165:
	s_or_b64 exec, exec, s[12:13]
	v_mov_b32_e32 v81, 0
	ds_read_b32 v81, v81 offset:64
	s_waitcnt lgkmcnt(0)
	v_mul_f32_e32 v80, v80, v81
	buffer_store_dword v80, off, s[0:3], 0 offset:64
.LBB33_166:
	s_or_b64 exec, exec, s[10:11]
	buffer_load_dword v80, off, s[0:3], 0 offset:60
	v_cmp_lt_u32_e64 s[6:7], 15, v0
	s_waitcnt vmcnt(0)
	ds_write_b32 v70, v80
	s_waitcnt lgkmcnt(0)
	; wave barrier
	s_waitcnt lgkmcnt(0)
	s_and_saveexec_b64 s[10:11], s[6:7]
	s_cbranch_execz .LBB33_176
; %bb.167:
	s_andn2_b64 vcc, exec, s[8:9]
	s_cbranch_vccnz .LBB33_169
; %bb.168:
	buffer_load_dword v80, v71, s[0:3], 0 offen
	ds_read_b32 v81, v70
	s_waitcnt vmcnt(0) lgkmcnt(0)
	v_mul_f32_e32 v80, v80, v81
	s_cbranch_execz .LBB33_170
	s_branch .LBB33_171
.LBB33_169:
                                        ; implicit-def: $vgpr80
.LBB33_170:
	ds_read_b32 v80, v70
.LBB33_171:
	s_and_saveexec_b64 s[12:13], s[4:5]
	s_cbranch_execz .LBB33_175
; %bb.172:
	v_add_u32_e32 v81, -16, v0
	s_movk_i32 s14, 0xd0
	s_mov_b64 s[4:5], 0
.LBB33_173:                             ; =>This Inner Loop Header: Depth=1
	buffer_load_dword v82, v79, s[0:3], 0 offen
	v_mov_b32_e32 v83, s14
	ds_read_b32 v83, v83
	v_add_u32_e32 v81, -1, v81
	s_add_i32 s14, s14, 4
	v_cmp_eq_u32_e32 vcc, 0, v81
	v_add_u32_e32 v79, 4, v79
	s_or_b64 s[4:5], vcc, s[4:5]
	s_waitcnt vmcnt(0) lgkmcnt(0)
	v_fmac_f32_e32 v80, v82, v83
	s_andn2_b64 exec, exec, s[4:5]
	s_cbranch_execnz .LBB33_173
; %bb.174:
	s_or_b64 exec, exec, s[4:5]
.LBB33_175:
	s_or_b64 exec, exec, s[12:13]
	v_mov_b32_e32 v79, 0
	ds_read_b32 v79, v79 offset:60
	s_waitcnt lgkmcnt(0)
	v_mul_f32_e32 v79, v80, v79
	buffer_store_dword v79, off, s[0:3], 0 offset:60
.LBB33_176:
	s_or_b64 exec, exec, s[10:11]
	buffer_load_dword v79, off, s[0:3], 0 offset:56
	v_cmp_lt_u32_e64 s[4:5], 14, v0
	s_waitcnt vmcnt(0)
	ds_write_b32 v70, v79
	s_waitcnt lgkmcnt(0)
	; wave barrier
	s_waitcnt lgkmcnt(0)
	s_and_saveexec_b64 s[10:11], s[4:5]
	s_cbranch_execz .LBB33_186
; %bb.177:
	s_andn2_b64 vcc, exec, s[8:9]
	s_cbranch_vccnz .LBB33_179
; %bb.178:
	buffer_load_dword v79, v71, s[0:3], 0 offen
	ds_read_b32 v80, v70
	s_waitcnt vmcnt(0) lgkmcnt(0)
	v_mul_f32_e32 v79, v79, v80
	s_cbranch_execz .LBB33_180
	s_branch .LBB33_181
.LBB33_179:
                                        ; implicit-def: $vgpr79
.LBB33_180:
	ds_read_b32 v79, v70
.LBB33_181:
	s_and_saveexec_b64 s[12:13], s[6:7]
	s_cbranch_execz .LBB33_185
; %bb.182:
	v_mov_b32_e32 v80, 0
	v_add_u32_e32 v80, 60, v80
	v_add_u32_e32 v81, -15, v0
	s_movk_i32 s14, 0xcc
	s_mov_b64 s[6:7], 0
.LBB33_183:                             ; =>This Inner Loop Header: Depth=1
	buffer_load_dword v82, v80, s[0:3], 0 offen
	v_mov_b32_e32 v83, s14
	ds_read_b32 v83, v83
	v_add_u32_e32 v81, -1, v81
	s_add_i32 s14, s14, 4
	v_cmp_eq_u32_e32 vcc, 0, v81
	v_add_u32_e32 v80, 4, v80
	s_or_b64 s[6:7], vcc, s[6:7]
	s_waitcnt vmcnt(0) lgkmcnt(0)
	v_fmac_f32_e32 v79, v82, v83
	s_andn2_b64 exec, exec, s[6:7]
	s_cbranch_execnz .LBB33_183
; %bb.184:
	s_or_b64 exec, exec, s[6:7]
.LBB33_185:
	s_or_b64 exec, exec, s[12:13]
	v_mov_b32_e32 v80, 0
	ds_read_b32 v80, v80 offset:56
	s_waitcnt lgkmcnt(0)
	v_mul_f32_e32 v79, v79, v80
	buffer_store_dword v79, off, s[0:3], 0 offset:56
.LBB33_186:
	s_or_b64 exec, exec, s[10:11]
	buffer_load_dword v79, off, s[0:3], 0 offset:52
	v_cmp_lt_u32_e64 s[6:7], 13, v0
	s_waitcnt vmcnt(0)
	ds_write_b32 v70, v79
	s_waitcnt lgkmcnt(0)
	; wave barrier
	s_waitcnt lgkmcnt(0)
	s_and_saveexec_b64 s[10:11], s[6:7]
	s_cbranch_execz .LBB33_196
; %bb.187:
	s_andn2_b64 vcc, exec, s[8:9]
	s_cbranch_vccnz .LBB33_189
; %bb.188:
	buffer_load_dword v79, v71, s[0:3], 0 offen
	ds_read_b32 v80, v70
	s_waitcnt vmcnt(0) lgkmcnt(0)
	v_mul_f32_e32 v79, v79, v80
	s_cbranch_execz .LBB33_190
	s_branch .LBB33_191
.LBB33_189:
                                        ; implicit-def: $vgpr79
.LBB33_190:
	ds_read_b32 v79, v70
.LBB33_191:
	s_and_saveexec_b64 s[12:13], s[4:5]
	s_cbranch_execz .LBB33_195
; %bb.192:
	v_add_u32_e32 v80, -14, v0
	s_movk_i32 s14, 0xc8
	s_mov_b64 s[4:5], 0
.LBB33_193:                             ; =>This Inner Loop Header: Depth=1
	buffer_load_dword v81, v78, s[0:3], 0 offen
	v_mov_b32_e32 v82, s14
	ds_read_b32 v82, v82
	v_add_u32_e32 v80, -1, v80
	s_add_i32 s14, s14, 4
	v_cmp_eq_u32_e32 vcc, 0, v80
	v_add_u32_e32 v78, 4, v78
	s_or_b64 s[4:5], vcc, s[4:5]
	s_waitcnt vmcnt(0) lgkmcnt(0)
	v_fmac_f32_e32 v79, v81, v82
	s_andn2_b64 exec, exec, s[4:5]
	s_cbranch_execnz .LBB33_193
; %bb.194:
	s_or_b64 exec, exec, s[4:5]
.LBB33_195:
	s_or_b64 exec, exec, s[12:13]
	v_mov_b32_e32 v78, 0
	ds_read_b32 v78, v78 offset:52
	s_waitcnt lgkmcnt(0)
	v_mul_f32_e32 v78, v79, v78
	buffer_store_dword v78, off, s[0:3], 0 offset:52
.LBB33_196:
	s_or_b64 exec, exec, s[10:11]
	buffer_load_dword v78, off, s[0:3], 0 offset:48
	v_cmp_lt_u32_e64 s[4:5], 12, v0
	s_waitcnt vmcnt(0)
	ds_write_b32 v70, v78
	s_waitcnt lgkmcnt(0)
	; wave barrier
	s_waitcnt lgkmcnt(0)
	s_and_saveexec_b64 s[10:11], s[4:5]
	s_cbranch_execz .LBB33_206
; %bb.197:
	s_andn2_b64 vcc, exec, s[8:9]
	s_cbranch_vccnz .LBB33_199
; %bb.198:
	buffer_load_dword v78, v71, s[0:3], 0 offen
	ds_read_b32 v79, v70
	s_waitcnt vmcnt(0) lgkmcnt(0)
	v_mul_f32_e32 v78, v78, v79
	s_cbranch_execz .LBB33_200
	s_branch .LBB33_201
.LBB33_199:
                                        ; implicit-def: $vgpr78
.LBB33_200:
	ds_read_b32 v78, v70
.LBB33_201:
	s_and_saveexec_b64 s[12:13], s[6:7]
	s_cbranch_execz .LBB33_205
; %bb.202:
	v_mov_b32_e32 v79, 0
	v_add_u32_e32 v79, 52, v79
	v_add_u32_e32 v80, -13, v0
	s_movk_i32 s14, 0xc4
	s_mov_b64 s[6:7], 0
.LBB33_203:                             ; =>This Inner Loop Header: Depth=1
	buffer_load_dword v81, v79, s[0:3], 0 offen
	v_mov_b32_e32 v82, s14
	ds_read_b32 v82, v82
	v_add_u32_e32 v80, -1, v80
	s_add_i32 s14, s14, 4
	v_cmp_eq_u32_e32 vcc, 0, v80
	v_add_u32_e32 v79, 4, v79
	s_or_b64 s[6:7], vcc, s[6:7]
	s_waitcnt vmcnt(0) lgkmcnt(0)
	v_fmac_f32_e32 v78, v81, v82
	s_andn2_b64 exec, exec, s[6:7]
	s_cbranch_execnz .LBB33_203
; %bb.204:
	s_or_b64 exec, exec, s[6:7]
.LBB33_205:
	s_or_b64 exec, exec, s[12:13]
	v_mov_b32_e32 v79, 0
	ds_read_b32 v79, v79 offset:48
	s_waitcnt lgkmcnt(0)
	v_mul_f32_e32 v78, v78, v79
	buffer_store_dword v78, off, s[0:3], 0 offset:48
.LBB33_206:
	s_or_b64 exec, exec, s[10:11]
	buffer_load_dword v78, off, s[0:3], 0 offset:44
	v_cmp_lt_u32_e64 s[6:7], 11, v0
	s_waitcnt vmcnt(0)
	ds_write_b32 v70, v78
	s_waitcnt lgkmcnt(0)
	; wave barrier
	s_waitcnt lgkmcnt(0)
	s_and_saveexec_b64 s[10:11], s[6:7]
	s_cbranch_execz .LBB33_216
; %bb.207:
	s_andn2_b64 vcc, exec, s[8:9]
	s_cbranch_vccnz .LBB33_209
; %bb.208:
	buffer_load_dword v78, v71, s[0:3], 0 offen
	ds_read_b32 v79, v70
	s_waitcnt vmcnt(0) lgkmcnt(0)
	v_mul_f32_e32 v78, v78, v79
	s_cbranch_execz .LBB33_210
	s_branch .LBB33_211
.LBB33_209:
                                        ; implicit-def: $vgpr78
.LBB33_210:
	ds_read_b32 v78, v70
.LBB33_211:
	s_and_saveexec_b64 s[12:13], s[4:5]
	s_cbranch_execz .LBB33_215
; %bb.212:
	v_add_u32_e32 v79, -12, v0
	s_movk_i32 s14, 0xc0
	s_mov_b64 s[4:5], 0
.LBB33_213:                             ; =>This Inner Loop Header: Depth=1
	buffer_load_dword v80, v77, s[0:3], 0 offen
	v_mov_b32_e32 v81, s14
	ds_read_b32 v81, v81
	v_add_u32_e32 v79, -1, v79
	s_add_i32 s14, s14, 4
	v_cmp_eq_u32_e32 vcc, 0, v79
	v_add_u32_e32 v77, 4, v77
	s_or_b64 s[4:5], vcc, s[4:5]
	s_waitcnt vmcnt(0) lgkmcnt(0)
	v_fmac_f32_e32 v78, v80, v81
	s_andn2_b64 exec, exec, s[4:5]
	s_cbranch_execnz .LBB33_213
; %bb.214:
	s_or_b64 exec, exec, s[4:5]
.LBB33_215:
	s_or_b64 exec, exec, s[12:13]
	v_mov_b32_e32 v77, 0
	ds_read_b32 v77, v77 offset:44
	s_waitcnt lgkmcnt(0)
	v_mul_f32_e32 v77, v78, v77
	buffer_store_dword v77, off, s[0:3], 0 offset:44
.LBB33_216:
	s_or_b64 exec, exec, s[10:11]
	buffer_load_dword v77, off, s[0:3], 0 offset:40
	v_cmp_lt_u32_e64 s[4:5], 10, v0
	s_waitcnt vmcnt(0)
	ds_write_b32 v70, v77
	s_waitcnt lgkmcnt(0)
	; wave barrier
	s_waitcnt lgkmcnt(0)
	s_and_saveexec_b64 s[10:11], s[4:5]
	s_cbranch_execz .LBB33_226
; %bb.217:
	s_andn2_b64 vcc, exec, s[8:9]
	s_cbranch_vccnz .LBB33_219
; %bb.218:
	buffer_load_dword v77, v71, s[0:3], 0 offen
	ds_read_b32 v78, v70
	s_waitcnt vmcnt(0) lgkmcnt(0)
	v_mul_f32_e32 v77, v77, v78
	s_cbranch_execz .LBB33_220
	s_branch .LBB33_221
.LBB33_219:
                                        ; implicit-def: $vgpr77
.LBB33_220:
	ds_read_b32 v77, v70
.LBB33_221:
	s_and_saveexec_b64 s[12:13], s[6:7]
	s_cbranch_execz .LBB33_225
; %bb.222:
	v_mov_b32_e32 v78, 0
	v_add_u32_e32 v78, 44, v78
	v_add_u32_e32 v79, -11, v0
	s_movk_i32 s14, 0xbc
	s_mov_b64 s[6:7], 0
.LBB33_223:                             ; =>This Inner Loop Header: Depth=1
	buffer_load_dword v80, v78, s[0:3], 0 offen
	v_mov_b32_e32 v81, s14
	ds_read_b32 v81, v81
	v_add_u32_e32 v79, -1, v79
	s_add_i32 s14, s14, 4
	v_cmp_eq_u32_e32 vcc, 0, v79
	v_add_u32_e32 v78, 4, v78
	s_or_b64 s[6:7], vcc, s[6:7]
	s_waitcnt vmcnt(0) lgkmcnt(0)
	v_fmac_f32_e32 v77, v80, v81
	s_andn2_b64 exec, exec, s[6:7]
	s_cbranch_execnz .LBB33_223
; %bb.224:
	s_or_b64 exec, exec, s[6:7]
.LBB33_225:
	s_or_b64 exec, exec, s[12:13]
	v_mov_b32_e32 v78, 0
	ds_read_b32 v78, v78 offset:40
	s_waitcnt lgkmcnt(0)
	v_mul_f32_e32 v77, v77, v78
	buffer_store_dword v77, off, s[0:3], 0 offset:40
.LBB33_226:
	s_or_b64 exec, exec, s[10:11]
	buffer_load_dword v77, off, s[0:3], 0 offset:36
	v_cmp_lt_u32_e64 s[6:7], 9, v0
	s_waitcnt vmcnt(0)
	ds_write_b32 v70, v77
	s_waitcnt lgkmcnt(0)
	; wave barrier
	s_waitcnt lgkmcnt(0)
	s_and_saveexec_b64 s[10:11], s[6:7]
	s_cbranch_execz .LBB33_236
; %bb.227:
	s_andn2_b64 vcc, exec, s[8:9]
	s_cbranch_vccnz .LBB33_229
; %bb.228:
	buffer_load_dword v77, v71, s[0:3], 0 offen
	ds_read_b32 v78, v70
	s_waitcnt vmcnt(0) lgkmcnt(0)
	v_mul_f32_e32 v77, v77, v78
	s_cbranch_execz .LBB33_230
	s_branch .LBB33_231
.LBB33_229:
                                        ; implicit-def: $vgpr77
.LBB33_230:
	ds_read_b32 v77, v70
.LBB33_231:
	s_and_saveexec_b64 s[12:13], s[4:5]
	s_cbranch_execz .LBB33_235
; %bb.232:
	v_add_u32_e32 v78, -10, v0
	s_movk_i32 s14, 0xb8
	s_mov_b64 s[4:5], 0
.LBB33_233:                             ; =>This Inner Loop Header: Depth=1
	buffer_load_dword v79, v76, s[0:3], 0 offen
	v_mov_b32_e32 v80, s14
	ds_read_b32 v80, v80
	v_add_u32_e32 v78, -1, v78
	s_add_i32 s14, s14, 4
	v_cmp_eq_u32_e32 vcc, 0, v78
	v_add_u32_e32 v76, 4, v76
	s_or_b64 s[4:5], vcc, s[4:5]
	s_waitcnt vmcnt(0) lgkmcnt(0)
	v_fmac_f32_e32 v77, v79, v80
	s_andn2_b64 exec, exec, s[4:5]
	s_cbranch_execnz .LBB33_233
; %bb.234:
	s_or_b64 exec, exec, s[4:5]
.LBB33_235:
	s_or_b64 exec, exec, s[12:13]
	v_mov_b32_e32 v76, 0
	ds_read_b32 v76, v76 offset:36
	s_waitcnt lgkmcnt(0)
	v_mul_f32_e32 v76, v77, v76
	buffer_store_dword v76, off, s[0:3], 0 offset:36
.LBB33_236:
	s_or_b64 exec, exec, s[10:11]
	buffer_load_dword v76, off, s[0:3], 0 offset:32
	v_cmp_lt_u32_e64 s[4:5], 8, v0
	s_waitcnt vmcnt(0)
	ds_write_b32 v70, v76
	s_waitcnt lgkmcnt(0)
	; wave barrier
	s_waitcnt lgkmcnt(0)
	s_and_saveexec_b64 s[10:11], s[4:5]
	s_cbranch_execz .LBB33_246
; %bb.237:
	s_andn2_b64 vcc, exec, s[8:9]
	s_cbranch_vccnz .LBB33_239
; %bb.238:
	buffer_load_dword v76, v71, s[0:3], 0 offen
	ds_read_b32 v77, v70
	s_waitcnt vmcnt(0) lgkmcnt(0)
	v_mul_f32_e32 v76, v76, v77
	s_cbranch_execz .LBB33_240
	s_branch .LBB33_241
.LBB33_239:
                                        ; implicit-def: $vgpr76
.LBB33_240:
	ds_read_b32 v76, v70
.LBB33_241:
	s_and_saveexec_b64 s[12:13], s[6:7]
	s_cbranch_execz .LBB33_245
; %bb.242:
	v_mov_b32_e32 v77, 0
	v_add_u32_e32 v77, 36, v77
	v_add_u32_e32 v78, -9, v0
	s_movk_i32 s14, 0xb4
	s_mov_b64 s[6:7], 0
.LBB33_243:                             ; =>This Inner Loop Header: Depth=1
	buffer_load_dword v79, v77, s[0:3], 0 offen
	v_mov_b32_e32 v80, s14
	ds_read_b32 v80, v80
	v_add_u32_e32 v78, -1, v78
	s_add_i32 s14, s14, 4
	v_cmp_eq_u32_e32 vcc, 0, v78
	v_add_u32_e32 v77, 4, v77
	s_or_b64 s[6:7], vcc, s[6:7]
	s_waitcnt vmcnt(0) lgkmcnt(0)
	v_fmac_f32_e32 v76, v79, v80
	s_andn2_b64 exec, exec, s[6:7]
	s_cbranch_execnz .LBB33_243
; %bb.244:
	s_or_b64 exec, exec, s[6:7]
.LBB33_245:
	s_or_b64 exec, exec, s[12:13]
	v_mov_b32_e32 v77, 0
	ds_read_b32 v77, v77 offset:32
	s_waitcnt lgkmcnt(0)
	v_mul_f32_e32 v76, v76, v77
	buffer_store_dword v76, off, s[0:3], 0 offset:32
.LBB33_246:
	s_or_b64 exec, exec, s[10:11]
	buffer_load_dword v76, off, s[0:3], 0 offset:28
	v_cmp_lt_u32_e64 s[6:7], 7, v0
	s_waitcnt vmcnt(0)
	ds_write_b32 v70, v76
	s_waitcnt lgkmcnt(0)
	; wave barrier
	s_waitcnt lgkmcnt(0)
	s_and_saveexec_b64 s[10:11], s[6:7]
	s_cbranch_execz .LBB33_256
; %bb.247:
	s_andn2_b64 vcc, exec, s[8:9]
	s_cbranch_vccnz .LBB33_249
; %bb.248:
	buffer_load_dword v76, v71, s[0:3], 0 offen
	ds_read_b32 v77, v70
	s_waitcnt vmcnt(0) lgkmcnt(0)
	v_mul_f32_e32 v76, v76, v77
	s_cbranch_execz .LBB33_250
	s_branch .LBB33_251
.LBB33_249:
                                        ; implicit-def: $vgpr76
.LBB33_250:
	ds_read_b32 v76, v70
.LBB33_251:
	s_and_saveexec_b64 s[12:13], s[4:5]
	s_cbranch_execz .LBB33_255
; %bb.252:
	v_add_u32_e32 v77, -8, v0
	s_movk_i32 s14, 0xb0
	s_mov_b64 s[4:5], 0
.LBB33_253:                             ; =>This Inner Loop Header: Depth=1
	buffer_load_dword v78, v75, s[0:3], 0 offen
	v_mov_b32_e32 v79, s14
	ds_read_b32 v79, v79
	v_add_u32_e32 v77, -1, v77
	s_add_i32 s14, s14, 4
	v_cmp_eq_u32_e32 vcc, 0, v77
	v_add_u32_e32 v75, 4, v75
	s_or_b64 s[4:5], vcc, s[4:5]
	s_waitcnt vmcnt(0) lgkmcnt(0)
	v_fmac_f32_e32 v76, v78, v79
	s_andn2_b64 exec, exec, s[4:5]
	s_cbranch_execnz .LBB33_253
; %bb.254:
	s_or_b64 exec, exec, s[4:5]
.LBB33_255:
	s_or_b64 exec, exec, s[12:13]
	v_mov_b32_e32 v75, 0
	ds_read_b32 v75, v75 offset:28
	s_waitcnt lgkmcnt(0)
	v_mul_f32_e32 v75, v76, v75
	buffer_store_dword v75, off, s[0:3], 0 offset:28
.LBB33_256:
	s_or_b64 exec, exec, s[10:11]
	buffer_load_dword v75, off, s[0:3], 0 offset:24
	v_cmp_lt_u32_e64 s[4:5], 6, v0
	s_waitcnt vmcnt(0)
	ds_write_b32 v70, v75
	s_waitcnt lgkmcnt(0)
	; wave barrier
	s_waitcnt lgkmcnt(0)
	s_and_saveexec_b64 s[10:11], s[4:5]
	s_cbranch_execz .LBB33_266
; %bb.257:
	s_andn2_b64 vcc, exec, s[8:9]
	s_cbranch_vccnz .LBB33_259
; %bb.258:
	buffer_load_dword v75, v71, s[0:3], 0 offen
	ds_read_b32 v76, v70
	s_waitcnt vmcnt(0) lgkmcnt(0)
	v_mul_f32_e32 v75, v75, v76
	s_cbranch_execz .LBB33_260
	s_branch .LBB33_261
.LBB33_259:
                                        ; implicit-def: $vgpr75
.LBB33_260:
	ds_read_b32 v75, v70
.LBB33_261:
	s_and_saveexec_b64 s[12:13], s[6:7]
	s_cbranch_execz .LBB33_265
; %bb.262:
	v_mov_b32_e32 v76, 0
	v_add_u32_e32 v76, 28, v76
	v_add_u32_e32 v77, -7, v0
	s_movk_i32 s14, 0xac
	s_mov_b64 s[6:7], 0
.LBB33_263:                             ; =>This Inner Loop Header: Depth=1
	buffer_load_dword v78, v76, s[0:3], 0 offen
	v_mov_b32_e32 v79, s14
	ds_read_b32 v79, v79
	v_add_u32_e32 v77, -1, v77
	s_add_i32 s14, s14, 4
	v_cmp_eq_u32_e32 vcc, 0, v77
	v_add_u32_e32 v76, 4, v76
	s_or_b64 s[6:7], vcc, s[6:7]
	s_waitcnt vmcnt(0) lgkmcnt(0)
	v_fmac_f32_e32 v75, v78, v79
	s_andn2_b64 exec, exec, s[6:7]
	s_cbranch_execnz .LBB33_263
; %bb.264:
	s_or_b64 exec, exec, s[6:7]
.LBB33_265:
	s_or_b64 exec, exec, s[12:13]
	v_mov_b32_e32 v76, 0
	ds_read_b32 v76, v76 offset:24
	s_waitcnt lgkmcnt(0)
	v_mul_f32_e32 v75, v75, v76
	buffer_store_dword v75, off, s[0:3], 0 offset:24
.LBB33_266:
	s_or_b64 exec, exec, s[10:11]
	buffer_load_dword v75, off, s[0:3], 0 offset:20
	v_cmp_lt_u32_e64 s[6:7], 5, v0
	s_waitcnt vmcnt(0)
	ds_write_b32 v70, v75
	s_waitcnt lgkmcnt(0)
	; wave barrier
	s_waitcnt lgkmcnt(0)
	s_and_saveexec_b64 s[10:11], s[6:7]
	s_cbranch_execz .LBB33_276
; %bb.267:
	s_andn2_b64 vcc, exec, s[8:9]
	s_cbranch_vccnz .LBB33_269
; %bb.268:
	buffer_load_dword v75, v71, s[0:3], 0 offen
	ds_read_b32 v76, v70
	s_waitcnt vmcnt(0) lgkmcnt(0)
	v_mul_f32_e32 v75, v75, v76
	s_cbranch_execz .LBB33_270
	s_branch .LBB33_271
.LBB33_269:
                                        ; implicit-def: $vgpr75
.LBB33_270:
	ds_read_b32 v75, v70
.LBB33_271:
	s_and_saveexec_b64 s[12:13], s[4:5]
	s_cbranch_execz .LBB33_275
; %bb.272:
	v_add_u32_e32 v76, -6, v0
	s_movk_i32 s14, 0xa8
	s_mov_b64 s[4:5], 0
.LBB33_273:                             ; =>This Inner Loop Header: Depth=1
	buffer_load_dword v77, v74, s[0:3], 0 offen
	v_mov_b32_e32 v78, s14
	ds_read_b32 v78, v78
	v_add_u32_e32 v76, -1, v76
	s_add_i32 s14, s14, 4
	v_cmp_eq_u32_e32 vcc, 0, v76
	v_add_u32_e32 v74, 4, v74
	s_or_b64 s[4:5], vcc, s[4:5]
	s_waitcnt vmcnt(0) lgkmcnt(0)
	v_fmac_f32_e32 v75, v77, v78
	s_andn2_b64 exec, exec, s[4:5]
	s_cbranch_execnz .LBB33_273
; %bb.274:
	s_or_b64 exec, exec, s[4:5]
.LBB33_275:
	s_or_b64 exec, exec, s[12:13]
	v_mov_b32_e32 v74, 0
	ds_read_b32 v74, v74 offset:20
	s_waitcnt lgkmcnt(0)
	v_mul_f32_e32 v74, v75, v74
	buffer_store_dword v74, off, s[0:3], 0 offset:20
.LBB33_276:
	s_or_b64 exec, exec, s[10:11]
	buffer_load_dword v74, off, s[0:3], 0 offset:16
	v_cmp_lt_u32_e64 s[4:5], 4, v0
	s_waitcnt vmcnt(0)
	ds_write_b32 v70, v74
	s_waitcnt lgkmcnt(0)
	; wave barrier
	s_waitcnt lgkmcnt(0)
	s_and_saveexec_b64 s[10:11], s[4:5]
	s_cbranch_execz .LBB33_286
; %bb.277:
	s_andn2_b64 vcc, exec, s[8:9]
	s_cbranch_vccnz .LBB33_279
; %bb.278:
	buffer_load_dword v74, v71, s[0:3], 0 offen
	ds_read_b32 v75, v70
	s_waitcnt vmcnt(0) lgkmcnt(0)
	v_mul_f32_e32 v74, v74, v75
	s_cbranch_execz .LBB33_280
	s_branch .LBB33_281
.LBB33_279:
                                        ; implicit-def: $vgpr74
.LBB33_280:
	ds_read_b32 v74, v70
.LBB33_281:
	s_and_saveexec_b64 s[12:13], s[6:7]
	s_cbranch_execz .LBB33_285
; %bb.282:
	v_mov_b32_e32 v75, 0
	v_add_u32_e32 v75, 20, v75
	v_add_u32_e32 v76, -5, v0
	s_movk_i32 s14, 0xa4
	s_mov_b64 s[6:7], 0
.LBB33_283:                             ; =>This Inner Loop Header: Depth=1
	buffer_load_dword v77, v75, s[0:3], 0 offen
	v_mov_b32_e32 v78, s14
	ds_read_b32 v78, v78
	v_add_u32_e32 v76, -1, v76
	s_add_i32 s14, s14, 4
	v_cmp_eq_u32_e32 vcc, 0, v76
	v_add_u32_e32 v75, 4, v75
	s_or_b64 s[6:7], vcc, s[6:7]
	s_waitcnt vmcnt(0) lgkmcnt(0)
	v_fmac_f32_e32 v74, v77, v78
	s_andn2_b64 exec, exec, s[6:7]
	s_cbranch_execnz .LBB33_283
; %bb.284:
	s_or_b64 exec, exec, s[6:7]
.LBB33_285:
	s_or_b64 exec, exec, s[12:13]
	v_mov_b32_e32 v75, 0
	ds_read_b32 v75, v75 offset:16
	s_waitcnt lgkmcnt(0)
	v_mul_f32_e32 v74, v74, v75
	buffer_store_dword v74, off, s[0:3], 0 offset:16
.LBB33_286:
	s_or_b64 exec, exec, s[10:11]
	buffer_load_dword v74, off, s[0:3], 0 offset:12
	v_cmp_lt_u32_e64 s[6:7], 3, v0
	s_waitcnt vmcnt(0)
	ds_write_b32 v70, v74
	s_waitcnt lgkmcnt(0)
	; wave barrier
	s_waitcnt lgkmcnt(0)
	s_and_saveexec_b64 s[10:11], s[6:7]
	s_cbranch_execz .LBB33_296
; %bb.287:
	s_andn2_b64 vcc, exec, s[8:9]
	s_cbranch_vccnz .LBB33_289
; %bb.288:
	buffer_load_dword v74, v71, s[0:3], 0 offen
	ds_read_b32 v75, v70
	s_waitcnt vmcnt(0) lgkmcnt(0)
	v_mul_f32_e32 v74, v74, v75
	s_cbranch_execz .LBB33_290
	s_branch .LBB33_291
.LBB33_289:
                                        ; implicit-def: $vgpr74
.LBB33_290:
	ds_read_b32 v74, v70
.LBB33_291:
	s_and_saveexec_b64 s[12:13], s[4:5]
	s_cbranch_execz .LBB33_295
; %bb.292:
	v_add_u32_e32 v75, -4, v0
	s_movk_i32 s14, 0xa0
	s_mov_b64 s[4:5], 0
.LBB33_293:                             ; =>This Inner Loop Header: Depth=1
	buffer_load_dword v76, v73, s[0:3], 0 offen
	v_mov_b32_e32 v77, s14
	ds_read_b32 v77, v77
	v_add_u32_e32 v75, -1, v75
	s_add_i32 s14, s14, 4
	v_cmp_eq_u32_e32 vcc, 0, v75
	v_add_u32_e32 v73, 4, v73
	s_or_b64 s[4:5], vcc, s[4:5]
	s_waitcnt vmcnt(0) lgkmcnt(0)
	v_fmac_f32_e32 v74, v76, v77
	s_andn2_b64 exec, exec, s[4:5]
	s_cbranch_execnz .LBB33_293
; %bb.294:
	s_or_b64 exec, exec, s[4:5]
.LBB33_295:
	s_or_b64 exec, exec, s[12:13]
	v_mov_b32_e32 v73, 0
	ds_read_b32 v73, v73 offset:12
	s_waitcnt lgkmcnt(0)
	v_mul_f32_e32 v73, v74, v73
	buffer_store_dword v73, off, s[0:3], 0 offset:12
.LBB33_296:
	s_or_b64 exec, exec, s[10:11]
	buffer_load_dword v73, off, s[0:3], 0 offset:8
	v_cmp_lt_u32_e64 s[4:5], 2, v0
	s_waitcnt vmcnt(0)
	ds_write_b32 v70, v73
	s_waitcnt lgkmcnt(0)
	; wave barrier
	s_waitcnt lgkmcnt(0)
	s_and_saveexec_b64 s[10:11], s[4:5]
	s_cbranch_execz .LBB33_306
; %bb.297:
	s_andn2_b64 vcc, exec, s[8:9]
	s_cbranch_vccnz .LBB33_299
; %bb.298:
	buffer_load_dword v73, v71, s[0:3], 0 offen
	ds_read_b32 v74, v70
	s_waitcnt vmcnt(0) lgkmcnt(0)
	v_mul_f32_e32 v73, v73, v74
	s_cbranch_execz .LBB33_300
	s_branch .LBB33_301
.LBB33_299:
                                        ; implicit-def: $vgpr73
.LBB33_300:
	ds_read_b32 v73, v70
.LBB33_301:
	s_and_saveexec_b64 s[12:13], s[6:7]
	s_cbranch_execz .LBB33_305
; %bb.302:
	v_mov_b32_e32 v74, 0
	v_or_b32_e32 v74, 12, v74
	v_add_u32_e32 v75, -3, v0
	s_movk_i32 s14, 0x9c
	s_mov_b64 s[6:7], 0
.LBB33_303:                             ; =>This Inner Loop Header: Depth=1
	buffer_load_dword v76, v74, s[0:3], 0 offen
	v_mov_b32_e32 v77, s14
	ds_read_b32 v77, v77
	v_add_u32_e32 v75, -1, v75
	s_add_i32 s14, s14, 4
	v_cmp_eq_u32_e32 vcc, 0, v75
	v_add_u32_e32 v74, 4, v74
	s_or_b64 s[6:7], vcc, s[6:7]
	s_waitcnt vmcnt(0) lgkmcnt(0)
	v_fmac_f32_e32 v73, v76, v77
	s_andn2_b64 exec, exec, s[6:7]
	s_cbranch_execnz .LBB33_303
; %bb.304:
	s_or_b64 exec, exec, s[6:7]
.LBB33_305:
	s_or_b64 exec, exec, s[12:13]
	v_mov_b32_e32 v74, 0
	ds_read_b32 v74, v74 offset:8
	s_waitcnt lgkmcnt(0)
	v_mul_f32_e32 v73, v73, v74
	buffer_store_dword v73, off, s[0:3], 0 offset:8
.LBB33_306:
	s_or_b64 exec, exec, s[10:11]
	buffer_load_dword v73, off, s[0:3], 0 offset:4
	v_cmp_lt_u32_e64 s[6:7], 1, v0
	s_waitcnt vmcnt(0)
	ds_write_b32 v70, v73
	s_waitcnt lgkmcnt(0)
	; wave barrier
	s_waitcnt lgkmcnt(0)
	s_and_saveexec_b64 s[10:11], s[6:7]
	s_cbranch_execz .LBB33_316
; %bb.307:
	s_andn2_b64 vcc, exec, s[8:9]
	s_cbranch_vccnz .LBB33_309
; %bb.308:
	buffer_load_dword v73, v71, s[0:3], 0 offen
	ds_read_b32 v74, v70
	s_waitcnt vmcnt(0) lgkmcnt(0)
	v_mul_f32_e32 v73, v73, v74
	s_cbranch_execz .LBB33_310
	s_branch .LBB33_311
.LBB33_309:
                                        ; implicit-def: $vgpr73
.LBB33_310:
	ds_read_b32 v73, v70
.LBB33_311:
	s_and_saveexec_b64 s[12:13], s[4:5]
	s_cbranch_execz .LBB33_315
; %bb.312:
	v_add_u32_e32 v74, -2, v0
	s_movk_i32 s14, 0x98
	s_mov_b64 s[4:5], 0
.LBB33_313:                             ; =>This Inner Loop Header: Depth=1
	buffer_load_dword v75, v72, s[0:3], 0 offen
	v_mov_b32_e32 v76, s14
	ds_read_b32 v76, v76
	v_add_u32_e32 v74, -1, v74
	s_add_i32 s14, s14, 4
	v_cmp_eq_u32_e32 vcc, 0, v74
	v_add_u32_e32 v72, 4, v72
	s_or_b64 s[4:5], vcc, s[4:5]
	s_waitcnt vmcnt(0) lgkmcnt(0)
	v_fmac_f32_e32 v73, v75, v76
	s_andn2_b64 exec, exec, s[4:5]
	s_cbranch_execnz .LBB33_313
; %bb.314:
	s_or_b64 exec, exec, s[4:5]
.LBB33_315:
	s_or_b64 exec, exec, s[12:13]
	v_mov_b32_e32 v72, 0
	ds_read_b32 v72, v72 offset:4
	s_waitcnt lgkmcnt(0)
	v_mul_f32_e32 v72, v73, v72
	buffer_store_dword v72, off, s[0:3], 0 offset:4
.LBB33_316:
	s_or_b64 exec, exec, s[10:11]
	buffer_load_dword v72, off, s[0:3], 0
	v_cmp_ne_u32_e32 vcc, 0, v0
	s_waitcnt vmcnt(0)
	ds_write_b32 v70, v72
	s_waitcnt lgkmcnt(0)
	; wave barrier
	s_waitcnt lgkmcnt(0)
	s_and_saveexec_b64 s[4:5], vcc
	s_cbranch_execz .LBB33_326
; %bb.317:
	s_andn2_b64 vcc, exec, s[8:9]
	s_cbranch_vccnz .LBB33_319
; %bb.318:
	buffer_load_dword v72, v71, s[0:3], 0 offen
	ds_read_b32 v73, v70
	s_waitcnt vmcnt(0) lgkmcnt(0)
	v_mul_f32_e32 v72, v72, v73
	s_cbranch_execz .LBB33_320
	s_branch .LBB33_321
.LBB33_319:
                                        ; implicit-def: $vgpr72
.LBB33_320:
	ds_read_b32 v72, v70
.LBB33_321:
	s_and_saveexec_b64 s[10:11], s[6:7]
	s_cbranch_execz .LBB33_325
; %bb.322:
	v_mov_b32_e32 v73, 0
	v_or_b32_e32 v73, 4, v73
	v_add_u32_e32 v74, -1, v0
	s_movk_i32 s12, 0x94
	s_mov_b64 s[6:7], 0
.LBB33_323:                             ; =>This Inner Loop Header: Depth=1
	buffer_load_dword v75, v73, s[0:3], 0 offen
	v_mov_b32_e32 v76, s12
	ds_read_b32 v76, v76
	v_add_u32_e32 v74, -1, v74
	s_add_i32 s12, s12, 4
	v_cmp_eq_u32_e32 vcc, 0, v74
	v_add_u32_e32 v73, 4, v73
	s_or_b64 s[6:7], vcc, s[6:7]
	s_waitcnt vmcnt(0) lgkmcnt(0)
	v_fmac_f32_e32 v72, v75, v76
	s_andn2_b64 exec, exec, s[6:7]
	s_cbranch_execnz .LBB33_323
; %bb.324:
	s_or_b64 exec, exec, s[6:7]
.LBB33_325:
	s_or_b64 exec, exec, s[10:11]
	v_mov_b32_e32 v73, 0
	ds_read_b32 v73, v73
	s_waitcnt lgkmcnt(0)
	v_mul_f32_e32 v72, v72, v73
	buffer_store_dword v72, off, s[0:3], 0
.LBB33_326:
	s_or_b64 exec, exec, s[4:5]
	s_mov_b64 s[4:5], 0
.LBB33_327:
	s_and_b64 vcc, exec, s[4:5]
	s_cbranch_vccz .LBB33_651
; %bb.328:
	buffer_load_dword v72, off, s[0:3], 0 offset:4
	v_cmp_eq_u32_e64 s[6:7], 0, v0
	s_waitcnt vmcnt(0)
	ds_write_b32 v70, v72
	s_waitcnt lgkmcnt(0)
	; wave barrier
	s_waitcnt lgkmcnt(0)
	s_and_saveexec_b64 s[4:5], s[6:7]
	s_cbranch_execz .LBB33_334
; %bb.329:
	s_and_b64 vcc, exec, s[8:9]
	s_cbranch_vccz .LBB33_331
; %bb.330:
	buffer_load_dword v72, v71, s[0:3], 0 offen
	ds_read_b32 v73, v70
	s_waitcnt vmcnt(0) lgkmcnt(0)
	v_mul_f32_e32 v72, v72, v73
	s_cbranch_execz .LBB33_332
	s_branch .LBB33_333
.LBB33_331:
                                        ; implicit-def: $vgpr72
.LBB33_332:
	ds_read_b32 v72, v70
.LBB33_333:
	v_mov_b32_e32 v73, 0
	ds_read_b32 v73, v73 offset:4
	s_waitcnt lgkmcnt(0)
	v_mul_f32_e32 v72, v72, v73
	buffer_store_dword v72, off, s[0:3], 0 offset:4
.LBB33_334:
	s_or_b64 exec, exec, s[4:5]
	buffer_load_dword v72, off, s[0:3], 0 offset:8
	v_cndmask_b32_e64 v73, 0, 1, s[8:9]
	v_cmp_gt_u32_e32 vcc, 2, v0
	v_cmp_ne_u32_e64 s[4:5], 1, v73
	s_waitcnt vmcnt(0)
	ds_write_b32 v70, v72
	s_waitcnt lgkmcnt(0)
	; wave barrier
	s_waitcnt lgkmcnt(0)
	s_and_saveexec_b64 s[8:9], vcc
	s_cbranch_execz .LBB33_342
; %bb.335:
	s_and_b64 vcc, exec, s[4:5]
	s_cbranch_vccnz .LBB33_337
; %bb.336:
	buffer_load_dword v72, v71, s[0:3], 0 offen
	ds_read_b32 v73, v70
	s_waitcnt vmcnt(0) lgkmcnt(0)
	v_mul_f32_e32 v72, v72, v73
	s_cbranch_execz .LBB33_338
	s_branch .LBB33_339
.LBB33_337:
                                        ; implicit-def: $vgpr72
.LBB33_338:
	ds_read_b32 v72, v70
.LBB33_339:
	s_and_saveexec_b64 s[10:11], s[6:7]
	s_cbranch_execz .LBB33_341
; %bb.340:
	buffer_load_dword v73, v71, s[0:3], 0 offen offset:4
	ds_read_b32 v74, v70 offset:4
	s_waitcnt vmcnt(0) lgkmcnt(0)
	v_fmac_f32_e32 v72, v73, v74
.LBB33_341:
	s_or_b64 exec, exec, s[10:11]
	v_mov_b32_e32 v73, 0
	ds_read_b32 v73, v73 offset:8
	s_waitcnt lgkmcnt(0)
	v_mul_f32_e32 v72, v72, v73
	buffer_store_dword v72, off, s[0:3], 0 offset:8
.LBB33_342:
	s_or_b64 exec, exec, s[8:9]
	buffer_load_dword v72, off, s[0:3], 0 offset:12
	v_cmp_gt_u32_e32 vcc, 3, v0
	s_waitcnt vmcnt(0)
	ds_write_b32 v70, v72
	s_waitcnt lgkmcnt(0)
	; wave barrier
	s_waitcnt lgkmcnt(0)
	s_and_saveexec_b64 s[8:9], vcc
	s_cbranch_execz .LBB33_350
; %bb.343:
	s_and_b64 vcc, exec, s[4:5]
	s_cbranch_vccnz .LBB33_345
; %bb.344:
	buffer_load_dword v72, v71, s[0:3], 0 offen
	ds_read_b32 v73, v70
	s_waitcnt vmcnt(0) lgkmcnt(0)
	v_mul_f32_e32 v72, v72, v73
	s_cbranch_execz .LBB33_346
	s_branch .LBB33_347
.LBB33_345:
                                        ; implicit-def: $vgpr72
.LBB33_346:
	ds_read_b32 v72, v70
.LBB33_347:
	v_cmp_ne_u32_e32 vcc, 2, v0
	s_and_saveexec_b64 s[10:11], vcc
	s_cbranch_execz .LBB33_349
; %bb.348:
	buffer_load_dword v73, v71, s[0:3], 0 offen offset:4
	buffer_load_dword v74, off, s[0:3], 0 offset:8
	v_mov_b32_e32 v75, 0
	ds_read_b32 v76, v70 offset:4
	ds_read_b32 v75, v75 offset:152
	s_waitcnt vmcnt(1) lgkmcnt(1)
	v_fmac_f32_e32 v72, v73, v76
	s_waitcnt vmcnt(0) lgkmcnt(0)
	v_fma_f32 v73, v74, v75, v72
	v_cndmask_b32_e64 v72, v72, v73, s[6:7]
.LBB33_349:
	s_or_b64 exec, exec, s[10:11]
	v_mov_b32_e32 v73, 0
	ds_read_b32 v73, v73 offset:12
	s_waitcnt lgkmcnt(0)
	v_mul_f32_e32 v72, v72, v73
	buffer_store_dword v72, off, s[0:3], 0 offset:12
.LBB33_350:
	s_or_b64 exec, exec, s[8:9]
	buffer_load_dword v72, off, s[0:3], 0 offset:16
	v_cmp_gt_u32_e32 vcc, 4, v0
	s_waitcnt vmcnt(0)
	ds_write_b32 v70, v72
	s_waitcnt lgkmcnt(0)
	; wave barrier
	s_waitcnt lgkmcnt(0)
	s_and_saveexec_b64 s[6:7], vcc
	s_cbranch_execz .LBB33_360
; %bb.351:
	s_and_b64 vcc, exec, s[4:5]
	s_cbranch_vccnz .LBB33_353
; %bb.352:
	buffer_load_dword v72, v71, s[0:3], 0 offen
	ds_read_b32 v73, v70
	s_waitcnt vmcnt(0) lgkmcnt(0)
	v_mul_f32_e32 v72, v72, v73
	s_cbranch_execz .LBB33_354
	s_branch .LBB33_355
.LBB33_353:
                                        ; implicit-def: $vgpr72
.LBB33_354:
	ds_read_b32 v72, v70
.LBB33_355:
	v_cmp_ne_u32_e32 vcc, 3, v0
	s_and_saveexec_b64 s[8:9], vcc
	s_cbranch_execz .LBB33_359
; %bb.356:
	v_mov_b32_e32 v74, 0
	v_add_u32_e32 v73, 0x94, v1
	v_add3_u32 v74, v1, v74, 4
	s_mov_b64 s[10:11], 0
	v_mov_b32_e32 v75, v0
.LBB33_357:                             ; =>This Inner Loop Header: Depth=1
	buffer_load_dword v76, v74, s[0:3], 0 offen
	ds_read_b32 v77, v73
	v_add_u32_e32 v75, 1, v75
	v_cmp_lt_u32_e32 vcc, 2, v75
	v_add_u32_e32 v73, 4, v73
	v_add_u32_e32 v74, 4, v74
	s_or_b64 s[10:11], vcc, s[10:11]
	s_waitcnt vmcnt(0) lgkmcnt(0)
	v_fmac_f32_e32 v72, v76, v77
	s_andn2_b64 exec, exec, s[10:11]
	s_cbranch_execnz .LBB33_357
; %bb.358:
	s_or_b64 exec, exec, s[10:11]
.LBB33_359:
	s_or_b64 exec, exec, s[8:9]
	v_mov_b32_e32 v73, 0
	ds_read_b32 v73, v73 offset:16
	s_waitcnt lgkmcnt(0)
	v_mul_f32_e32 v72, v72, v73
	buffer_store_dword v72, off, s[0:3], 0 offset:16
.LBB33_360:
	s_or_b64 exec, exec, s[6:7]
	buffer_load_dword v72, off, s[0:3], 0 offset:20
	v_cmp_gt_u32_e32 vcc, 5, v0
	s_waitcnt vmcnt(0)
	ds_write_b32 v70, v72
	s_waitcnt lgkmcnt(0)
	; wave barrier
	s_waitcnt lgkmcnt(0)
	s_and_saveexec_b64 s[6:7], vcc
	s_cbranch_execz .LBB33_370
; %bb.361:
	s_and_b64 vcc, exec, s[4:5]
	s_cbranch_vccnz .LBB33_363
; %bb.362:
	buffer_load_dword v72, v71, s[0:3], 0 offen
	ds_read_b32 v73, v70
	s_waitcnt vmcnt(0) lgkmcnt(0)
	v_mul_f32_e32 v72, v72, v73
	s_cbranch_execz .LBB33_364
	s_branch .LBB33_365
.LBB33_363:
                                        ; implicit-def: $vgpr72
.LBB33_364:
	ds_read_b32 v72, v70
.LBB33_365:
	v_cmp_ne_u32_e32 vcc, 4, v0
	s_and_saveexec_b64 s[8:9], vcc
	s_cbranch_execz .LBB33_369
; %bb.366:
	v_mov_b32_e32 v74, 0
	v_add_u32_e32 v73, 0x94, v1
	v_add3_u32 v74, v1, v74, 4
	s_mov_b64 s[10:11], 0
	v_mov_b32_e32 v75, v0
.LBB33_367:                             ; =>This Inner Loop Header: Depth=1
	buffer_load_dword v76, v74, s[0:3], 0 offen
	ds_read_b32 v77, v73
	v_add_u32_e32 v75, 1, v75
	v_cmp_lt_u32_e32 vcc, 3, v75
	v_add_u32_e32 v73, 4, v73
	v_add_u32_e32 v74, 4, v74
	s_or_b64 s[10:11], vcc, s[10:11]
	s_waitcnt vmcnt(0) lgkmcnt(0)
	v_fmac_f32_e32 v72, v76, v77
	s_andn2_b64 exec, exec, s[10:11]
	s_cbranch_execnz .LBB33_367
; %bb.368:
	s_or_b64 exec, exec, s[10:11]
.LBB33_369:
	s_or_b64 exec, exec, s[8:9]
	v_mov_b32_e32 v73, 0
	ds_read_b32 v73, v73 offset:20
	s_waitcnt lgkmcnt(0)
	v_mul_f32_e32 v72, v72, v73
	buffer_store_dword v72, off, s[0:3], 0 offset:20
.LBB33_370:
	;; [unrolled: 56-line block ×28, first 2 shown]
	s_or_b64 exec, exec, s[6:7]
	buffer_load_dword v72, off, s[0:3], 0 offset:128
	v_cmp_gt_u32_e64 s[6:7], 32, v0
	s_waitcnt vmcnt(0)
	ds_write_b32 v70, v72
	s_waitcnt lgkmcnt(0)
	; wave barrier
	s_waitcnt lgkmcnt(0)
	s_and_saveexec_b64 s[8:9], s[6:7]
	s_cbranch_execz .LBB33_640
; %bb.631:
	s_and_b64 vcc, exec, s[4:5]
	s_cbranch_vccnz .LBB33_633
; %bb.632:
	buffer_load_dword v72, v71, s[0:3], 0 offen
	ds_read_b32 v73, v70
	s_waitcnt vmcnt(0) lgkmcnt(0)
	v_mul_f32_e32 v72, v72, v73
	s_cbranch_execz .LBB33_634
	s_branch .LBB33_635
.LBB33_633:
                                        ; implicit-def: $vgpr72
.LBB33_634:
	ds_read_b32 v72, v70
.LBB33_635:
	v_cmp_ne_u32_e32 vcc, 31, v0
	s_and_saveexec_b64 s[10:11], vcc
	s_cbranch_execz .LBB33_639
; %bb.636:
	v_mov_b32_e32 v74, 0
	v_add_u32_e32 v73, 0x94, v1
	v_add3_u32 v74, v1, v74, 4
	s_mov_b64 s[12:13], 0
	v_mov_b32_e32 v75, v0
.LBB33_637:                             ; =>This Inner Loop Header: Depth=1
	buffer_load_dword v76, v74, s[0:3], 0 offen
	ds_read_b32 v77, v73
	v_add_u32_e32 v75, 1, v75
	v_cmp_lt_u32_e32 vcc, 30, v75
	v_add_u32_e32 v73, 4, v73
	v_add_u32_e32 v74, 4, v74
	s_or_b64 s[12:13], vcc, s[12:13]
	s_waitcnt vmcnt(0) lgkmcnt(0)
	v_fmac_f32_e32 v72, v76, v77
	s_andn2_b64 exec, exec, s[12:13]
	s_cbranch_execnz .LBB33_637
; %bb.638:
	s_or_b64 exec, exec, s[12:13]
.LBB33_639:
	s_or_b64 exec, exec, s[10:11]
	v_mov_b32_e32 v73, 0
	ds_read_b32 v73, v73 offset:128
	s_waitcnt lgkmcnt(0)
	v_mul_f32_e32 v72, v72, v73
	buffer_store_dword v72, off, s[0:3], 0 offset:128
.LBB33_640:
	s_or_b64 exec, exec, s[8:9]
	buffer_load_dword v72, off, s[0:3], 0 offset:132
	v_cmp_ne_u32_e32 vcc, 33, v0
	s_waitcnt vmcnt(0)
	ds_write_b32 v70, v72
	s_waitcnt lgkmcnt(0)
	; wave barrier
	s_waitcnt lgkmcnt(0)
	s_and_saveexec_b64 s[8:9], vcc
	s_cbranch_execz .LBB33_650
; %bb.641:
	s_and_b64 vcc, exec, s[4:5]
	s_cbranch_vccnz .LBB33_643
; %bb.642:
	buffer_load_dword v71, v71, s[0:3], 0 offen
	ds_read_b32 v72, v70
	s_waitcnt vmcnt(0) lgkmcnt(0)
	v_mul_f32_e32 v71, v71, v72
	s_cbranch_execz .LBB33_644
	s_branch .LBB33_645
.LBB33_643:
                                        ; implicit-def: $vgpr71
.LBB33_644:
	ds_read_b32 v71, v70
.LBB33_645:
	s_and_saveexec_b64 s[4:5], s[6:7]
	s_cbranch_execz .LBB33_649
; %bb.646:
	v_mov_b32_e32 v72, 0
	v_add_u32_e32 v70, 0x94, v1
	v_add3_u32 v1, v1, v72, 4
	s_mov_b64 s[6:7], 0
.LBB33_647:                             ; =>This Inner Loop Header: Depth=1
	buffer_load_dword v72, v1, s[0:3], 0 offen
	ds_read_b32 v73, v70
	v_add_u32_e32 v0, 1, v0
	v_cmp_lt_u32_e32 vcc, 31, v0
	v_add_u32_e32 v70, 4, v70
	v_add_u32_e32 v1, 4, v1
	s_or_b64 s[6:7], vcc, s[6:7]
	s_waitcnt vmcnt(0) lgkmcnt(0)
	v_fmac_f32_e32 v71, v72, v73
	s_andn2_b64 exec, exec, s[6:7]
	s_cbranch_execnz .LBB33_647
; %bb.648:
	s_or_b64 exec, exec, s[6:7]
.LBB33_649:
	s_or_b64 exec, exec, s[4:5]
	v_mov_b32_e32 v0, 0
	ds_read_b32 v0, v0 offset:132
	s_waitcnt lgkmcnt(0)
	v_mul_f32_e32 v0, v71, v0
	buffer_store_dword v0, off, s[0:3], 0 offset:132
.LBB33_650:
	s_or_b64 exec, exec, s[8:9]
.LBB33_651:
	buffer_load_dword v0, off, s[0:3], 0
	buffer_load_dword v1, off, s[0:3], 0 offset:4
	buffer_load_dword v70, off, s[0:3], 0 offset:8
	;; [unrolled: 1-line block ×23, first 2 shown]
	s_waitcnt vmcnt(23)
	global_store_dword v[52:53], v0, off
	s_waitcnt vmcnt(23)
	global_store_dword v[54:55], v1, off
	;; [unrolled: 2-line block ×3, first 2 shown]
	buffer_load_dword v0, off, s[0:3], 0 offset:96
	buffer_load_dword v1, off, s[0:3], 0 offset:100
	s_nop 0
	buffer_load_dword v4, off, s[0:3], 0 offset:104
	buffer_load_dword v5, off, s[0:3], 0 offset:108
	;; [unrolled: 1-line block ×6, first 2 shown]
	s_waitcnt vmcnt(31)
	global_store_dword v[2:3], v71, off
	buffer_load_dword v2, off, s[0:3], 0 offset:128
	s_nop 0
	buffer_load_dword v3, off, s[0:3], 0 offset:132
	s_waitcnt vmcnt(33)
	global_store_dword v[6:7], v72, off
	s_waitcnt vmcnt(33)
	global_store_dword v[8:9], v73, off
	;; [unrolled: 2-line block ×30, first 2 shown]
.LBB33_652:
	s_endpgm
	.section	.rodata,"a",@progbits
	.p2align	6, 0x0
	.amdhsa_kernel _ZN9rocsolver6v33100L18trti2_kernel_smallILi34EfPfEEv13rocblas_fill_17rocblas_diagonal_T1_iil
		.amdhsa_group_segment_fixed_size 280
		.amdhsa_private_segment_fixed_size 144
		.amdhsa_kernarg_size 32
		.amdhsa_user_sgpr_count 8
		.amdhsa_user_sgpr_private_segment_buffer 1
		.amdhsa_user_sgpr_dispatch_ptr 0
		.amdhsa_user_sgpr_queue_ptr 0
		.amdhsa_user_sgpr_kernarg_segment_ptr 1
		.amdhsa_user_sgpr_dispatch_id 0
		.amdhsa_user_sgpr_flat_scratch_init 1
		.amdhsa_user_sgpr_kernarg_preload_length 0
		.amdhsa_user_sgpr_kernarg_preload_offset 0
		.amdhsa_user_sgpr_private_segment_size 0
		.amdhsa_uses_dynamic_stack 0
		.amdhsa_system_sgpr_private_segment_wavefront_offset 1
		.amdhsa_system_sgpr_workgroup_id_x 1
		.amdhsa_system_sgpr_workgroup_id_y 0
		.amdhsa_system_sgpr_workgroup_id_z 0
		.amdhsa_system_sgpr_workgroup_info 0
		.amdhsa_system_vgpr_workitem_id 0
		.amdhsa_next_free_vgpr 92
		.amdhsa_next_free_sgpr 20
		.amdhsa_accum_offset 92
		.amdhsa_reserve_vcc 1
		.amdhsa_reserve_flat_scratch 0
		.amdhsa_float_round_mode_32 0
		.amdhsa_float_round_mode_16_64 0
		.amdhsa_float_denorm_mode_32 3
		.amdhsa_float_denorm_mode_16_64 3
		.amdhsa_dx10_clamp 1
		.amdhsa_ieee_mode 1
		.amdhsa_fp16_overflow 0
		.amdhsa_tg_split 0
		.amdhsa_exception_fp_ieee_invalid_op 0
		.amdhsa_exception_fp_denorm_src 0
		.amdhsa_exception_fp_ieee_div_zero 0
		.amdhsa_exception_fp_ieee_overflow 0
		.amdhsa_exception_fp_ieee_underflow 0
		.amdhsa_exception_fp_ieee_inexact 0
		.amdhsa_exception_int_div_zero 0
	.end_amdhsa_kernel
	.section	.text._ZN9rocsolver6v33100L18trti2_kernel_smallILi34EfPfEEv13rocblas_fill_17rocblas_diagonal_T1_iil,"axG",@progbits,_ZN9rocsolver6v33100L18trti2_kernel_smallILi34EfPfEEv13rocblas_fill_17rocblas_diagonal_T1_iil,comdat
.Lfunc_end33:
	.size	_ZN9rocsolver6v33100L18trti2_kernel_smallILi34EfPfEEv13rocblas_fill_17rocblas_diagonal_T1_iil, .Lfunc_end33-_ZN9rocsolver6v33100L18trti2_kernel_smallILi34EfPfEEv13rocblas_fill_17rocblas_diagonal_T1_iil
                                        ; -- End function
	.section	.AMDGPU.csdata,"",@progbits
; Kernel info:
; codeLenInByte = 16480
; NumSgprs: 24
; NumVgprs: 92
; NumAgprs: 0
; TotalNumVgprs: 92
; ScratchSize: 144
; MemoryBound: 0
; FloatMode: 240
; IeeeMode: 1
; LDSByteSize: 280 bytes/workgroup (compile time only)
; SGPRBlocks: 2
; VGPRBlocks: 11
; NumSGPRsForWavesPerEU: 24
; NumVGPRsForWavesPerEU: 92
; AccumOffset: 92
; Occupancy: 5
; WaveLimiterHint : 0
; COMPUTE_PGM_RSRC2:SCRATCH_EN: 1
; COMPUTE_PGM_RSRC2:USER_SGPR: 8
; COMPUTE_PGM_RSRC2:TRAP_HANDLER: 0
; COMPUTE_PGM_RSRC2:TGID_X_EN: 1
; COMPUTE_PGM_RSRC2:TGID_Y_EN: 0
; COMPUTE_PGM_RSRC2:TGID_Z_EN: 0
; COMPUTE_PGM_RSRC2:TIDIG_COMP_CNT: 0
; COMPUTE_PGM_RSRC3_GFX90A:ACCUM_OFFSET: 22
; COMPUTE_PGM_RSRC3_GFX90A:TG_SPLIT: 0
	.section	.text._ZN9rocsolver6v33100L18trti2_kernel_smallILi35EfPfEEv13rocblas_fill_17rocblas_diagonal_T1_iil,"axG",@progbits,_ZN9rocsolver6v33100L18trti2_kernel_smallILi35EfPfEEv13rocblas_fill_17rocblas_diagonal_T1_iil,comdat
	.globl	_ZN9rocsolver6v33100L18trti2_kernel_smallILi35EfPfEEv13rocblas_fill_17rocblas_diagonal_T1_iil ; -- Begin function _ZN9rocsolver6v33100L18trti2_kernel_smallILi35EfPfEEv13rocblas_fill_17rocblas_diagonal_T1_iil
	.p2align	8
	.type	_ZN9rocsolver6v33100L18trti2_kernel_smallILi35EfPfEEv13rocblas_fill_17rocblas_diagonal_T1_iil,@function
_ZN9rocsolver6v33100L18trti2_kernel_smallILi35EfPfEEv13rocblas_fill_17rocblas_diagonal_T1_iil: ; @_ZN9rocsolver6v33100L18trti2_kernel_smallILi35EfPfEEv13rocblas_fill_17rocblas_diagonal_T1_iil
; %bb.0:
	s_add_u32 s0, s0, s9
	s_addc_u32 s1, s1, 0
	v_cmp_gt_u32_e32 vcc, 35, v0
	s_and_saveexec_b64 s[6:7], vcc
	s_cbranch_execz .LBB34_672
; %bb.1:
	s_load_dwordx8 s[12:19], s[4:5], 0x0
	s_ashr_i32 s6, s8, 31
	v_lshlrev_b32_e32 v1, 2, v0
	v_mov_b32_e32 v89, 0
	s_waitcnt lgkmcnt(0)
	s_mul_i32 s7, s8, s19
	s_mul_hi_u32 s9, s8, s18
	s_add_i32 s7, s9, s7
	s_mul_i32 s6, s6, s18
	s_add_i32 s7, s7, s6
	s_mul_i32 s6, s8, s18
	s_ashr_i32 s5, s16, 31
	s_lshl_b64 s[6:7], s[6:7], 2
	s_mov_b32 s4, s16
	s_add_u32 s6, s14, s6
	s_addc_u32 s7, s15, s7
	s_lshl_b64 s[4:5], s[4:5], 2
	s_add_u32 s4, s6, s4
	s_addc_u32 s5, s7, s5
	v_mov_b32_e32 v2, s5
	v_add_co_u32_e32 v4, vcc, s4, v1
	s_ashr_i32 s7, s17, 31
	s_mov_b32 s6, s17
	v_addc_co_u32_e32 v5, vcc, 0, v2, vcc
	s_lshl_b64 s[6:7], s[6:7], 2
	v_add_co_u32_e32 v2, vcc, s6, v4
	s_add_i32 s6, s17, s17
	v_add_u32_e32 v8, s6, v0
	v_mov_b32_e32 v3, s7
	v_ashrrev_i32_e32 v9, 31, v8
	v_addc_co_u32_e32 v3, vcc, v5, v3, vcc
	v_lshlrev_b64 v[6:7], 2, v[8:9]
	v_add_u32_e32 v10, s17, v8
	v_mov_b32_e32 v9, s5
	v_add_co_u32_e32 v6, vcc, s4, v6
	v_ashrrev_i32_e32 v11, 31, v10
	v_addc_co_u32_e32 v7, vcc, v9, v7, vcc
	v_lshlrev_b64 v[8:9], 2, v[10:11]
	v_add_u32_e32 v12, s17, v10
	v_mov_b32_e32 v11, s5
	v_add_co_u32_e32 v8, vcc, s4, v8
	;; [unrolled: 6-line block ×6, first 2 shown]
	v_ashrrev_i32_e32 v21, 31, v20
	v_addc_co_u32_e32 v17, vcc, v19, v17, vcc
	v_lshlrev_b64 v[18:19], 2, v[20:21]
	v_mov_b32_e32 v21, s5
	v_add_co_u32_e32 v18, vcc, s4, v18
	global_load_dword v33, v1, s[4:5]
	v_addc_co_u32_e32 v19, vcc, v21, v19, vcc
	global_load_dword v35, v[2:3], off
	global_load_dword v37, v[6:7], off
	;; [unrolled: 1-line block ×8, first 2 shown]
	v_add_u32_e32 v22, s17, v20
	v_ashrrev_i32_e32 v23, 31, v22
	v_lshlrev_b64 v[20:21], 2, v[22:23]
	v_add_u32_e32 v24, s17, v22
	v_mov_b32_e32 v23, s5
	v_add_co_u32_e32 v20, vcc, s4, v20
	v_ashrrev_i32_e32 v25, 31, v24
	v_addc_co_u32_e32 v21, vcc, v23, v21, vcc
	v_lshlrev_b64 v[22:23], 2, v[24:25]
	v_add_u32_e32 v26, s17, v24
	v_mov_b32_e32 v25, s5
	v_add_co_u32_e32 v22, vcc, s4, v22
	v_ashrrev_i32_e32 v27, 31, v26
	v_addc_co_u32_e32 v23, vcc, v25, v23, vcc
	;; [unrolled: 6-line block ×4, first 2 shown]
	v_lshlrev_b64 v[28:29], 2, v[30:31]
	v_mov_b32_e32 v31, s5
	v_add_co_u32_e32 v28, vcc, s4, v28
	global_load_dword v51, v[20:21], off
	global_load_dword v53, v[22:23], off
	;; [unrolled: 1-line block ×3, first 2 shown]
	v_addc_co_u32_e32 v29, vcc, v31, v29, vcc
	global_load_dword v57, v[26:27], off
	global_load_dword v59, v[28:29], off
	v_add_u32_e32 v32, s17, v30
	v_add_u32_e32 v34, s17, v32
	;; [unrolled: 1-line block ×21, first 2 shown]
	v_ashrrev_i32_e32 v31, 31, v30
	v_lshlrev_b64 v[30:31], 2, v[30:31]
	v_mov_b32_e32 v61, s5
	v_add_co_u32_e32 v30, vcc, s4, v30
	v_addc_co_u32_e32 v31, vcc, v61, v31, vcc
	global_load_dword v72, v[30:31], off
	s_waitcnt vmcnt(14)
	buffer_store_dword v33, off, s[0:3], 0
	s_waitcnt vmcnt(14)
	buffer_store_dword v35, off, s[0:3], 0 offset:4
	s_waitcnt vmcnt(13)
	buffer_store_dword v39, off, s[0:3], 0 offset:12
	buffer_store_dword v37, off, s[0:3], 0 offset:8
	s_waitcnt vmcnt(14)
	buffer_store_dword v41, off, s[0:3], 0 offset:16
	s_waitcnt vmcnt(14)
	;; [unrolled: 2-line block ×5, first 2 shown]
	buffer_store_dword v49, off, s[0:3], 0 offset:32
	v_ashrrev_i32_e32 v33, 31, v32
	v_lshlrev_b64 v[32:33], 2, v[32:33]
	v_mov_b32_e32 v35, s5
	v_add_co_u32_e32 v32, vcc, s4, v32
	v_addc_co_u32_e32 v33, vcc, v35, v33, vcc
	v_ashrrev_i32_e32 v35, 31, v34
	v_lshlrev_b64 v[34:35], 2, v[34:35]
	v_mov_b32_e32 v37, s5
	v_add_co_u32_e32 v34, vcc, s4, v34
	v_addc_co_u32_e32 v35, vcc, v37, v35, vcc
	;; [unrolled: 5-line block ×3, first 2 shown]
	global_load_dword v73, v[32:33], off
	global_load_dword v74, v[34:35], off
	global_load_dword v75, v[36:37], off
	v_ashrrev_i32_e32 v39, 31, v38
	v_lshlrev_b64 v[38:39], 2, v[38:39]
	v_mov_b32_e32 v41, s5
	v_add_co_u32_e32 v38, vcc, s4, v38
	v_addc_co_u32_e32 v39, vcc, v41, v39, vcc
	v_ashrrev_i32_e32 v41, 31, v40
	v_lshlrev_b64 v[40:41], 2, v[40:41]
	v_mov_b32_e32 v43, s5
	v_add_co_u32_e32 v40, vcc, s4, v40
	v_addc_co_u32_e32 v41, vcc, v43, v41, vcc
	;; [unrolled: 5-line block ×5, first 2 shown]
	v_ashrrev_i32_e32 v49, 31, v48
	v_lshlrev_b64 v[48:49], 2, v[48:49]
	s_waitcnt vmcnt(17)
	buffer_store_dword v51, off, s[0:3], 0 offset:36
	s_waitcnt vmcnt(16)
	buffer_store_dword v55, off, s[0:3], 0 offset:44
	buffer_store_dword v53, off, s[0:3], 0 offset:40
	s_waitcnt vmcnt(17)
	buffer_store_dword v57, off, s[0:3], 0 offset:48
	s_waitcnt vmcnt(17)
	buffer_store_dword v59, off, s[0:3], 0 offset:52
	v_mov_b32_e32 v51, s5
	v_add_co_u32_e32 v48, vcc, s4, v48
	v_addc_co_u32_e32 v49, vcc, v51, v49, vcc
	v_ashrrev_i32_e32 v51, 31, v50
	v_lshlrev_b64 v[50:51], 2, v[50:51]
	v_mov_b32_e32 v53, s5
	v_add_co_u32_e32 v50, vcc, s4, v50
	v_addc_co_u32_e32 v51, vcc, v53, v51, vcc
	v_ashrrev_i32_e32 v53, 31, v52
	v_lshlrev_b64 v[52:53], 2, v[52:53]
	;; [unrolled: 5-line block ×5, first 2 shown]
	v_add_co_u32_e32 v58, vcc, s4, v58
	v_addc_co_u32_e32 v59, vcc, v61, v59, vcc
	v_ashrrev_i32_e32 v61, 31, v60
	v_lshlrev_b64 v[60:61], 2, v[60:61]
	v_mov_b32_e32 v63, s5
	v_add_co_u32_e32 v60, vcc, s4, v60
	v_addc_co_u32_e32 v61, vcc, v63, v61, vcc
	v_ashrrev_i32_e32 v63, 31, v62
	v_lshlrev_b64 v[62:63], 2, v[62:63]
	v_mov_b32_e32 v65, s5
	v_add_co_u32_e32 v62, vcc, s4, v62
	v_addc_co_u32_e32 v63, vcc, v65, v63, vcc
	v_ashrrev_i32_e32 v65, 31, v64
	v_lshlrev_b64 v[64:65], 2, v[64:65]
	v_mov_b32_e32 v67, s5
	v_add_co_u32_e32 v64, vcc, s4, v64
	v_addc_co_u32_e32 v65, vcc, v67, v65, vcc
	v_ashrrev_i32_e32 v67, 31, v66
	v_lshlrev_b64 v[66:67], 2, v[66:67]
	v_mov_b32_e32 v69, s5
	v_add_co_u32_e32 v66, vcc, s4, v66
	v_addc_co_u32_e32 v67, vcc, v69, v67, vcc
	v_ashrrev_i32_e32 v69, 31, v68
	v_lshlrev_b64 v[68:69], 2, v[68:69]
	v_mov_b32_e32 v71, s5
	v_add_co_u32_e32 v68, vcc, s4, v68
	v_addc_co_u32_e32 v69, vcc, v71, v69, vcc
	v_ashrrev_i32_e32 v71, 31, v70
	v_lshlrev_b64 v[70:71], 2, v[70:71]
	v_mov_b32_e32 v84, s5
	v_add_co_u32_e32 v70, vcc, s4, v70
	global_load_dword v76, v[38:39], off
	global_load_dword v77, v[40:41], off
	;; [unrolled: 1-line block ×8, first 2 shown]
	v_addc_co_u32_e32 v71, vcc, v84, v71, vcc
	global_load_dword v84, v[54:55], off
	global_load_dword v85, v[56:57], off
	;; [unrolled: 1-line block ×8, first 2 shown]
	s_cmpk_lg_i32 s13, 0x84
	s_waitcnt vmcnt(23)
	buffer_store_dword v73, off, s[0:3], 0 offset:56
	global_load_dword v73, v[68:69], off
	s_cselect_b64 s[10:11], -1, 0
	s_waitcnt vmcnt(24)
	buffer_store_dword v74, off, s[0:3], 0 offset:60
	s_waitcnt vmcnt(24)
	buffer_store_dword v75, off, s[0:3], 0 offset:64
	s_waitcnt vmcnt(19)
	buffer_store_dword v76, off, s[0:3], 0 offset:68
	s_waitcnt vmcnt(19)
	buffer_store_dword v77, off, s[0:3], 0 offset:72
	s_waitcnt vmcnt(19)
	buffer_store_dword v78, off, s[0:3], 0 offset:76
	s_waitcnt vmcnt(18)
	buffer_store_dword v80, off, s[0:3], 0 offset:84
	buffer_store_dword v79, off, s[0:3], 0 offset:80
	s_waitcnt vmcnt(18)
	buffer_store_dword v82, off, s[0:3], 0 offset:92
	buffer_store_dword v81, off, s[0:3], 0 offset:88
	s_waitcnt vmcnt(18)
	buffer_store_dword v84, off, s[0:3], 0 offset:100
	;; [unrolled: 3-line block ×6, first 2 shown]
	s_waitcnt vmcnt(18)
	buffer_store_dword v73, off, s[0:3], 0 offset:128
	buffer_store_dword v72, off, s[0:3], 0 offset:136
	s_cmpk_eq_i32 s13, 0x84
	v_mov_b32_e32 v72, -1.0
	s_cbranch_scc1 .LBB34_3
; %bb.2:
	v_lshl_add_u32 v72, v0, 2, v89
	buffer_load_dword v73, v72, s[0:3], 0 offen
	s_waitcnt vmcnt(0)
	v_div_scale_f32 v74, s[4:5], v73, v73, 1.0
	v_rcp_f32_e32 v75, v74
	v_div_scale_f32 v76, vcc, 1.0, v73, 1.0
	v_fma_f32 v77, -v74, v75, 1.0
	v_fmac_f32_e32 v75, v77, v75
	v_mul_f32_e32 v77, v76, v75
	v_fma_f32 v78, -v74, v77, v76
	v_fmac_f32_e32 v77, v78, v75
	v_fma_f32 v74, -v74, v77, v76
	v_div_fmas_f32 v74, v74, v75, v77
	v_div_fixup_f32 v73, v74, v73, 1.0
	buffer_store_dword v73, v72, s[0:3], 0 offen
	v_xor_b32_e32 v72, 0x80000000, v73
.LBB34_3:
	ds_write_b32 v1, v72
	s_cmpk_eq_i32 s12, 0x79
	v_add_u32_e32 v72, 0x90, v1
	v_add_u32_e32 v73, 0, v1
	s_mov_b64 s[4:5], -1
	s_cbranch_scc1 .LBB34_337
; %bb.4:
	buffer_load_dword v74, off, s[0:3], 0 offset:132
	v_cmp_eq_u32_e64 s[4:5], 34, v0
	s_waitcnt vmcnt(0)
	ds_write_b32 v72, v74
	s_waitcnt lgkmcnt(0)
	; wave barrier
	s_waitcnt lgkmcnt(0)
	s_and_saveexec_b64 s[6:7], s[4:5]
	s_cbranch_execz .LBB34_10
; %bb.5:
	s_and_b64 vcc, exec, s[10:11]
	s_cbranch_vccz .LBB34_7
; %bb.6:
	buffer_load_dword v74, v73, s[0:3], 0 offen
	ds_read_b32 v75, v72
	s_waitcnt vmcnt(0) lgkmcnt(0)
	v_mul_f32_e32 v74, v74, v75
	s_cbranch_execz .LBB34_8
	s_branch .LBB34_9
.LBB34_7:
                                        ; implicit-def: $vgpr74
.LBB34_8:
	ds_read_b32 v74, v72
.LBB34_9:
	v_mov_b32_e32 v75, 0
	ds_read_b32 v75, v75 offset:132
	s_waitcnt lgkmcnt(0)
	v_mul_f32_e32 v74, v74, v75
	buffer_store_dword v74, off, s[0:3], 0 offset:132
.LBB34_10:
	s_or_b64 exec, exec, s[6:7]
	buffer_load_dword v90, off, s[0:3], 0 offset:128
	v_or_b32_e32 v74, 8, v89
	v_add_u32_e32 v75, 16, v89
	v_add_u32_e32 v76, 24, v89
	;; [unrolled: 1-line block ×15, first 2 shown]
	v_cmp_lt_u32_e64 s[8:9], 32, v0
	s_waitcnt vmcnt(0)
	ds_write_b32 v72, v90
	s_waitcnt lgkmcnt(0)
	; wave barrier
	s_waitcnt lgkmcnt(0)
	s_and_saveexec_b64 s[6:7], s[8:9]
	s_cbranch_execz .LBB34_16
; %bb.11:
	s_andn2_b64 vcc, exec, s[10:11]
	s_cbranch_vccnz .LBB34_13
; %bb.12:
	buffer_load_dword v90, v73, s[0:3], 0 offen
	ds_read_b32 v91, v72
	s_waitcnt vmcnt(0) lgkmcnt(0)
	v_mul_f32_e32 v90, v90, v91
	s_cbranch_execz .LBB34_14
	s_branch .LBB34_15
.LBB34_13:
                                        ; implicit-def: $vgpr90
.LBB34_14:
	ds_read_b32 v90, v72
.LBB34_15:
	buffer_load_dword v91, off, s[0:3], 0 offset:132
	v_mov_b32_e32 v92, 0
	ds_read2_b32 v[92:93], v92 offset0:32 offset1:69
	s_waitcnt vmcnt(0) lgkmcnt(0)
	v_fma_f32 v91, v91, v93, v90
	v_cndmask_b32_e64 v90, v90, v91, s[4:5]
	v_mul_f32_e32 v90, v90, v92
	buffer_store_dword v90, off, s[0:3], 0 offset:128
.LBB34_16:
	s_or_b64 exec, exec, s[6:7]
	buffer_load_dword v90, off, s[0:3], 0 offset:124
	v_cmp_lt_u32_e64 s[6:7], 31, v0
	s_waitcnt vmcnt(0)
	ds_write_b32 v72, v90
	s_waitcnt lgkmcnt(0)
	; wave barrier
	s_waitcnt lgkmcnt(0)
	s_and_saveexec_b64 s[4:5], s[6:7]
	s_cbranch_execz .LBB34_26
; %bb.17:
	s_andn2_b64 vcc, exec, s[10:11]
	s_cbranch_vccnz .LBB34_19
; %bb.18:
	buffer_load_dword v90, v73, s[0:3], 0 offen
	ds_read_b32 v91, v72
	s_waitcnt vmcnt(0) lgkmcnt(0)
	v_mul_f32_e32 v90, v90, v91
	s_cbranch_execz .LBB34_20
	s_branch .LBB34_21
.LBB34_19:
                                        ; implicit-def: $vgpr90
.LBB34_20:
	ds_read_b32 v90, v72
.LBB34_21:
	s_and_saveexec_b64 s[12:13], s[8:9]
	s_cbranch_execz .LBB34_25
; %bb.22:
	v_subrev_u32_e32 v91, 32, v0
	s_movk_i32 s14, 0x110
	s_mov_b64 s[8:9], 0
.LBB34_23:                              ; =>This Inner Loop Header: Depth=1
	buffer_load_dword v92, v89, s[0:3], 0 offen
	v_mov_b32_e32 v93, s14
	ds_read_b32 v93, v93
	v_add_u32_e32 v91, -1, v91
	s_add_i32 s14, s14, 4
	v_cmp_eq_u32_e32 vcc, 0, v91
	v_add_u32_e32 v89, 4, v89
	s_or_b64 s[8:9], vcc, s[8:9]
	s_waitcnt vmcnt(0) lgkmcnt(0)
	v_fmac_f32_e32 v90, v92, v93
	s_andn2_b64 exec, exec, s[8:9]
	s_cbranch_execnz .LBB34_23
; %bb.24:
	s_or_b64 exec, exec, s[8:9]
.LBB34_25:
	s_or_b64 exec, exec, s[12:13]
	v_mov_b32_e32 v89, 0
	ds_read_b32 v89, v89 offset:124
	s_waitcnt lgkmcnt(0)
	v_mul_f32_e32 v89, v90, v89
	buffer_store_dword v89, off, s[0:3], 0 offset:124
.LBB34_26:
	s_or_b64 exec, exec, s[4:5]
	buffer_load_dword v89, off, s[0:3], 0 offset:120
	v_cmp_lt_u32_e64 s[4:5], 30, v0
	s_waitcnt vmcnt(0)
	ds_write_b32 v72, v89
	s_waitcnt lgkmcnt(0)
	; wave barrier
	s_waitcnt lgkmcnt(0)
	s_and_saveexec_b64 s[8:9], s[4:5]
	s_cbranch_execz .LBB34_36
; %bb.27:
	s_andn2_b64 vcc, exec, s[10:11]
	s_cbranch_vccnz .LBB34_29
; %bb.28:
	buffer_load_dword v89, v73, s[0:3], 0 offen
	ds_read_b32 v90, v72
	s_waitcnt vmcnt(0) lgkmcnt(0)
	v_mul_f32_e32 v89, v89, v90
	s_cbranch_execz .LBB34_30
	s_branch .LBB34_31
.LBB34_29:
                                        ; implicit-def: $vgpr89
.LBB34_30:
	ds_read_b32 v89, v72
.LBB34_31:
	s_and_saveexec_b64 s[12:13], s[6:7]
	s_cbranch_execz .LBB34_35
; %bb.32:
	v_mov_b32_e32 v90, 0
	v_add_u32_e32 v90, 0x7c, v90
	v_subrev_u32_e32 v91, 31, v0
	s_movk_i32 s14, 0x10c
	s_mov_b64 s[6:7], 0
.LBB34_33:                              ; =>This Inner Loop Header: Depth=1
	buffer_load_dword v92, v90, s[0:3], 0 offen
	v_mov_b32_e32 v93, s14
	ds_read_b32 v93, v93
	v_add_u32_e32 v91, -1, v91
	s_add_i32 s14, s14, 4
	v_cmp_eq_u32_e32 vcc, 0, v91
	v_add_u32_e32 v90, 4, v90
	s_or_b64 s[6:7], vcc, s[6:7]
	s_waitcnt vmcnt(0) lgkmcnt(0)
	v_fmac_f32_e32 v89, v92, v93
	s_andn2_b64 exec, exec, s[6:7]
	s_cbranch_execnz .LBB34_33
; %bb.34:
	s_or_b64 exec, exec, s[6:7]
.LBB34_35:
	s_or_b64 exec, exec, s[12:13]
	v_mov_b32_e32 v90, 0
	ds_read_b32 v90, v90 offset:120
	s_waitcnt lgkmcnt(0)
	v_mul_f32_e32 v89, v89, v90
	buffer_store_dword v89, off, s[0:3], 0 offset:120
.LBB34_36:
	s_or_b64 exec, exec, s[8:9]
	buffer_load_dword v89, off, s[0:3], 0 offset:116
	v_cmp_lt_u32_e64 s[6:7], 29, v0
	s_waitcnt vmcnt(0)
	ds_write_b32 v72, v89
	s_waitcnt lgkmcnt(0)
	; wave barrier
	s_waitcnt lgkmcnt(0)
	s_and_saveexec_b64 s[8:9], s[6:7]
	s_cbranch_execz .LBB34_46
; %bb.37:
	s_andn2_b64 vcc, exec, s[10:11]
	s_cbranch_vccnz .LBB34_39
; %bb.38:
	buffer_load_dword v89, v73, s[0:3], 0 offen
	ds_read_b32 v90, v72
	s_waitcnt vmcnt(0) lgkmcnt(0)
	v_mul_f32_e32 v89, v89, v90
	s_cbranch_execz .LBB34_40
	s_branch .LBB34_41
.LBB34_39:
                                        ; implicit-def: $vgpr89
.LBB34_40:
	ds_read_b32 v89, v72
.LBB34_41:
	s_and_saveexec_b64 s[12:13], s[4:5]
	s_cbranch_execz .LBB34_45
; %bb.42:
	v_subrev_u32_e32 v90, 30, v0
	s_movk_i32 s14, 0x108
	s_mov_b64 s[4:5], 0
.LBB34_43:                              ; =>This Inner Loop Header: Depth=1
	buffer_load_dword v91, v88, s[0:3], 0 offen
	v_mov_b32_e32 v92, s14
	ds_read_b32 v92, v92
	v_add_u32_e32 v90, -1, v90
	s_add_i32 s14, s14, 4
	v_cmp_eq_u32_e32 vcc, 0, v90
	v_add_u32_e32 v88, 4, v88
	s_or_b64 s[4:5], vcc, s[4:5]
	s_waitcnt vmcnt(0) lgkmcnt(0)
	v_fmac_f32_e32 v89, v91, v92
	s_andn2_b64 exec, exec, s[4:5]
	s_cbranch_execnz .LBB34_43
; %bb.44:
	s_or_b64 exec, exec, s[4:5]
.LBB34_45:
	s_or_b64 exec, exec, s[12:13]
	v_mov_b32_e32 v88, 0
	ds_read_b32 v88, v88 offset:116
	s_waitcnt lgkmcnt(0)
	v_mul_f32_e32 v88, v89, v88
	buffer_store_dword v88, off, s[0:3], 0 offset:116
.LBB34_46:
	s_or_b64 exec, exec, s[8:9]
	buffer_load_dword v88, off, s[0:3], 0 offset:112
	v_cmp_lt_u32_e64 s[4:5], 28, v0
	s_waitcnt vmcnt(0)
	ds_write_b32 v72, v88
	s_waitcnt lgkmcnt(0)
	; wave barrier
	s_waitcnt lgkmcnt(0)
	s_and_saveexec_b64 s[8:9], s[4:5]
	s_cbranch_execz .LBB34_56
; %bb.47:
	s_andn2_b64 vcc, exec, s[10:11]
	s_cbranch_vccnz .LBB34_49
; %bb.48:
	buffer_load_dword v88, v73, s[0:3], 0 offen
	ds_read_b32 v89, v72
	s_waitcnt vmcnt(0) lgkmcnt(0)
	v_mul_f32_e32 v88, v88, v89
	s_cbranch_execz .LBB34_50
	s_branch .LBB34_51
.LBB34_49:
                                        ; implicit-def: $vgpr88
.LBB34_50:
	ds_read_b32 v88, v72
.LBB34_51:
	s_and_saveexec_b64 s[12:13], s[6:7]
	s_cbranch_execz .LBB34_55
; %bb.52:
	v_mov_b32_e32 v89, 0
	v_add_u32_e32 v89, 0x74, v89
	v_subrev_u32_e32 v90, 29, v0
	s_movk_i32 s14, 0x104
	s_mov_b64 s[6:7], 0
.LBB34_53:                              ; =>This Inner Loop Header: Depth=1
	buffer_load_dword v91, v89, s[0:3], 0 offen
	v_mov_b32_e32 v92, s14
	ds_read_b32 v92, v92
	v_add_u32_e32 v90, -1, v90
	s_add_i32 s14, s14, 4
	v_cmp_eq_u32_e32 vcc, 0, v90
	v_add_u32_e32 v89, 4, v89
	s_or_b64 s[6:7], vcc, s[6:7]
	s_waitcnt vmcnt(0) lgkmcnt(0)
	v_fmac_f32_e32 v88, v91, v92
	s_andn2_b64 exec, exec, s[6:7]
	s_cbranch_execnz .LBB34_53
; %bb.54:
	s_or_b64 exec, exec, s[6:7]
.LBB34_55:
	s_or_b64 exec, exec, s[12:13]
	v_mov_b32_e32 v89, 0
	ds_read_b32 v89, v89 offset:112
	s_waitcnt lgkmcnt(0)
	v_mul_f32_e32 v88, v88, v89
	buffer_store_dword v88, off, s[0:3], 0 offset:112
.LBB34_56:
	s_or_b64 exec, exec, s[8:9]
	buffer_load_dword v88, off, s[0:3], 0 offset:108
	v_cmp_lt_u32_e64 s[6:7], 27, v0
	s_waitcnt vmcnt(0)
	ds_write_b32 v72, v88
	s_waitcnt lgkmcnt(0)
	; wave barrier
	s_waitcnt lgkmcnt(0)
	s_and_saveexec_b64 s[8:9], s[6:7]
	s_cbranch_execz .LBB34_66
; %bb.57:
	s_andn2_b64 vcc, exec, s[10:11]
	s_cbranch_vccnz .LBB34_59
; %bb.58:
	buffer_load_dword v88, v73, s[0:3], 0 offen
	ds_read_b32 v89, v72
	s_waitcnt vmcnt(0) lgkmcnt(0)
	v_mul_f32_e32 v88, v88, v89
	s_cbranch_execz .LBB34_60
	s_branch .LBB34_61
.LBB34_59:
                                        ; implicit-def: $vgpr88
.LBB34_60:
	ds_read_b32 v88, v72
.LBB34_61:
	s_and_saveexec_b64 s[12:13], s[4:5]
	s_cbranch_execz .LBB34_65
; %bb.62:
	v_subrev_u32_e32 v89, 28, v0
	s_movk_i32 s14, 0x100
	s_mov_b64 s[4:5], 0
.LBB34_63:                              ; =>This Inner Loop Header: Depth=1
	buffer_load_dword v90, v87, s[0:3], 0 offen
	v_mov_b32_e32 v91, s14
	ds_read_b32 v91, v91
	v_add_u32_e32 v89, -1, v89
	s_add_i32 s14, s14, 4
	v_cmp_eq_u32_e32 vcc, 0, v89
	v_add_u32_e32 v87, 4, v87
	s_or_b64 s[4:5], vcc, s[4:5]
	s_waitcnt vmcnt(0) lgkmcnt(0)
	v_fmac_f32_e32 v88, v90, v91
	s_andn2_b64 exec, exec, s[4:5]
	s_cbranch_execnz .LBB34_63
; %bb.64:
	s_or_b64 exec, exec, s[4:5]
.LBB34_65:
	s_or_b64 exec, exec, s[12:13]
	v_mov_b32_e32 v87, 0
	ds_read_b32 v87, v87 offset:108
	s_waitcnt lgkmcnt(0)
	v_mul_f32_e32 v87, v88, v87
	buffer_store_dword v87, off, s[0:3], 0 offset:108
.LBB34_66:
	s_or_b64 exec, exec, s[8:9]
	buffer_load_dword v87, off, s[0:3], 0 offset:104
	v_cmp_lt_u32_e64 s[4:5], 26, v0
	s_waitcnt vmcnt(0)
	ds_write_b32 v72, v87
	s_waitcnt lgkmcnt(0)
	; wave barrier
	s_waitcnt lgkmcnt(0)
	s_and_saveexec_b64 s[8:9], s[4:5]
	s_cbranch_execz .LBB34_76
; %bb.67:
	s_andn2_b64 vcc, exec, s[10:11]
	s_cbranch_vccnz .LBB34_69
; %bb.68:
	buffer_load_dword v87, v73, s[0:3], 0 offen
	ds_read_b32 v88, v72
	s_waitcnt vmcnt(0) lgkmcnt(0)
	v_mul_f32_e32 v87, v87, v88
	s_cbranch_execz .LBB34_70
	s_branch .LBB34_71
.LBB34_69:
                                        ; implicit-def: $vgpr87
.LBB34_70:
	ds_read_b32 v87, v72
.LBB34_71:
	s_and_saveexec_b64 s[12:13], s[6:7]
	s_cbranch_execz .LBB34_75
; %bb.72:
	v_mov_b32_e32 v88, 0
	v_add_u32_e32 v88, 0x6c, v88
	v_subrev_u32_e32 v89, 27, v0
	s_movk_i32 s14, 0xfc
	s_mov_b64 s[6:7], 0
.LBB34_73:                              ; =>This Inner Loop Header: Depth=1
	buffer_load_dword v90, v88, s[0:3], 0 offen
	v_mov_b32_e32 v91, s14
	ds_read_b32 v91, v91
	v_add_u32_e32 v89, -1, v89
	s_add_i32 s14, s14, 4
	v_cmp_eq_u32_e32 vcc, 0, v89
	v_add_u32_e32 v88, 4, v88
	s_or_b64 s[6:7], vcc, s[6:7]
	s_waitcnt vmcnt(0) lgkmcnt(0)
	v_fmac_f32_e32 v87, v90, v91
	s_andn2_b64 exec, exec, s[6:7]
	s_cbranch_execnz .LBB34_73
; %bb.74:
	s_or_b64 exec, exec, s[6:7]
.LBB34_75:
	s_or_b64 exec, exec, s[12:13]
	v_mov_b32_e32 v88, 0
	ds_read_b32 v88, v88 offset:104
	s_waitcnt lgkmcnt(0)
	v_mul_f32_e32 v87, v87, v88
	buffer_store_dword v87, off, s[0:3], 0 offset:104
.LBB34_76:
	s_or_b64 exec, exec, s[8:9]
	buffer_load_dword v87, off, s[0:3], 0 offset:100
	v_cmp_lt_u32_e64 s[6:7], 25, v0
	s_waitcnt vmcnt(0)
	ds_write_b32 v72, v87
	s_waitcnt lgkmcnt(0)
	; wave barrier
	s_waitcnt lgkmcnt(0)
	s_and_saveexec_b64 s[8:9], s[6:7]
	s_cbranch_execz .LBB34_86
; %bb.77:
	s_andn2_b64 vcc, exec, s[10:11]
	s_cbranch_vccnz .LBB34_79
; %bb.78:
	buffer_load_dword v87, v73, s[0:3], 0 offen
	ds_read_b32 v88, v72
	s_waitcnt vmcnt(0) lgkmcnt(0)
	v_mul_f32_e32 v87, v87, v88
	s_cbranch_execz .LBB34_80
	s_branch .LBB34_81
.LBB34_79:
                                        ; implicit-def: $vgpr87
.LBB34_80:
	ds_read_b32 v87, v72
.LBB34_81:
	s_and_saveexec_b64 s[12:13], s[4:5]
	s_cbranch_execz .LBB34_85
; %bb.82:
	v_subrev_u32_e32 v88, 26, v0
	s_movk_i32 s14, 0xf8
	s_mov_b64 s[4:5], 0
.LBB34_83:                              ; =>This Inner Loop Header: Depth=1
	buffer_load_dword v89, v86, s[0:3], 0 offen
	v_mov_b32_e32 v90, s14
	ds_read_b32 v90, v90
	v_add_u32_e32 v88, -1, v88
	s_add_i32 s14, s14, 4
	v_cmp_eq_u32_e32 vcc, 0, v88
	v_add_u32_e32 v86, 4, v86
	s_or_b64 s[4:5], vcc, s[4:5]
	s_waitcnt vmcnt(0) lgkmcnt(0)
	v_fmac_f32_e32 v87, v89, v90
	s_andn2_b64 exec, exec, s[4:5]
	s_cbranch_execnz .LBB34_83
; %bb.84:
	s_or_b64 exec, exec, s[4:5]
.LBB34_85:
	s_or_b64 exec, exec, s[12:13]
	v_mov_b32_e32 v86, 0
	ds_read_b32 v86, v86 offset:100
	s_waitcnt lgkmcnt(0)
	v_mul_f32_e32 v86, v87, v86
	buffer_store_dword v86, off, s[0:3], 0 offset:100
.LBB34_86:
	s_or_b64 exec, exec, s[8:9]
	buffer_load_dword v86, off, s[0:3], 0 offset:96
	v_cmp_lt_u32_e64 s[4:5], 24, v0
	s_waitcnt vmcnt(0)
	ds_write_b32 v72, v86
	s_waitcnt lgkmcnt(0)
	; wave barrier
	s_waitcnt lgkmcnt(0)
	s_and_saveexec_b64 s[8:9], s[4:5]
	s_cbranch_execz .LBB34_96
; %bb.87:
	s_andn2_b64 vcc, exec, s[10:11]
	s_cbranch_vccnz .LBB34_89
; %bb.88:
	buffer_load_dword v86, v73, s[0:3], 0 offen
	ds_read_b32 v87, v72
	s_waitcnt vmcnt(0) lgkmcnt(0)
	v_mul_f32_e32 v86, v86, v87
	s_cbranch_execz .LBB34_90
	s_branch .LBB34_91
.LBB34_89:
                                        ; implicit-def: $vgpr86
.LBB34_90:
	ds_read_b32 v86, v72
.LBB34_91:
	s_and_saveexec_b64 s[12:13], s[6:7]
	s_cbranch_execz .LBB34_95
; %bb.92:
	v_mov_b32_e32 v87, 0
	v_add_u32_e32 v87, 0x64, v87
	v_subrev_u32_e32 v88, 25, v0
	s_movk_i32 s14, 0xf4
	s_mov_b64 s[6:7], 0
.LBB34_93:                              ; =>This Inner Loop Header: Depth=1
	buffer_load_dword v89, v87, s[0:3], 0 offen
	v_mov_b32_e32 v90, s14
	ds_read_b32 v90, v90
	v_add_u32_e32 v88, -1, v88
	s_add_i32 s14, s14, 4
	v_cmp_eq_u32_e32 vcc, 0, v88
	v_add_u32_e32 v87, 4, v87
	s_or_b64 s[6:7], vcc, s[6:7]
	s_waitcnt vmcnt(0) lgkmcnt(0)
	v_fmac_f32_e32 v86, v89, v90
	s_andn2_b64 exec, exec, s[6:7]
	s_cbranch_execnz .LBB34_93
; %bb.94:
	s_or_b64 exec, exec, s[6:7]
.LBB34_95:
	s_or_b64 exec, exec, s[12:13]
	v_mov_b32_e32 v87, 0
	ds_read_b32 v87, v87 offset:96
	s_waitcnt lgkmcnt(0)
	v_mul_f32_e32 v86, v86, v87
	buffer_store_dword v86, off, s[0:3], 0 offset:96
.LBB34_96:
	s_or_b64 exec, exec, s[8:9]
	buffer_load_dword v86, off, s[0:3], 0 offset:92
	v_cmp_lt_u32_e64 s[6:7], 23, v0
	s_waitcnt vmcnt(0)
	ds_write_b32 v72, v86
	s_waitcnt lgkmcnt(0)
	; wave barrier
	s_waitcnt lgkmcnt(0)
	s_and_saveexec_b64 s[8:9], s[6:7]
	s_cbranch_execz .LBB34_106
; %bb.97:
	s_andn2_b64 vcc, exec, s[10:11]
	s_cbranch_vccnz .LBB34_99
; %bb.98:
	buffer_load_dword v86, v73, s[0:3], 0 offen
	ds_read_b32 v87, v72
	s_waitcnt vmcnt(0) lgkmcnt(0)
	v_mul_f32_e32 v86, v86, v87
	s_cbranch_execz .LBB34_100
	s_branch .LBB34_101
.LBB34_99:
                                        ; implicit-def: $vgpr86
.LBB34_100:
	ds_read_b32 v86, v72
.LBB34_101:
	s_and_saveexec_b64 s[12:13], s[4:5]
	s_cbranch_execz .LBB34_105
; %bb.102:
	v_subrev_u32_e32 v87, 24, v0
	s_movk_i32 s14, 0xf0
	s_mov_b64 s[4:5], 0
.LBB34_103:                             ; =>This Inner Loop Header: Depth=1
	buffer_load_dword v88, v85, s[0:3], 0 offen
	v_mov_b32_e32 v89, s14
	ds_read_b32 v89, v89
	v_add_u32_e32 v87, -1, v87
	s_add_i32 s14, s14, 4
	v_cmp_eq_u32_e32 vcc, 0, v87
	v_add_u32_e32 v85, 4, v85
	s_or_b64 s[4:5], vcc, s[4:5]
	s_waitcnt vmcnt(0) lgkmcnt(0)
	v_fmac_f32_e32 v86, v88, v89
	s_andn2_b64 exec, exec, s[4:5]
	s_cbranch_execnz .LBB34_103
; %bb.104:
	s_or_b64 exec, exec, s[4:5]
.LBB34_105:
	s_or_b64 exec, exec, s[12:13]
	v_mov_b32_e32 v85, 0
	ds_read_b32 v85, v85 offset:92
	s_waitcnt lgkmcnt(0)
	v_mul_f32_e32 v85, v86, v85
	buffer_store_dword v85, off, s[0:3], 0 offset:92
.LBB34_106:
	s_or_b64 exec, exec, s[8:9]
	buffer_load_dword v85, off, s[0:3], 0 offset:88
	v_cmp_lt_u32_e64 s[4:5], 22, v0
	s_waitcnt vmcnt(0)
	ds_write_b32 v72, v85
	s_waitcnt lgkmcnt(0)
	; wave barrier
	s_waitcnt lgkmcnt(0)
	s_and_saveexec_b64 s[8:9], s[4:5]
	s_cbranch_execz .LBB34_116
; %bb.107:
	s_andn2_b64 vcc, exec, s[10:11]
	s_cbranch_vccnz .LBB34_109
; %bb.108:
	buffer_load_dword v85, v73, s[0:3], 0 offen
	ds_read_b32 v86, v72
	s_waitcnt vmcnt(0) lgkmcnt(0)
	v_mul_f32_e32 v85, v85, v86
	s_cbranch_execz .LBB34_110
	s_branch .LBB34_111
.LBB34_109:
                                        ; implicit-def: $vgpr85
.LBB34_110:
	ds_read_b32 v85, v72
.LBB34_111:
	s_and_saveexec_b64 s[12:13], s[6:7]
	s_cbranch_execz .LBB34_115
; %bb.112:
	v_mov_b32_e32 v86, 0
	v_add_u32_e32 v86, 0x5c, v86
	v_subrev_u32_e32 v87, 23, v0
	s_movk_i32 s14, 0xec
	s_mov_b64 s[6:7], 0
.LBB34_113:                             ; =>This Inner Loop Header: Depth=1
	buffer_load_dword v88, v86, s[0:3], 0 offen
	v_mov_b32_e32 v89, s14
	ds_read_b32 v89, v89
	v_add_u32_e32 v87, -1, v87
	s_add_i32 s14, s14, 4
	v_cmp_eq_u32_e32 vcc, 0, v87
	v_add_u32_e32 v86, 4, v86
	s_or_b64 s[6:7], vcc, s[6:7]
	s_waitcnt vmcnt(0) lgkmcnt(0)
	v_fmac_f32_e32 v85, v88, v89
	s_andn2_b64 exec, exec, s[6:7]
	s_cbranch_execnz .LBB34_113
; %bb.114:
	s_or_b64 exec, exec, s[6:7]
.LBB34_115:
	s_or_b64 exec, exec, s[12:13]
	v_mov_b32_e32 v86, 0
	ds_read_b32 v86, v86 offset:88
	s_waitcnt lgkmcnt(0)
	v_mul_f32_e32 v85, v85, v86
	buffer_store_dword v85, off, s[0:3], 0 offset:88
.LBB34_116:
	s_or_b64 exec, exec, s[8:9]
	buffer_load_dword v85, off, s[0:3], 0 offset:84
	v_cmp_lt_u32_e64 s[6:7], 21, v0
	s_waitcnt vmcnt(0)
	ds_write_b32 v72, v85
	s_waitcnt lgkmcnt(0)
	; wave barrier
	s_waitcnt lgkmcnt(0)
	s_and_saveexec_b64 s[8:9], s[6:7]
	s_cbranch_execz .LBB34_126
; %bb.117:
	s_andn2_b64 vcc, exec, s[10:11]
	s_cbranch_vccnz .LBB34_119
; %bb.118:
	buffer_load_dword v85, v73, s[0:3], 0 offen
	ds_read_b32 v86, v72
	s_waitcnt vmcnt(0) lgkmcnt(0)
	v_mul_f32_e32 v85, v85, v86
	s_cbranch_execz .LBB34_120
	s_branch .LBB34_121
.LBB34_119:
                                        ; implicit-def: $vgpr85
.LBB34_120:
	ds_read_b32 v85, v72
.LBB34_121:
	s_and_saveexec_b64 s[12:13], s[4:5]
	s_cbranch_execz .LBB34_125
; %bb.122:
	v_subrev_u32_e32 v86, 22, v0
	s_movk_i32 s14, 0xe8
	s_mov_b64 s[4:5], 0
.LBB34_123:                             ; =>This Inner Loop Header: Depth=1
	buffer_load_dword v87, v84, s[0:3], 0 offen
	v_mov_b32_e32 v88, s14
	ds_read_b32 v88, v88
	v_add_u32_e32 v86, -1, v86
	s_add_i32 s14, s14, 4
	v_cmp_eq_u32_e32 vcc, 0, v86
	v_add_u32_e32 v84, 4, v84
	s_or_b64 s[4:5], vcc, s[4:5]
	s_waitcnt vmcnt(0) lgkmcnt(0)
	v_fmac_f32_e32 v85, v87, v88
	s_andn2_b64 exec, exec, s[4:5]
	s_cbranch_execnz .LBB34_123
; %bb.124:
	s_or_b64 exec, exec, s[4:5]
.LBB34_125:
	s_or_b64 exec, exec, s[12:13]
	v_mov_b32_e32 v84, 0
	ds_read_b32 v84, v84 offset:84
	s_waitcnt lgkmcnt(0)
	v_mul_f32_e32 v84, v85, v84
	buffer_store_dword v84, off, s[0:3], 0 offset:84
.LBB34_126:
	s_or_b64 exec, exec, s[8:9]
	buffer_load_dword v84, off, s[0:3], 0 offset:80
	v_cmp_lt_u32_e64 s[4:5], 20, v0
	s_waitcnt vmcnt(0)
	ds_write_b32 v72, v84
	s_waitcnt lgkmcnt(0)
	; wave barrier
	s_waitcnt lgkmcnt(0)
	s_and_saveexec_b64 s[8:9], s[4:5]
	s_cbranch_execz .LBB34_136
; %bb.127:
	s_andn2_b64 vcc, exec, s[10:11]
	s_cbranch_vccnz .LBB34_129
; %bb.128:
	buffer_load_dword v84, v73, s[0:3], 0 offen
	ds_read_b32 v85, v72
	s_waitcnt vmcnt(0) lgkmcnt(0)
	v_mul_f32_e32 v84, v84, v85
	s_cbranch_execz .LBB34_130
	s_branch .LBB34_131
.LBB34_129:
                                        ; implicit-def: $vgpr84
.LBB34_130:
	ds_read_b32 v84, v72
.LBB34_131:
	s_and_saveexec_b64 s[12:13], s[6:7]
	s_cbranch_execz .LBB34_135
; %bb.132:
	v_mov_b32_e32 v85, 0
	v_add_u32_e32 v85, 0x54, v85
	v_subrev_u32_e32 v86, 21, v0
	s_movk_i32 s14, 0xe4
	s_mov_b64 s[6:7], 0
.LBB34_133:                             ; =>This Inner Loop Header: Depth=1
	buffer_load_dword v87, v85, s[0:3], 0 offen
	v_mov_b32_e32 v88, s14
	ds_read_b32 v88, v88
	v_add_u32_e32 v86, -1, v86
	s_add_i32 s14, s14, 4
	v_cmp_eq_u32_e32 vcc, 0, v86
	v_add_u32_e32 v85, 4, v85
	s_or_b64 s[6:7], vcc, s[6:7]
	s_waitcnt vmcnt(0) lgkmcnt(0)
	v_fmac_f32_e32 v84, v87, v88
	s_andn2_b64 exec, exec, s[6:7]
	s_cbranch_execnz .LBB34_133
; %bb.134:
	s_or_b64 exec, exec, s[6:7]
.LBB34_135:
	s_or_b64 exec, exec, s[12:13]
	v_mov_b32_e32 v85, 0
	ds_read_b32 v85, v85 offset:80
	s_waitcnt lgkmcnt(0)
	v_mul_f32_e32 v84, v84, v85
	buffer_store_dword v84, off, s[0:3], 0 offset:80
.LBB34_136:
	s_or_b64 exec, exec, s[8:9]
	buffer_load_dword v84, off, s[0:3], 0 offset:76
	v_cmp_lt_u32_e64 s[6:7], 19, v0
	s_waitcnt vmcnt(0)
	ds_write_b32 v72, v84
	s_waitcnt lgkmcnt(0)
	; wave barrier
	s_waitcnt lgkmcnt(0)
	s_and_saveexec_b64 s[8:9], s[6:7]
	s_cbranch_execz .LBB34_146
; %bb.137:
	s_andn2_b64 vcc, exec, s[10:11]
	s_cbranch_vccnz .LBB34_139
; %bb.138:
	buffer_load_dword v84, v73, s[0:3], 0 offen
	ds_read_b32 v85, v72
	s_waitcnt vmcnt(0) lgkmcnt(0)
	v_mul_f32_e32 v84, v84, v85
	s_cbranch_execz .LBB34_140
	s_branch .LBB34_141
.LBB34_139:
                                        ; implicit-def: $vgpr84
.LBB34_140:
	ds_read_b32 v84, v72
.LBB34_141:
	s_and_saveexec_b64 s[12:13], s[4:5]
	s_cbranch_execz .LBB34_145
; %bb.142:
	v_subrev_u32_e32 v85, 20, v0
	s_movk_i32 s14, 0xe0
	s_mov_b64 s[4:5], 0
.LBB34_143:                             ; =>This Inner Loop Header: Depth=1
	buffer_load_dword v86, v83, s[0:3], 0 offen
	v_mov_b32_e32 v87, s14
	ds_read_b32 v87, v87
	v_add_u32_e32 v85, -1, v85
	s_add_i32 s14, s14, 4
	v_cmp_eq_u32_e32 vcc, 0, v85
	v_add_u32_e32 v83, 4, v83
	s_or_b64 s[4:5], vcc, s[4:5]
	s_waitcnt vmcnt(0) lgkmcnt(0)
	v_fmac_f32_e32 v84, v86, v87
	s_andn2_b64 exec, exec, s[4:5]
	s_cbranch_execnz .LBB34_143
; %bb.144:
	s_or_b64 exec, exec, s[4:5]
.LBB34_145:
	s_or_b64 exec, exec, s[12:13]
	v_mov_b32_e32 v83, 0
	ds_read_b32 v83, v83 offset:76
	s_waitcnt lgkmcnt(0)
	v_mul_f32_e32 v83, v84, v83
	buffer_store_dword v83, off, s[0:3], 0 offset:76
.LBB34_146:
	s_or_b64 exec, exec, s[8:9]
	buffer_load_dword v83, off, s[0:3], 0 offset:72
	v_cmp_lt_u32_e64 s[4:5], 18, v0
	s_waitcnt vmcnt(0)
	ds_write_b32 v72, v83
	s_waitcnt lgkmcnt(0)
	; wave barrier
	s_waitcnt lgkmcnt(0)
	s_and_saveexec_b64 s[8:9], s[4:5]
	s_cbranch_execz .LBB34_156
; %bb.147:
	s_andn2_b64 vcc, exec, s[10:11]
	s_cbranch_vccnz .LBB34_149
; %bb.148:
	buffer_load_dword v83, v73, s[0:3], 0 offen
	ds_read_b32 v84, v72
	s_waitcnt vmcnt(0) lgkmcnt(0)
	v_mul_f32_e32 v83, v83, v84
	s_cbranch_execz .LBB34_150
	s_branch .LBB34_151
.LBB34_149:
                                        ; implicit-def: $vgpr83
.LBB34_150:
	ds_read_b32 v83, v72
.LBB34_151:
	s_and_saveexec_b64 s[12:13], s[6:7]
	s_cbranch_execz .LBB34_155
; %bb.152:
	v_mov_b32_e32 v84, 0
	v_add_u32_e32 v84, 0x4c, v84
	v_subrev_u32_e32 v85, 19, v0
	s_movk_i32 s14, 0xdc
	s_mov_b64 s[6:7], 0
.LBB34_153:                             ; =>This Inner Loop Header: Depth=1
	buffer_load_dword v86, v84, s[0:3], 0 offen
	v_mov_b32_e32 v87, s14
	ds_read_b32 v87, v87
	v_add_u32_e32 v85, -1, v85
	s_add_i32 s14, s14, 4
	v_cmp_eq_u32_e32 vcc, 0, v85
	v_add_u32_e32 v84, 4, v84
	s_or_b64 s[6:7], vcc, s[6:7]
	s_waitcnt vmcnt(0) lgkmcnt(0)
	v_fmac_f32_e32 v83, v86, v87
	s_andn2_b64 exec, exec, s[6:7]
	s_cbranch_execnz .LBB34_153
; %bb.154:
	s_or_b64 exec, exec, s[6:7]
.LBB34_155:
	s_or_b64 exec, exec, s[12:13]
	v_mov_b32_e32 v84, 0
	ds_read_b32 v84, v84 offset:72
	s_waitcnt lgkmcnt(0)
	v_mul_f32_e32 v83, v83, v84
	buffer_store_dword v83, off, s[0:3], 0 offset:72
.LBB34_156:
	s_or_b64 exec, exec, s[8:9]
	buffer_load_dword v83, off, s[0:3], 0 offset:68
	v_cmp_lt_u32_e64 s[6:7], 17, v0
	s_waitcnt vmcnt(0)
	ds_write_b32 v72, v83
	s_waitcnt lgkmcnt(0)
	; wave barrier
	s_waitcnt lgkmcnt(0)
	s_and_saveexec_b64 s[8:9], s[6:7]
	s_cbranch_execz .LBB34_166
; %bb.157:
	s_andn2_b64 vcc, exec, s[10:11]
	s_cbranch_vccnz .LBB34_159
; %bb.158:
	buffer_load_dword v83, v73, s[0:3], 0 offen
	ds_read_b32 v84, v72
	s_waitcnt vmcnt(0) lgkmcnt(0)
	v_mul_f32_e32 v83, v83, v84
	s_cbranch_execz .LBB34_160
	s_branch .LBB34_161
.LBB34_159:
                                        ; implicit-def: $vgpr83
.LBB34_160:
	ds_read_b32 v83, v72
.LBB34_161:
	s_and_saveexec_b64 s[12:13], s[4:5]
	s_cbranch_execz .LBB34_165
; %bb.162:
	v_subrev_u32_e32 v84, 18, v0
	s_movk_i32 s14, 0xd8
	s_mov_b64 s[4:5], 0
.LBB34_163:                             ; =>This Inner Loop Header: Depth=1
	buffer_load_dword v85, v82, s[0:3], 0 offen
	v_mov_b32_e32 v86, s14
	ds_read_b32 v86, v86
	v_add_u32_e32 v84, -1, v84
	s_add_i32 s14, s14, 4
	v_cmp_eq_u32_e32 vcc, 0, v84
	v_add_u32_e32 v82, 4, v82
	s_or_b64 s[4:5], vcc, s[4:5]
	s_waitcnt vmcnt(0) lgkmcnt(0)
	v_fmac_f32_e32 v83, v85, v86
	s_andn2_b64 exec, exec, s[4:5]
	s_cbranch_execnz .LBB34_163
; %bb.164:
	s_or_b64 exec, exec, s[4:5]
.LBB34_165:
	s_or_b64 exec, exec, s[12:13]
	v_mov_b32_e32 v82, 0
	ds_read_b32 v82, v82 offset:68
	s_waitcnt lgkmcnt(0)
	v_mul_f32_e32 v82, v83, v82
	buffer_store_dword v82, off, s[0:3], 0 offset:68
.LBB34_166:
	s_or_b64 exec, exec, s[8:9]
	buffer_load_dword v82, off, s[0:3], 0 offset:64
	v_cmp_lt_u32_e64 s[4:5], 16, v0
	s_waitcnt vmcnt(0)
	ds_write_b32 v72, v82
	s_waitcnt lgkmcnt(0)
	; wave barrier
	s_waitcnt lgkmcnt(0)
	s_and_saveexec_b64 s[8:9], s[4:5]
	s_cbranch_execz .LBB34_176
; %bb.167:
	s_andn2_b64 vcc, exec, s[10:11]
	s_cbranch_vccnz .LBB34_169
; %bb.168:
	buffer_load_dword v82, v73, s[0:3], 0 offen
	ds_read_b32 v83, v72
	s_waitcnt vmcnt(0) lgkmcnt(0)
	v_mul_f32_e32 v82, v82, v83
	s_cbranch_execz .LBB34_170
	s_branch .LBB34_171
.LBB34_169:
                                        ; implicit-def: $vgpr82
.LBB34_170:
	ds_read_b32 v82, v72
.LBB34_171:
	s_and_saveexec_b64 s[12:13], s[6:7]
	s_cbranch_execz .LBB34_175
; %bb.172:
	v_mov_b32_e32 v83, 0
	v_add_u32_e32 v83, 0x44, v83
	v_subrev_u32_e32 v84, 17, v0
	s_movk_i32 s14, 0xd4
	s_mov_b64 s[6:7], 0
.LBB34_173:                             ; =>This Inner Loop Header: Depth=1
	buffer_load_dword v85, v83, s[0:3], 0 offen
	v_mov_b32_e32 v86, s14
	ds_read_b32 v86, v86
	v_add_u32_e32 v84, -1, v84
	s_add_i32 s14, s14, 4
	v_cmp_eq_u32_e32 vcc, 0, v84
	v_add_u32_e32 v83, 4, v83
	s_or_b64 s[6:7], vcc, s[6:7]
	s_waitcnt vmcnt(0) lgkmcnt(0)
	v_fmac_f32_e32 v82, v85, v86
	s_andn2_b64 exec, exec, s[6:7]
	s_cbranch_execnz .LBB34_173
; %bb.174:
	s_or_b64 exec, exec, s[6:7]
.LBB34_175:
	s_or_b64 exec, exec, s[12:13]
	v_mov_b32_e32 v83, 0
	ds_read_b32 v83, v83 offset:64
	s_waitcnt lgkmcnt(0)
	v_mul_f32_e32 v82, v82, v83
	buffer_store_dword v82, off, s[0:3], 0 offset:64
.LBB34_176:
	s_or_b64 exec, exec, s[8:9]
	buffer_load_dword v82, off, s[0:3], 0 offset:60
	v_cmp_lt_u32_e64 s[6:7], 15, v0
	s_waitcnt vmcnt(0)
	ds_write_b32 v72, v82
	s_waitcnt lgkmcnt(0)
	; wave barrier
	s_waitcnt lgkmcnt(0)
	s_and_saveexec_b64 s[8:9], s[6:7]
	s_cbranch_execz .LBB34_186
; %bb.177:
	s_andn2_b64 vcc, exec, s[10:11]
	s_cbranch_vccnz .LBB34_179
; %bb.178:
	buffer_load_dword v82, v73, s[0:3], 0 offen
	ds_read_b32 v83, v72
	s_waitcnt vmcnt(0) lgkmcnt(0)
	v_mul_f32_e32 v82, v82, v83
	s_cbranch_execz .LBB34_180
	s_branch .LBB34_181
.LBB34_179:
                                        ; implicit-def: $vgpr82
.LBB34_180:
	ds_read_b32 v82, v72
.LBB34_181:
	s_and_saveexec_b64 s[12:13], s[4:5]
	s_cbranch_execz .LBB34_185
; %bb.182:
	v_add_u32_e32 v83, -16, v0
	s_movk_i32 s14, 0xd0
	s_mov_b64 s[4:5], 0
.LBB34_183:                             ; =>This Inner Loop Header: Depth=1
	buffer_load_dword v84, v81, s[0:3], 0 offen
	v_mov_b32_e32 v85, s14
	ds_read_b32 v85, v85
	v_add_u32_e32 v83, -1, v83
	s_add_i32 s14, s14, 4
	v_cmp_eq_u32_e32 vcc, 0, v83
	v_add_u32_e32 v81, 4, v81
	s_or_b64 s[4:5], vcc, s[4:5]
	s_waitcnt vmcnt(0) lgkmcnt(0)
	v_fmac_f32_e32 v82, v84, v85
	s_andn2_b64 exec, exec, s[4:5]
	s_cbranch_execnz .LBB34_183
; %bb.184:
	s_or_b64 exec, exec, s[4:5]
.LBB34_185:
	s_or_b64 exec, exec, s[12:13]
	v_mov_b32_e32 v81, 0
	ds_read_b32 v81, v81 offset:60
	s_waitcnt lgkmcnt(0)
	v_mul_f32_e32 v81, v82, v81
	buffer_store_dword v81, off, s[0:3], 0 offset:60
.LBB34_186:
	s_or_b64 exec, exec, s[8:9]
	buffer_load_dword v81, off, s[0:3], 0 offset:56
	v_cmp_lt_u32_e64 s[4:5], 14, v0
	s_waitcnt vmcnt(0)
	ds_write_b32 v72, v81
	s_waitcnt lgkmcnt(0)
	; wave barrier
	s_waitcnt lgkmcnt(0)
	s_and_saveexec_b64 s[8:9], s[4:5]
	s_cbranch_execz .LBB34_196
; %bb.187:
	s_andn2_b64 vcc, exec, s[10:11]
	s_cbranch_vccnz .LBB34_189
; %bb.188:
	buffer_load_dword v81, v73, s[0:3], 0 offen
	ds_read_b32 v82, v72
	s_waitcnt vmcnt(0) lgkmcnt(0)
	v_mul_f32_e32 v81, v81, v82
	s_cbranch_execz .LBB34_190
	s_branch .LBB34_191
.LBB34_189:
                                        ; implicit-def: $vgpr81
.LBB34_190:
	ds_read_b32 v81, v72
.LBB34_191:
	s_and_saveexec_b64 s[12:13], s[6:7]
	s_cbranch_execz .LBB34_195
; %bb.192:
	v_mov_b32_e32 v82, 0
	v_add_u32_e32 v82, 60, v82
	v_add_u32_e32 v83, -15, v0
	s_movk_i32 s14, 0xcc
	s_mov_b64 s[6:7], 0
.LBB34_193:                             ; =>This Inner Loop Header: Depth=1
	buffer_load_dword v84, v82, s[0:3], 0 offen
	v_mov_b32_e32 v85, s14
	ds_read_b32 v85, v85
	v_add_u32_e32 v83, -1, v83
	s_add_i32 s14, s14, 4
	v_cmp_eq_u32_e32 vcc, 0, v83
	v_add_u32_e32 v82, 4, v82
	s_or_b64 s[6:7], vcc, s[6:7]
	s_waitcnt vmcnt(0) lgkmcnt(0)
	v_fmac_f32_e32 v81, v84, v85
	s_andn2_b64 exec, exec, s[6:7]
	s_cbranch_execnz .LBB34_193
; %bb.194:
	s_or_b64 exec, exec, s[6:7]
.LBB34_195:
	s_or_b64 exec, exec, s[12:13]
	v_mov_b32_e32 v82, 0
	ds_read_b32 v82, v82 offset:56
	s_waitcnt lgkmcnt(0)
	v_mul_f32_e32 v81, v81, v82
	buffer_store_dword v81, off, s[0:3], 0 offset:56
.LBB34_196:
	s_or_b64 exec, exec, s[8:9]
	buffer_load_dword v81, off, s[0:3], 0 offset:52
	v_cmp_lt_u32_e64 s[6:7], 13, v0
	s_waitcnt vmcnt(0)
	ds_write_b32 v72, v81
	s_waitcnt lgkmcnt(0)
	; wave barrier
	s_waitcnt lgkmcnt(0)
	s_and_saveexec_b64 s[8:9], s[6:7]
	s_cbranch_execz .LBB34_206
; %bb.197:
	s_andn2_b64 vcc, exec, s[10:11]
	s_cbranch_vccnz .LBB34_199
; %bb.198:
	buffer_load_dword v81, v73, s[0:3], 0 offen
	ds_read_b32 v82, v72
	s_waitcnt vmcnt(0) lgkmcnt(0)
	v_mul_f32_e32 v81, v81, v82
	s_cbranch_execz .LBB34_200
	s_branch .LBB34_201
.LBB34_199:
                                        ; implicit-def: $vgpr81
.LBB34_200:
	ds_read_b32 v81, v72
.LBB34_201:
	s_and_saveexec_b64 s[12:13], s[4:5]
	s_cbranch_execz .LBB34_205
; %bb.202:
	v_add_u32_e32 v82, -14, v0
	s_movk_i32 s14, 0xc8
	s_mov_b64 s[4:5], 0
.LBB34_203:                             ; =>This Inner Loop Header: Depth=1
	buffer_load_dword v83, v80, s[0:3], 0 offen
	v_mov_b32_e32 v84, s14
	ds_read_b32 v84, v84
	v_add_u32_e32 v82, -1, v82
	s_add_i32 s14, s14, 4
	v_cmp_eq_u32_e32 vcc, 0, v82
	v_add_u32_e32 v80, 4, v80
	s_or_b64 s[4:5], vcc, s[4:5]
	s_waitcnt vmcnt(0) lgkmcnt(0)
	v_fmac_f32_e32 v81, v83, v84
	s_andn2_b64 exec, exec, s[4:5]
	s_cbranch_execnz .LBB34_203
; %bb.204:
	s_or_b64 exec, exec, s[4:5]
.LBB34_205:
	s_or_b64 exec, exec, s[12:13]
	v_mov_b32_e32 v80, 0
	ds_read_b32 v80, v80 offset:52
	s_waitcnt lgkmcnt(0)
	v_mul_f32_e32 v80, v81, v80
	buffer_store_dword v80, off, s[0:3], 0 offset:52
.LBB34_206:
	s_or_b64 exec, exec, s[8:9]
	buffer_load_dword v80, off, s[0:3], 0 offset:48
	v_cmp_lt_u32_e64 s[4:5], 12, v0
	s_waitcnt vmcnt(0)
	ds_write_b32 v72, v80
	s_waitcnt lgkmcnt(0)
	; wave barrier
	s_waitcnt lgkmcnt(0)
	s_and_saveexec_b64 s[8:9], s[4:5]
	s_cbranch_execz .LBB34_216
; %bb.207:
	s_andn2_b64 vcc, exec, s[10:11]
	s_cbranch_vccnz .LBB34_209
; %bb.208:
	buffer_load_dword v80, v73, s[0:3], 0 offen
	ds_read_b32 v81, v72
	s_waitcnt vmcnt(0) lgkmcnt(0)
	v_mul_f32_e32 v80, v80, v81
	s_cbranch_execz .LBB34_210
	s_branch .LBB34_211
.LBB34_209:
                                        ; implicit-def: $vgpr80
.LBB34_210:
	ds_read_b32 v80, v72
.LBB34_211:
	s_and_saveexec_b64 s[12:13], s[6:7]
	s_cbranch_execz .LBB34_215
; %bb.212:
	v_mov_b32_e32 v81, 0
	v_add_u32_e32 v81, 52, v81
	v_add_u32_e32 v82, -13, v0
	s_movk_i32 s14, 0xc4
	s_mov_b64 s[6:7], 0
.LBB34_213:                             ; =>This Inner Loop Header: Depth=1
	buffer_load_dword v83, v81, s[0:3], 0 offen
	v_mov_b32_e32 v84, s14
	ds_read_b32 v84, v84
	v_add_u32_e32 v82, -1, v82
	s_add_i32 s14, s14, 4
	v_cmp_eq_u32_e32 vcc, 0, v82
	v_add_u32_e32 v81, 4, v81
	s_or_b64 s[6:7], vcc, s[6:7]
	s_waitcnt vmcnt(0) lgkmcnt(0)
	v_fmac_f32_e32 v80, v83, v84
	s_andn2_b64 exec, exec, s[6:7]
	s_cbranch_execnz .LBB34_213
; %bb.214:
	s_or_b64 exec, exec, s[6:7]
.LBB34_215:
	s_or_b64 exec, exec, s[12:13]
	v_mov_b32_e32 v81, 0
	ds_read_b32 v81, v81 offset:48
	s_waitcnt lgkmcnt(0)
	v_mul_f32_e32 v80, v80, v81
	buffer_store_dword v80, off, s[0:3], 0 offset:48
.LBB34_216:
	s_or_b64 exec, exec, s[8:9]
	buffer_load_dword v80, off, s[0:3], 0 offset:44
	v_cmp_lt_u32_e64 s[6:7], 11, v0
	s_waitcnt vmcnt(0)
	ds_write_b32 v72, v80
	s_waitcnt lgkmcnt(0)
	; wave barrier
	s_waitcnt lgkmcnt(0)
	s_and_saveexec_b64 s[8:9], s[6:7]
	s_cbranch_execz .LBB34_226
; %bb.217:
	s_andn2_b64 vcc, exec, s[10:11]
	s_cbranch_vccnz .LBB34_219
; %bb.218:
	buffer_load_dword v80, v73, s[0:3], 0 offen
	ds_read_b32 v81, v72
	s_waitcnt vmcnt(0) lgkmcnt(0)
	v_mul_f32_e32 v80, v80, v81
	s_cbranch_execz .LBB34_220
	s_branch .LBB34_221
.LBB34_219:
                                        ; implicit-def: $vgpr80
.LBB34_220:
	ds_read_b32 v80, v72
.LBB34_221:
	s_and_saveexec_b64 s[12:13], s[4:5]
	s_cbranch_execz .LBB34_225
; %bb.222:
	v_add_u32_e32 v81, -12, v0
	s_movk_i32 s14, 0xc0
	s_mov_b64 s[4:5], 0
.LBB34_223:                             ; =>This Inner Loop Header: Depth=1
	buffer_load_dword v82, v79, s[0:3], 0 offen
	v_mov_b32_e32 v83, s14
	ds_read_b32 v83, v83
	v_add_u32_e32 v81, -1, v81
	s_add_i32 s14, s14, 4
	v_cmp_eq_u32_e32 vcc, 0, v81
	v_add_u32_e32 v79, 4, v79
	s_or_b64 s[4:5], vcc, s[4:5]
	s_waitcnt vmcnt(0) lgkmcnt(0)
	v_fmac_f32_e32 v80, v82, v83
	s_andn2_b64 exec, exec, s[4:5]
	s_cbranch_execnz .LBB34_223
; %bb.224:
	s_or_b64 exec, exec, s[4:5]
.LBB34_225:
	s_or_b64 exec, exec, s[12:13]
	v_mov_b32_e32 v79, 0
	ds_read_b32 v79, v79 offset:44
	s_waitcnt lgkmcnt(0)
	v_mul_f32_e32 v79, v80, v79
	buffer_store_dword v79, off, s[0:3], 0 offset:44
.LBB34_226:
	s_or_b64 exec, exec, s[8:9]
	buffer_load_dword v79, off, s[0:3], 0 offset:40
	v_cmp_lt_u32_e64 s[4:5], 10, v0
	s_waitcnt vmcnt(0)
	ds_write_b32 v72, v79
	s_waitcnt lgkmcnt(0)
	; wave barrier
	s_waitcnt lgkmcnt(0)
	s_and_saveexec_b64 s[8:9], s[4:5]
	s_cbranch_execz .LBB34_236
; %bb.227:
	s_andn2_b64 vcc, exec, s[10:11]
	s_cbranch_vccnz .LBB34_229
; %bb.228:
	buffer_load_dword v79, v73, s[0:3], 0 offen
	ds_read_b32 v80, v72
	s_waitcnt vmcnt(0) lgkmcnt(0)
	v_mul_f32_e32 v79, v79, v80
	s_cbranch_execz .LBB34_230
	s_branch .LBB34_231
.LBB34_229:
                                        ; implicit-def: $vgpr79
.LBB34_230:
	ds_read_b32 v79, v72
.LBB34_231:
	s_and_saveexec_b64 s[12:13], s[6:7]
	s_cbranch_execz .LBB34_235
; %bb.232:
	v_mov_b32_e32 v80, 0
	v_add_u32_e32 v80, 44, v80
	v_add_u32_e32 v81, -11, v0
	s_movk_i32 s14, 0xbc
	s_mov_b64 s[6:7], 0
.LBB34_233:                             ; =>This Inner Loop Header: Depth=1
	buffer_load_dword v82, v80, s[0:3], 0 offen
	v_mov_b32_e32 v83, s14
	ds_read_b32 v83, v83
	v_add_u32_e32 v81, -1, v81
	s_add_i32 s14, s14, 4
	v_cmp_eq_u32_e32 vcc, 0, v81
	v_add_u32_e32 v80, 4, v80
	s_or_b64 s[6:7], vcc, s[6:7]
	s_waitcnt vmcnt(0) lgkmcnt(0)
	v_fmac_f32_e32 v79, v82, v83
	s_andn2_b64 exec, exec, s[6:7]
	s_cbranch_execnz .LBB34_233
; %bb.234:
	s_or_b64 exec, exec, s[6:7]
.LBB34_235:
	s_or_b64 exec, exec, s[12:13]
	v_mov_b32_e32 v80, 0
	ds_read_b32 v80, v80 offset:40
	s_waitcnt lgkmcnt(0)
	v_mul_f32_e32 v79, v79, v80
	buffer_store_dword v79, off, s[0:3], 0 offset:40
.LBB34_236:
	s_or_b64 exec, exec, s[8:9]
	buffer_load_dword v79, off, s[0:3], 0 offset:36
	v_cmp_lt_u32_e64 s[6:7], 9, v0
	s_waitcnt vmcnt(0)
	ds_write_b32 v72, v79
	s_waitcnt lgkmcnt(0)
	; wave barrier
	s_waitcnt lgkmcnt(0)
	s_and_saveexec_b64 s[8:9], s[6:7]
	s_cbranch_execz .LBB34_246
; %bb.237:
	s_andn2_b64 vcc, exec, s[10:11]
	s_cbranch_vccnz .LBB34_239
; %bb.238:
	buffer_load_dword v79, v73, s[0:3], 0 offen
	ds_read_b32 v80, v72
	s_waitcnt vmcnt(0) lgkmcnt(0)
	v_mul_f32_e32 v79, v79, v80
	s_cbranch_execz .LBB34_240
	s_branch .LBB34_241
.LBB34_239:
                                        ; implicit-def: $vgpr79
.LBB34_240:
	ds_read_b32 v79, v72
.LBB34_241:
	s_and_saveexec_b64 s[12:13], s[4:5]
	s_cbranch_execz .LBB34_245
; %bb.242:
	v_add_u32_e32 v80, -10, v0
	s_movk_i32 s14, 0xb8
	s_mov_b64 s[4:5], 0
.LBB34_243:                             ; =>This Inner Loop Header: Depth=1
	buffer_load_dword v81, v78, s[0:3], 0 offen
	v_mov_b32_e32 v82, s14
	ds_read_b32 v82, v82
	v_add_u32_e32 v80, -1, v80
	s_add_i32 s14, s14, 4
	v_cmp_eq_u32_e32 vcc, 0, v80
	v_add_u32_e32 v78, 4, v78
	s_or_b64 s[4:5], vcc, s[4:5]
	s_waitcnt vmcnt(0) lgkmcnt(0)
	v_fmac_f32_e32 v79, v81, v82
	s_andn2_b64 exec, exec, s[4:5]
	s_cbranch_execnz .LBB34_243
; %bb.244:
	s_or_b64 exec, exec, s[4:5]
.LBB34_245:
	s_or_b64 exec, exec, s[12:13]
	v_mov_b32_e32 v78, 0
	ds_read_b32 v78, v78 offset:36
	s_waitcnt lgkmcnt(0)
	v_mul_f32_e32 v78, v79, v78
	buffer_store_dword v78, off, s[0:3], 0 offset:36
.LBB34_246:
	s_or_b64 exec, exec, s[8:9]
	buffer_load_dword v78, off, s[0:3], 0 offset:32
	v_cmp_lt_u32_e64 s[4:5], 8, v0
	s_waitcnt vmcnt(0)
	ds_write_b32 v72, v78
	s_waitcnt lgkmcnt(0)
	; wave barrier
	s_waitcnt lgkmcnt(0)
	s_and_saveexec_b64 s[8:9], s[4:5]
	s_cbranch_execz .LBB34_256
; %bb.247:
	s_andn2_b64 vcc, exec, s[10:11]
	s_cbranch_vccnz .LBB34_249
; %bb.248:
	buffer_load_dword v78, v73, s[0:3], 0 offen
	ds_read_b32 v79, v72
	s_waitcnt vmcnt(0) lgkmcnt(0)
	v_mul_f32_e32 v78, v78, v79
	s_cbranch_execz .LBB34_250
	s_branch .LBB34_251
.LBB34_249:
                                        ; implicit-def: $vgpr78
.LBB34_250:
	ds_read_b32 v78, v72
.LBB34_251:
	s_and_saveexec_b64 s[12:13], s[6:7]
	s_cbranch_execz .LBB34_255
; %bb.252:
	v_mov_b32_e32 v79, 0
	v_add_u32_e32 v79, 36, v79
	v_add_u32_e32 v80, -9, v0
	s_movk_i32 s14, 0xb4
	s_mov_b64 s[6:7], 0
.LBB34_253:                             ; =>This Inner Loop Header: Depth=1
	buffer_load_dword v81, v79, s[0:3], 0 offen
	v_mov_b32_e32 v82, s14
	ds_read_b32 v82, v82
	v_add_u32_e32 v80, -1, v80
	s_add_i32 s14, s14, 4
	v_cmp_eq_u32_e32 vcc, 0, v80
	v_add_u32_e32 v79, 4, v79
	s_or_b64 s[6:7], vcc, s[6:7]
	s_waitcnt vmcnt(0) lgkmcnt(0)
	v_fmac_f32_e32 v78, v81, v82
	s_andn2_b64 exec, exec, s[6:7]
	s_cbranch_execnz .LBB34_253
; %bb.254:
	s_or_b64 exec, exec, s[6:7]
.LBB34_255:
	s_or_b64 exec, exec, s[12:13]
	v_mov_b32_e32 v79, 0
	ds_read_b32 v79, v79 offset:32
	s_waitcnt lgkmcnt(0)
	v_mul_f32_e32 v78, v78, v79
	buffer_store_dword v78, off, s[0:3], 0 offset:32
.LBB34_256:
	s_or_b64 exec, exec, s[8:9]
	buffer_load_dword v78, off, s[0:3], 0 offset:28
	v_cmp_lt_u32_e64 s[6:7], 7, v0
	s_waitcnt vmcnt(0)
	ds_write_b32 v72, v78
	s_waitcnt lgkmcnt(0)
	; wave barrier
	s_waitcnt lgkmcnt(0)
	s_and_saveexec_b64 s[8:9], s[6:7]
	s_cbranch_execz .LBB34_266
; %bb.257:
	s_andn2_b64 vcc, exec, s[10:11]
	s_cbranch_vccnz .LBB34_259
; %bb.258:
	buffer_load_dword v78, v73, s[0:3], 0 offen
	ds_read_b32 v79, v72
	s_waitcnt vmcnt(0) lgkmcnt(0)
	v_mul_f32_e32 v78, v78, v79
	s_cbranch_execz .LBB34_260
	s_branch .LBB34_261
.LBB34_259:
                                        ; implicit-def: $vgpr78
.LBB34_260:
	ds_read_b32 v78, v72
.LBB34_261:
	s_and_saveexec_b64 s[12:13], s[4:5]
	s_cbranch_execz .LBB34_265
; %bb.262:
	v_add_u32_e32 v79, -8, v0
	s_movk_i32 s14, 0xb0
	s_mov_b64 s[4:5], 0
.LBB34_263:                             ; =>This Inner Loop Header: Depth=1
	buffer_load_dword v80, v77, s[0:3], 0 offen
	v_mov_b32_e32 v81, s14
	ds_read_b32 v81, v81
	v_add_u32_e32 v79, -1, v79
	s_add_i32 s14, s14, 4
	v_cmp_eq_u32_e32 vcc, 0, v79
	v_add_u32_e32 v77, 4, v77
	s_or_b64 s[4:5], vcc, s[4:5]
	s_waitcnt vmcnt(0) lgkmcnt(0)
	v_fmac_f32_e32 v78, v80, v81
	s_andn2_b64 exec, exec, s[4:5]
	s_cbranch_execnz .LBB34_263
; %bb.264:
	s_or_b64 exec, exec, s[4:5]
.LBB34_265:
	s_or_b64 exec, exec, s[12:13]
	v_mov_b32_e32 v77, 0
	ds_read_b32 v77, v77 offset:28
	s_waitcnt lgkmcnt(0)
	v_mul_f32_e32 v77, v78, v77
	buffer_store_dword v77, off, s[0:3], 0 offset:28
.LBB34_266:
	s_or_b64 exec, exec, s[8:9]
	buffer_load_dword v77, off, s[0:3], 0 offset:24
	v_cmp_lt_u32_e64 s[4:5], 6, v0
	s_waitcnt vmcnt(0)
	ds_write_b32 v72, v77
	s_waitcnt lgkmcnt(0)
	; wave barrier
	s_waitcnt lgkmcnt(0)
	s_and_saveexec_b64 s[8:9], s[4:5]
	s_cbranch_execz .LBB34_276
; %bb.267:
	s_andn2_b64 vcc, exec, s[10:11]
	s_cbranch_vccnz .LBB34_269
; %bb.268:
	buffer_load_dword v77, v73, s[0:3], 0 offen
	ds_read_b32 v78, v72
	s_waitcnt vmcnt(0) lgkmcnt(0)
	v_mul_f32_e32 v77, v77, v78
	s_cbranch_execz .LBB34_270
	s_branch .LBB34_271
.LBB34_269:
                                        ; implicit-def: $vgpr77
.LBB34_270:
	ds_read_b32 v77, v72
.LBB34_271:
	s_and_saveexec_b64 s[12:13], s[6:7]
	s_cbranch_execz .LBB34_275
; %bb.272:
	v_mov_b32_e32 v78, 0
	v_add_u32_e32 v78, 28, v78
	v_add_u32_e32 v79, -7, v0
	s_movk_i32 s14, 0xac
	s_mov_b64 s[6:7], 0
.LBB34_273:                             ; =>This Inner Loop Header: Depth=1
	buffer_load_dword v80, v78, s[0:3], 0 offen
	v_mov_b32_e32 v81, s14
	ds_read_b32 v81, v81
	v_add_u32_e32 v79, -1, v79
	s_add_i32 s14, s14, 4
	v_cmp_eq_u32_e32 vcc, 0, v79
	v_add_u32_e32 v78, 4, v78
	s_or_b64 s[6:7], vcc, s[6:7]
	s_waitcnt vmcnt(0) lgkmcnt(0)
	v_fmac_f32_e32 v77, v80, v81
	s_andn2_b64 exec, exec, s[6:7]
	s_cbranch_execnz .LBB34_273
; %bb.274:
	s_or_b64 exec, exec, s[6:7]
.LBB34_275:
	s_or_b64 exec, exec, s[12:13]
	v_mov_b32_e32 v78, 0
	ds_read_b32 v78, v78 offset:24
	s_waitcnt lgkmcnt(0)
	v_mul_f32_e32 v77, v77, v78
	buffer_store_dword v77, off, s[0:3], 0 offset:24
.LBB34_276:
	s_or_b64 exec, exec, s[8:9]
	buffer_load_dword v77, off, s[0:3], 0 offset:20
	v_cmp_lt_u32_e64 s[6:7], 5, v0
	s_waitcnt vmcnt(0)
	ds_write_b32 v72, v77
	s_waitcnt lgkmcnt(0)
	; wave barrier
	s_waitcnt lgkmcnt(0)
	s_and_saveexec_b64 s[8:9], s[6:7]
	s_cbranch_execz .LBB34_286
; %bb.277:
	s_andn2_b64 vcc, exec, s[10:11]
	s_cbranch_vccnz .LBB34_279
; %bb.278:
	buffer_load_dword v77, v73, s[0:3], 0 offen
	ds_read_b32 v78, v72
	s_waitcnt vmcnt(0) lgkmcnt(0)
	v_mul_f32_e32 v77, v77, v78
	s_cbranch_execz .LBB34_280
	s_branch .LBB34_281
.LBB34_279:
                                        ; implicit-def: $vgpr77
.LBB34_280:
	ds_read_b32 v77, v72
.LBB34_281:
	s_and_saveexec_b64 s[12:13], s[4:5]
	s_cbranch_execz .LBB34_285
; %bb.282:
	v_add_u32_e32 v78, -6, v0
	s_movk_i32 s14, 0xa8
	s_mov_b64 s[4:5], 0
.LBB34_283:                             ; =>This Inner Loop Header: Depth=1
	buffer_load_dword v79, v76, s[0:3], 0 offen
	v_mov_b32_e32 v80, s14
	ds_read_b32 v80, v80
	v_add_u32_e32 v78, -1, v78
	s_add_i32 s14, s14, 4
	v_cmp_eq_u32_e32 vcc, 0, v78
	v_add_u32_e32 v76, 4, v76
	s_or_b64 s[4:5], vcc, s[4:5]
	s_waitcnt vmcnt(0) lgkmcnt(0)
	v_fmac_f32_e32 v77, v79, v80
	s_andn2_b64 exec, exec, s[4:5]
	s_cbranch_execnz .LBB34_283
; %bb.284:
	s_or_b64 exec, exec, s[4:5]
.LBB34_285:
	s_or_b64 exec, exec, s[12:13]
	v_mov_b32_e32 v76, 0
	ds_read_b32 v76, v76 offset:20
	s_waitcnt lgkmcnt(0)
	v_mul_f32_e32 v76, v77, v76
	buffer_store_dword v76, off, s[0:3], 0 offset:20
.LBB34_286:
	s_or_b64 exec, exec, s[8:9]
	buffer_load_dword v76, off, s[0:3], 0 offset:16
	v_cmp_lt_u32_e64 s[4:5], 4, v0
	s_waitcnt vmcnt(0)
	ds_write_b32 v72, v76
	s_waitcnt lgkmcnt(0)
	; wave barrier
	s_waitcnt lgkmcnt(0)
	s_and_saveexec_b64 s[8:9], s[4:5]
	s_cbranch_execz .LBB34_296
; %bb.287:
	s_andn2_b64 vcc, exec, s[10:11]
	s_cbranch_vccnz .LBB34_289
; %bb.288:
	buffer_load_dword v76, v73, s[0:3], 0 offen
	ds_read_b32 v77, v72
	s_waitcnt vmcnt(0) lgkmcnt(0)
	v_mul_f32_e32 v76, v76, v77
	s_cbranch_execz .LBB34_290
	s_branch .LBB34_291
.LBB34_289:
                                        ; implicit-def: $vgpr76
.LBB34_290:
	ds_read_b32 v76, v72
.LBB34_291:
	s_and_saveexec_b64 s[12:13], s[6:7]
	s_cbranch_execz .LBB34_295
; %bb.292:
	v_mov_b32_e32 v77, 0
	v_add_u32_e32 v77, 20, v77
	v_add_u32_e32 v78, -5, v0
	s_movk_i32 s14, 0xa4
	s_mov_b64 s[6:7], 0
.LBB34_293:                             ; =>This Inner Loop Header: Depth=1
	buffer_load_dword v79, v77, s[0:3], 0 offen
	v_mov_b32_e32 v80, s14
	ds_read_b32 v80, v80
	v_add_u32_e32 v78, -1, v78
	s_add_i32 s14, s14, 4
	v_cmp_eq_u32_e32 vcc, 0, v78
	v_add_u32_e32 v77, 4, v77
	s_or_b64 s[6:7], vcc, s[6:7]
	s_waitcnt vmcnt(0) lgkmcnt(0)
	v_fmac_f32_e32 v76, v79, v80
	s_andn2_b64 exec, exec, s[6:7]
	s_cbranch_execnz .LBB34_293
; %bb.294:
	s_or_b64 exec, exec, s[6:7]
.LBB34_295:
	s_or_b64 exec, exec, s[12:13]
	v_mov_b32_e32 v77, 0
	ds_read_b32 v77, v77 offset:16
	s_waitcnt lgkmcnt(0)
	v_mul_f32_e32 v76, v76, v77
	buffer_store_dword v76, off, s[0:3], 0 offset:16
.LBB34_296:
	s_or_b64 exec, exec, s[8:9]
	buffer_load_dword v76, off, s[0:3], 0 offset:12
	v_cmp_lt_u32_e64 s[6:7], 3, v0
	s_waitcnt vmcnt(0)
	ds_write_b32 v72, v76
	s_waitcnt lgkmcnt(0)
	; wave barrier
	s_waitcnt lgkmcnt(0)
	s_and_saveexec_b64 s[8:9], s[6:7]
	s_cbranch_execz .LBB34_306
; %bb.297:
	s_andn2_b64 vcc, exec, s[10:11]
	s_cbranch_vccnz .LBB34_299
; %bb.298:
	buffer_load_dword v76, v73, s[0:3], 0 offen
	ds_read_b32 v77, v72
	s_waitcnt vmcnt(0) lgkmcnt(0)
	v_mul_f32_e32 v76, v76, v77
	s_cbranch_execz .LBB34_300
	s_branch .LBB34_301
.LBB34_299:
                                        ; implicit-def: $vgpr76
.LBB34_300:
	ds_read_b32 v76, v72
.LBB34_301:
	s_and_saveexec_b64 s[12:13], s[4:5]
	s_cbranch_execz .LBB34_305
; %bb.302:
	v_add_u32_e32 v77, -4, v0
	s_movk_i32 s14, 0xa0
	s_mov_b64 s[4:5], 0
.LBB34_303:                             ; =>This Inner Loop Header: Depth=1
	buffer_load_dword v78, v75, s[0:3], 0 offen
	v_mov_b32_e32 v79, s14
	ds_read_b32 v79, v79
	v_add_u32_e32 v77, -1, v77
	s_add_i32 s14, s14, 4
	v_cmp_eq_u32_e32 vcc, 0, v77
	v_add_u32_e32 v75, 4, v75
	s_or_b64 s[4:5], vcc, s[4:5]
	s_waitcnt vmcnt(0) lgkmcnt(0)
	v_fmac_f32_e32 v76, v78, v79
	s_andn2_b64 exec, exec, s[4:5]
	s_cbranch_execnz .LBB34_303
; %bb.304:
	s_or_b64 exec, exec, s[4:5]
.LBB34_305:
	s_or_b64 exec, exec, s[12:13]
	v_mov_b32_e32 v75, 0
	ds_read_b32 v75, v75 offset:12
	s_waitcnt lgkmcnt(0)
	v_mul_f32_e32 v75, v76, v75
	buffer_store_dword v75, off, s[0:3], 0 offset:12
.LBB34_306:
	s_or_b64 exec, exec, s[8:9]
	buffer_load_dword v75, off, s[0:3], 0 offset:8
	v_cmp_lt_u32_e64 s[4:5], 2, v0
	s_waitcnt vmcnt(0)
	ds_write_b32 v72, v75
	s_waitcnt lgkmcnt(0)
	; wave barrier
	s_waitcnt lgkmcnt(0)
	s_and_saveexec_b64 s[8:9], s[4:5]
	s_cbranch_execz .LBB34_316
; %bb.307:
	s_andn2_b64 vcc, exec, s[10:11]
	s_cbranch_vccnz .LBB34_309
; %bb.308:
	buffer_load_dword v75, v73, s[0:3], 0 offen
	ds_read_b32 v76, v72
	s_waitcnt vmcnt(0) lgkmcnt(0)
	v_mul_f32_e32 v75, v75, v76
	s_cbranch_execz .LBB34_310
	s_branch .LBB34_311
.LBB34_309:
                                        ; implicit-def: $vgpr75
.LBB34_310:
	ds_read_b32 v75, v72
.LBB34_311:
	s_and_saveexec_b64 s[12:13], s[6:7]
	s_cbranch_execz .LBB34_315
; %bb.312:
	v_mov_b32_e32 v76, 0
	v_or_b32_e32 v76, 12, v76
	v_add_u32_e32 v77, -3, v0
	s_movk_i32 s14, 0x9c
	s_mov_b64 s[6:7], 0
.LBB34_313:                             ; =>This Inner Loop Header: Depth=1
	buffer_load_dword v78, v76, s[0:3], 0 offen
	v_mov_b32_e32 v79, s14
	ds_read_b32 v79, v79
	v_add_u32_e32 v77, -1, v77
	s_add_i32 s14, s14, 4
	v_cmp_eq_u32_e32 vcc, 0, v77
	v_add_u32_e32 v76, 4, v76
	s_or_b64 s[6:7], vcc, s[6:7]
	s_waitcnt vmcnt(0) lgkmcnt(0)
	v_fmac_f32_e32 v75, v78, v79
	s_andn2_b64 exec, exec, s[6:7]
	s_cbranch_execnz .LBB34_313
; %bb.314:
	s_or_b64 exec, exec, s[6:7]
.LBB34_315:
	s_or_b64 exec, exec, s[12:13]
	v_mov_b32_e32 v76, 0
	ds_read_b32 v76, v76 offset:8
	s_waitcnt lgkmcnt(0)
	v_mul_f32_e32 v75, v75, v76
	buffer_store_dword v75, off, s[0:3], 0 offset:8
.LBB34_316:
	s_or_b64 exec, exec, s[8:9]
	buffer_load_dword v75, off, s[0:3], 0 offset:4
	v_cmp_lt_u32_e64 s[6:7], 1, v0
	s_waitcnt vmcnt(0)
	ds_write_b32 v72, v75
	s_waitcnt lgkmcnt(0)
	; wave barrier
	s_waitcnt lgkmcnt(0)
	s_and_saveexec_b64 s[8:9], s[6:7]
	s_cbranch_execz .LBB34_326
; %bb.317:
	s_andn2_b64 vcc, exec, s[10:11]
	s_cbranch_vccnz .LBB34_319
; %bb.318:
	buffer_load_dword v75, v73, s[0:3], 0 offen
	ds_read_b32 v76, v72
	s_waitcnt vmcnt(0) lgkmcnt(0)
	v_mul_f32_e32 v75, v75, v76
	s_cbranch_execz .LBB34_320
	s_branch .LBB34_321
.LBB34_319:
                                        ; implicit-def: $vgpr75
.LBB34_320:
	ds_read_b32 v75, v72
.LBB34_321:
	s_and_saveexec_b64 s[12:13], s[4:5]
	s_cbranch_execz .LBB34_325
; %bb.322:
	v_add_u32_e32 v76, -2, v0
	s_movk_i32 s14, 0x98
	s_mov_b64 s[4:5], 0
.LBB34_323:                             ; =>This Inner Loop Header: Depth=1
	buffer_load_dword v77, v74, s[0:3], 0 offen
	v_mov_b32_e32 v78, s14
	ds_read_b32 v78, v78
	v_add_u32_e32 v76, -1, v76
	s_add_i32 s14, s14, 4
	v_cmp_eq_u32_e32 vcc, 0, v76
	v_add_u32_e32 v74, 4, v74
	s_or_b64 s[4:5], vcc, s[4:5]
	s_waitcnt vmcnt(0) lgkmcnt(0)
	v_fmac_f32_e32 v75, v77, v78
	s_andn2_b64 exec, exec, s[4:5]
	s_cbranch_execnz .LBB34_323
; %bb.324:
	s_or_b64 exec, exec, s[4:5]
.LBB34_325:
	s_or_b64 exec, exec, s[12:13]
	v_mov_b32_e32 v74, 0
	ds_read_b32 v74, v74 offset:4
	s_waitcnt lgkmcnt(0)
	v_mul_f32_e32 v74, v75, v74
	buffer_store_dword v74, off, s[0:3], 0 offset:4
.LBB34_326:
	s_or_b64 exec, exec, s[8:9]
	buffer_load_dword v74, off, s[0:3], 0
	v_cmp_ne_u32_e32 vcc, 0, v0
	s_waitcnt vmcnt(0)
	ds_write_b32 v72, v74
	s_waitcnt lgkmcnt(0)
	; wave barrier
	s_waitcnt lgkmcnt(0)
	s_and_saveexec_b64 s[4:5], vcc
	s_cbranch_execz .LBB34_336
; %bb.327:
	s_andn2_b64 vcc, exec, s[10:11]
	s_cbranch_vccnz .LBB34_329
; %bb.328:
	buffer_load_dword v74, v73, s[0:3], 0 offen
	ds_read_b32 v75, v72
	s_waitcnt vmcnt(0) lgkmcnt(0)
	v_mul_f32_e32 v74, v74, v75
	s_cbranch_execz .LBB34_330
	s_branch .LBB34_331
.LBB34_329:
                                        ; implicit-def: $vgpr74
.LBB34_330:
	ds_read_b32 v74, v72
.LBB34_331:
	s_and_saveexec_b64 s[8:9], s[6:7]
	s_cbranch_execz .LBB34_335
; %bb.332:
	v_mov_b32_e32 v75, 0
	v_or_b32_e32 v75, 4, v75
	v_add_u32_e32 v76, -1, v0
	s_movk_i32 s12, 0x94
	s_mov_b64 s[6:7], 0
.LBB34_333:                             ; =>This Inner Loop Header: Depth=1
	buffer_load_dword v77, v75, s[0:3], 0 offen
	v_mov_b32_e32 v78, s12
	ds_read_b32 v78, v78
	v_add_u32_e32 v76, -1, v76
	s_add_i32 s12, s12, 4
	v_cmp_eq_u32_e32 vcc, 0, v76
	v_add_u32_e32 v75, 4, v75
	s_or_b64 s[6:7], vcc, s[6:7]
	s_waitcnt vmcnt(0) lgkmcnt(0)
	v_fmac_f32_e32 v74, v77, v78
	s_andn2_b64 exec, exec, s[6:7]
	s_cbranch_execnz .LBB34_333
; %bb.334:
	s_or_b64 exec, exec, s[6:7]
.LBB34_335:
	s_or_b64 exec, exec, s[8:9]
	v_mov_b32_e32 v75, 0
	ds_read_b32 v75, v75
	s_waitcnt lgkmcnt(0)
	v_mul_f32_e32 v74, v74, v75
	buffer_store_dword v74, off, s[0:3], 0
.LBB34_336:
	s_or_b64 exec, exec, s[4:5]
	s_mov_b64 s[4:5], 0
.LBB34_337:
	s_and_b64 vcc, exec, s[4:5]
	s_cbranch_vccz .LBB34_671
; %bb.338:
	buffer_load_dword v74, off, s[0:3], 0 offset:4
	v_cmp_eq_u32_e64 s[6:7], 0, v0
	s_waitcnt vmcnt(0)
	ds_write_b32 v72, v74
	s_waitcnt lgkmcnt(0)
	; wave barrier
	s_waitcnt lgkmcnt(0)
	s_and_saveexec_b64 s[4:5], s[6:7]
	s_cbranch_execz .LBB34_344
; %bb.339:
	s_and_b64 vcc, exec, s[10:11]
	s_cbranch_vccz .LBB34_341
; %bb.340:
	buffer_load_dword v74, v73, s[0:3], 0 offen
	ds_read_b32 v75, v72
	s_waitcnt vmcnt(0) lgkmcnt(0)
	v_mul_f32_e32 v74, v74, v75
	s_cbranch_execz .LBB34_342
	s_branch .LBB34_343
.LBB34_341:
                                        ; implicit-def: $vgpr74
.LBB34_342:
	ds_read_b32 v74, v72
.LBB34_343:
	v_mov_b32_e32 v75, 0
	ds_read_b32 v75, v75 offset:4
	s_waitcnt lgkmcnt(0)
	v_mul_f32_e32 v74, v74, v75
	buffer_store_dword v74, off, s[0:3], 0 offset:4
.LBB34_344:
	s_or_b64 exec, exec, s[4:5]
	buffer_load_dword v74, off, s[0:3], 0 offset:8
	v_cndmask_b32_e64 v75, 0, 1, s[10:11]
	v_cmp_gt_u32_e32 vcc, 2, v0
	v_cmp_ne_u32_e64 s[4:5], 1, v75
	s_waitcnt vmcnt(0)
	ds_write_b32 v72, v74
	s_waitcnt lgkmcnt(0)
	; wave barrier
	s_waitcnt lgkmcnt(0)
	s_and_saveexec_b64 s[8:9], vcc
	s_cbranch_execz .LBB34_352
; %bb.345:
	s_and_b64 vcc, exec, s[4:5]
	s_cbranch_vccnz .LBB34_347
; %bb.346:
	buffer_load_dword v74, v73, s[0:3], 0 offen
	ds_read_b32 v75, v72
	s_waitcnt vmcnt(0) lgkmcnt(0)
	v_mul_f32_e32 v74, v74, v75
	s_cbranch_execz .LBB34_348
	s_branch .LBB34_349
.LBB34_347:
                                        ; implicit-def: $vgpr74
.LBB34_348:
	ds_read_b32 v74, v72
.LBB34_349:
	s_and_saveexec_b64 s[10:11], s[6:7]
	s_cbranch_execz .LBB34_351
; %bb.350:
	buffer_load_dword v75, v73, s[0:3], 0 offen offset:4
	ds_read_b32 v76, v72 offset:4
	s_waitcnt vmcnt(0) lgkmcnt(0)
	v_fmac_f32_e32 v74, v75, v76
.LBB34_351:
	s_or_b64 exec, exec, s[10:11]
	v_mov_b32_e32 v75, 0
	ds_read_b32 v75, v75 offset:8
	s_waitcnt lgkmcnt(0)
	v_mul_f32_e32 v74, v74, v75
	buffer_store_dword v74, off, s[0:3], 0 offset:8
.LBB34_352:
	s_or_b64 exec, exec, s[8:9]
	buffer_load_dword v74, off, s[0:3], 0 offset:12
	v_cmp_gt_u32_e32 vcc, 3, v0
	s_waitcnt vmcnt(0)
	ds_write_b32 v72, v74
	s_waitcnt lgkmcnt(0)
	; wave barrier
	s_waitcnt lgkmcnt(0)
	s_and_saveexec_b64 s[8:9], vcc
	s_cbranch_execz .LBB34_360
; %bb.353:
	s_and_b64 vcc, exec, s[4:5]
	s_cbranch_vccnz .LBB34_355
; %bb.354:
	buffer_load_dword v74, v73, s[0:3], 0 offen
	ds_read_b32 v75, v72
	s_waitcnt vmcnt(0) lgkmcnt(0)
	v_mul_f32_e32 v74, v74, v75
	s_cbranch_execz .LBB34_356
	s_branch .LBB34_357
.LBB34_355:
                                        ; implicit-def: $vgpr74
.LBB34_356:
	ds_read_b32 v74, v72
.LBB34_357:
	v_cmp_ne_u32_e32 vcc, 2, v0
	s_and_saveexec_b64 s[10:11], vcc
	s_cbranch_execz .LBB34_359
; %bb.358:
	buffer_load_dword v75, v73, s[0:3], 0 offen offset:4
	buffer_load_dword v76, off, s[0:3], 0 offset:8
	v_mov_b32_e32 v77, 0
	ds_read_b32 v78, v72 offset:4
	ds_read_b32 v77, v77 offset:152
	s_waitcnt vmcnt(1) lgkmcnt(1)
	v_fmac_f32_e32 v74, v75, v78
	s_waitcnt vmcnt(0) lgkmcnt(0)
	v_fma_f32 v75, v76, v77, v74
	v_cndmask_b32_e64 v74, v74, v75, s[6:7]
.LBB34_359:
	s_or_b64 exec, exec, s[10:11]
	v_mov_b32_e32 v75, 0
	ds_read_b32 v75, v75 offset:12
	s_waitcnt lgkmcnt(0)
	v_mul_f32_e32 v74, v74, v75
	buffer_store_dword v74, off, s[0:3], 0 offset:12
.LBB34_360:
	s_or_b64 exec, exec, s[8:9]
	buffer_load_dword v74, off, s[0:3], 0 offset:16
	v_cmp_gt_u32_e32 vcc, 4, v0
	s_waitcnt vmcnt(0)
	ds_write_b32 v72, v74
	s_waitcnt lgkmcnt(0)
	; wave barrier
	s_waitcnt lgkmcnt(0)
	s_and_saveexec_b64 s[6:7], vcc
	s_cbranch_execz .LBB34_370
; %bb.361:
	s_and_b64 vcc, exec, s[4:5]
	s_cbranch_vccnz .LBB34_363
; %bb.362:
	buffer_load_dword v74, v73, s[0:3], 0 offen
	ds_read_b32 v75, v72
	s_waitcnt vmcnt(0) lgkmcnt(0)
	v_mul_f32_e32 v74, v74, v75
	s_cbranch_execz .LBB34_364
	s_branch .LBB34_365
.LBB34_363:
                                        ; implicit-def: $vgpr74
.LBB34_364:
	ds_read_b32 v74, v72
.LBB34_365:
	v_cmp_ne_u32_e32 vcc, 3, v0
	s_and_saveexec_b64 s[8:9], vcc
	s_cbranch_execz .LBB34_369
; %bb.366:
	v_mov_b32_e32 v76, 0
	v_add_u32_e32 v75, 0x94, v1
	v_add3_u32 v76, v1, v76, 4
	s_mov_b64 s[10:11], 0
	v_mov_b32_e32 v77, v0
.LBB34_367:                             ; =>This Inner Loop Header: Depth=1
	buffer_load_dword v78, v76, s[0:3], 0 offen
	ds_read_b32 v79, v75
	v_add_u32_e32 v77, 1, v77
	v_cmp_lt_u32_e32 vcc, 2, v77
	v_add_u32_e32 v75, 4, v75
	v_add_u32_e32 v76, 4, v76
	s_or_b64 s[10:11], vcc, s[10:11]
	s_waitcnt vmcnt(0) lgkmcnt(0)
	v_fmac_f32_e32 v74, v78, v79
	s_andn2_b64 exec, exec, s[10:11]
	s_cbranch_execnz .LBB34_367
; %bb.368:
	s_or_b64 exec, exec, s[10:11]
.LBB34_369:
	s_or_b64 exec, exec, s[8:9]
	v_mov_b32_e32 v75, 0
	ds_read_b32 v75, v75 offset:16
	s_waitcnt lgkmcnt(0)
	v_mul_f32_e32 v74, v74, v75
	buffer_store_dword v74, off, s[0:3], 0 offset:16
.LBB34_370:
	s_or_b64 exec, exec, s[6:7]
	buffer_load_dword v74, off, s[0:3], 0 offset:20
	v_cmp_gt_u32_e32 vcc, 5, v0
	s_waitcnt vmcnt(0)
	ds_write_b32 v72, v74
	s_waitcnt lgkmcnt(0)
	; wave barrier
	s_waitcnt lgkmcnt(0)
	s_and_saveexec_b64 s[6:7], vcc
	s_cbranch_execz .LBB34_380
; %bb.371:
	s_and_b64 vcc, exec, s[4:5]
	s_cbranch_vccnz .LBB34_373
; %bb.372:
	buffer_load_dword v74, v73, s[0:3], 0 offen
	ds_read_b32 v75, v72
	s_waitcnt vmcnt(0) lgkmcnt(0)
	v_mul_f32_e32 v74, v74, v75
	s_cbranch_execz .LBB34_374
	s_branch .LBB34_375
.LBB34_373:
                                        ; implicit-def: $vgpr74
.LBB34_374:
	ds_read_b32 v74, v72
.LBB34_375:
	v_cmp_ne_u32_e32 vcc, 4, v0
	s_and_saveexec_b64 s[8:9], vcc
	s_cbranch_execz .LBB34_379
; %bb.376:
	v_mov_b32_e32 v76, 0
	v_add_u32_e32 v75, 0x94, v1
	v_add3_u32 v76, v1, v76, 4
	s_mov_b64 s[10:11], 0
	v_mov_b32_e32 v77, v0
.LBB34_377:                             ; =>This Inner Loop Header: Depth=1
	buffer_load_dword v78, v76, s[0:3], 0 offen
	ds_read_b32 v79, v75
	v_add_u32_e32 v77, 1, v77
	v_cmp_lt_u32_e32 vcc, 3, v77
	v_add_u32_e32 v75, 4, v75
	v_add_u32_e32 v76, 4, v76
	s_or_b64 s[10:11], vcc, s[10:11]
	s_waitcnt vmcnt(0) lgkmcnt(0)
	v_fmac_f32_e32 v74, v78, v79
	s_andn2_b64 exec, exec, s[10:11]
	s_cbranch_execnz .LBB34_377
; %bb.378:
	s_or_b64 exec, exec, s[10:11]
.LBB34_379:
	s_or_b64 exec, exec, s[8:9]
	v_mov_b32_e32 v75, 0
	ds_read_b32 v75, v75 offset:20
	s_waitcnt lgkmcnt(0)
	v_mul_f32_e32 v74, v74, v75
	buffer_store_dword v74, off, s[0:3], 0 offset:20
.LBB34_380:
	;; [unrolled: 56-line block ×29, first 2 shown]
	s_or_b64 exec, exec, s[6:7]
	buffer_load_dword v74, off, s[0:3], 0 offset:132
	v_cmp_gt_u32_e64 s[6:7], 33, v0
	s_waitcnt vmcnt(0)
	ds_write_b32 v72, v74
	s_waitcnt lgkmcnt(0)
	; wave barrier
	s_waitcnt lgkmcnt(0)
	s_and_saveexec_b64 s[8:9], s[6:7]
	s_cbranch_execz .LBB34_660
; %bb.651:
	s_and_b64 vcc, exec, s[4:5]
	s_cbranch_vccnz .LBB34_653
; %bb.652:
	buffer_load_dword v74, v73, s[0:3], 0 offen
	ds_read_b32 v75, v72
	s_waitcnt vmcnt(0) lgkmcnt(0)
	v_mul_f32_e32 v74, v74, v75
	s_cbranch_execz .LBB34_654
	s_branch .LBB34_655
.LBB34_653:
                                        ; implicit-def: $vgpr74
.LBB34_654:
	ds_read_b32 v74, v72
.LBB34_655:
	v_cmp_ne_u32_e32 vcc, 32, v0
	s_and_saveexec_b64 s[10:11], vcc
	s_cbranch_execz .LBB34_659
; %bb.656:
	v_mov_b32_e32 v76, 0
	v_add_u32_e32 v75, 0x94, v1
	v_add3_u32 v76, v1, v76, 4
	s_mov_b64 s[12:13], 0
	v_mov_b32_e32 v77, v0
.LBB34_657:                             ; =>This Inner Loop Header: Depth=1
	buffer_load_dword v78, v76, s[0:3], 0 offen
	ds_read_b32 v79, v75
	v_add_u32_e32 v77, 1, v77
	v_cmp_lt_u32_e32 vcc, 31, v77
	v_add_u32_e32 v75, 4, v75
	v_add_u32_e32 v76, 4, v76
	s_or_b64 s[12:13], vcc, s[12:13]
	s_waitcnt vmcnt(0) lgkmcnt(0)
	v_fmac_f32_e32 v74, v78, v79
	s_andn2_b64 exec, exec, s[12:13]
	s_cbranch_execnz .LBB34_657
; %bb.658:
	s_or_b64 exec, exec, s[12:13]
.LBB34_659:
	s_or_b64 exec, exec, s[10:11]
	v_mov_b32_e32 v75, 0
	ds_read_b32 v75, v75 offset:132
	s_waitcnt lgkmcnt(0)
	v_mul_f32_e32 v74, v74, v75
	buffer_store_dword v74, off, s[0:3], 0 offset:132
.LBB34_660:
	s_or_b64 exec, exec, s[8:9]
	buffer_load_dword v74, off, s[0:3], 0 offset:136
	v_cmp_ne_u32_e32 vcc, 34, v0
	s_waitcnt vmcnt(0)
	ds_write_b32 v72, v74
	s_waitcnt lgkmcnt(0)
	; wave barrier
	s_waitcnt lgkmcnt(0)
	s_and_saveexec_b64 s[8:9], vcc
	s_cbranch_execz .LBB34_670
; %bb.661:
	s_and_b64 vcc, exec, s[4:5]
	s_cbranch_vccnz .LBB34_663
; %bb.662:
	buffer_load_dword v73, v73, s[0:3], 0 offen
	ds_read_b32 v74, v72
	s_waitcnt vmcnt(0) lgkmcnt(0)
	v_mul_f32_e32 v73, v73, v74
	s_cbranch_execz .LBB34_664
	s_branch .LBB34_665
.LBB34_663:
                                        ; implicit-def: $vgpr73
.LBB34_664:
	ds_read_b32 v73, v72
.LBB34_665:
	s_and_saveexec_b64 s[4:5], s[6:7]
	s_cbranch_execz .LBB34_669
; %bb.666:
	v_mov_b32_e32 v74, 0
	v_add_u32_e32 v72, 0x94, v1
	v_add3_u32 v1, v1, v74, 4
	s_mov_b64 s[6:7], 0
.LBB34_667:                             ; =>This Inner Loop Header: Depth=1
	buffer_load_dword v74, v1, s[0:3], 0 offen
	ds_read_b32 v75, v72
	v_add_u32_e32 v0, 1, v0
	v_cmp_lt_u32_e32 vcc, 32, v0
	v_add_u32_e32 v72, 4, v72
	v_add_u32_e32 v1, 4, v1
	s_or_b64 s[6:7], vcc, s[6:7]
	s_waitcnt vmcnt(0) lgkmcnt(0)
	v_fmac_f32_e32 v73, v74, v75
	s_andn2_b64 exec, exec, s[6:7]
	s_cbranch_execnz .LBB34_667
; %bb.668:
	s_or_b64 exec, exec, s[6:7]
.LBB34_669:
	s_or_b64 exec, exec, s[4:5]
	v_mov_b32_e32 v0, 0
	ds_read_b32 v0, v0 offset:136
	s_waitcnt lgkmcnt(0)
	v_mul_f32_e32 v0, v73, v0
	buffer_store_dword v0, off, s[0:3], 0 offset:136
.LBB34_670:
	s_or_b64 exec, exec, s[8:9]
.LBB34_671:
	buffer_load_dword v0, off, s[0:3], 0
	buffer_load_dword v1, off, s[0:3], 0 offset:4
	buffer_load_dword v72, off, s[0:3], 0 offset:8
	;; [unrolled: 1-line block ×15, first 2 shown]
	s_waitcnt vmcnt(15)
	global_store_dword v[4:5], v0, off
	buffer_load_dword v0, off, s[0:3], 0 offset:64
	s_nop 0
	buffer_load_dword v4, off, s[0:3], 0 offset:68
	buffer_load_dword v5, off, s[0:3], 0 offset:72
	buffer_load_dword v86, off, s[0:3], 0 offset:76
	buffer_load_dword v87, off, s[0:3], 0 offset:80
	buffer_load_dword v88, off, s[0:3], 0 offset:84
	buffer_load_dword v89, off, s[0:3], 0 offset:88
	buffer_load_dword v90, off, s[0:3], 0 offset:92
	s_waitcnt vmcnt(23)
	global_store_dword v[2:3], v1, off
	s_waitcnt vmcnt(23)
	global_store_dword v[6:7], v72, off
	;; [unrolled: 2-line block ×3, first 2 shown]
	buffer_load_dword v1, off, s[0:3], 0 offset:96
	buffer_load_dword v2, off, s[0:3], 0 offset:100
	;; [unrolled: 1-line block ×8, first 2 shown]
	s_waitcnt vmcnt(31)
	global_store_dword v[10:11], v74, off
	buffer_load_dword v10, off, s[0:3], 0 offset:128
	s_nop 0
	buffer_load_dword v11, off, s[0:3], 0 offset:132
	buffer_load_dword v73, off, s[0:3], 0 offset:136
	s_waitcnt vmcnt(34)
	global_store_dword v[12:13], v75, off
	s_waitcnt vmcnt(34)
	global_store_dword v[14:15], v76, off
	;; [unrolled: 2-line block ×30, first 2 shown]
.LBB34_672:
	s_endpgm
	.section	.rodata,"a",@progbits
	.p2align	6, 0x0
	.amdhsa_kernel _ZN9rocsolver6v33100L18trti2_kernel_smallILi35EfPfEEv13rocblas_fill_17rocblas_diagonal_T1_iil
		.amdhsa_group_segment_fixed_size 284
		.amdhsa_private_segment_fixed_size 144
		.amdhsa_kernarg_size 32
		.amdhsa_user_sgpr_count 8
		.amdhsa_user_sgpr_private_segment_buffer 1
		.amdhsa_user_sgpr_dispatch_ptr 0
		.amdhsa_user_sgpr_queue_ptr 0
		.amdhsa_user_sgpr_kernarg_segment_ptr 1
		.amdhsa_user_sgpr_dispatch_id 0
		.amdhsa_user_sgpr_flat_scratch_init 1
		.amdhsa_user_sgpr_kernarg_preload_length 0
		.amdhsa_user_sgpr_kernarg_preload_offset 0
		.amdhsa_user_sgpr_private_segment_size 0
		.amdhsa_uses_dynamic_stack 0
		.amdhsa_system_sgpr_private_segment_wavefront_offset 1
		.amdhsa_system_sgpr_workgroup_id_x 1
		.amdhsa_system_sgpr_workgroup_id_y 0
		.amdhsa_system_sgpr_workgroup_id_z 0
		.amdhsa_system_sgpr_workgroup_info 0
		.amdhsa_system_vgpr_workitem_id 0
		.amdhsa_next_free_vgpr 94
		.amdhsa_next_free_sgpr 20
		.amdhsa_accum_offset 96
		.amdhsa_reserve_vcc 1
		.amdhsa_reserve_flat_scratch 0
		.amdhsa_float_round_mode_32 0
		.amdhsa_float_round_mode_16_64 0
		.amdhsa_float_denorm_mode_32 3
		.amdhsa_float_denorm_mode_16_64 3
		.amdhsa_dx10_clamp 1
		.amdhsa_ieee_mode 1
		.amdhsa_fp16_overflow 0
		.amdhsa_tg_split 0
		.amdhsa_exception_fp_ieee_invalid_op 0
		.amdhsa_exception_fp_denorm_src 0
		.amdhsa_exception_fp_ieee_div_zero 0
		.amdhsa_exception_fp_ieee_overflow 0
		.amdhsa_exception_fp_ieee_underflow 0
		.amdhsa_exception_fp_ieee_inexact 0
		.amdhsa_exception_int_div_zero 0
	.end_amdhsa_kernel
	.section	.text._ZN9rocsolver6v33100L18trti2_kernel_smallILi35EfPfEEv13rocblas_fill_17rocblas_diagonal_T1_iil,"axG",@progbits,_ZN9rocsolver6v33100L18trti2_kernel_smallILi35EfPfEEv13rocblas_fill_17rocblas_diagonal_T1_iil,comdat
.Lfunc_end34:
	.size	_ZN9rocsolver6v33100L18trti2_kernel_smallILi35EfPfEEv13rocblas_fill_17rocblas_diagonal_T1_iil, .Lfunc_end34-_ZN9rocsolver6v33100L18trti2_kernel_smallILi35EfPfEEv13rocblas_fill_17rocblas_diagonal_T1_iil
                                        ; -- End function
	.section	.AMDGPU.csdata,"",@progbits
; Kernel info:
; codeLenInByte = 17100
; NumSgprs: 24
; NumVgprs: 94
; NumAgprs: 0
; TotalNumVgprs: 94
; ScratchSize: 144
; MemoryBound: 0
; FloatMode: 240
; IeeeMode: 1
; LDSByteSize: 284 bytes/workgroup (compile time only)
; SGPRBlocks: 2
; VGPRBlocks: 11
; NumSGPRsForWavesPerEU: 24
; NumVGPRsForWavesPerEU: 94
; AccumOffset: 96
; Occupancy: 5
; WaveLimiterHint : 0
; COMPUTE_PGM_RSRC2:SCRATCH_EN: 1
; COMPUTE_PGM_RSRC2:USER_SGPR: 8
; COMPUTE_PGM_RSRC2:TRAP_HANDLER: 0
; COMPUTE_PGM_RSRC2:TGID_X_EN: 1
; COMPUTE_PGM_RSRC2:TGID_Y_EN: 0
; COMPUTE_PGM_RSRC2:TGID_Z_EN: 0
; COMPUTE_PGM_RSRC2:TIDIG_COMP_CNT: 0
; COMPUTE_PGM_RSRC3_GFX90A:ACCUM_OFFSET: 23
; COMPUTE_PGM_RSRC3_GFX90A:TG_SPLIT: 0
	.section	.text._ZN9rocsolver6v33100L18trti2_kernel_smallILi36EfPfEEv13rocblas_fill_17rocblas_diagonal_T1_iil,"axG",@progbits,_ZN9rocsolver6v33100L18trti2_kernel_smallILi36EfPfEEv13rocblas_fill_17rocblas_diagonal_T1_iil,comdat
	.globl	_ZN9rocsolver6v33100L18trti2_kernel_smallILi36EfPfEEv13rocblas_fill_17rocblas_diagonal_T1_iil ; -- Begin function _ZN9rocsolver6v33100L18trti2_kernel_smallILi36EfPfEEv13rocblas_fill_17rocblas_diagonal_T1_iil
	.p2align	8
	.type	_ZN9rocsolver6v33100L18trti2_kernel_smallILi36EfPfEEv13rocblas_fill_17rocblas_diagonal_T1_iil,@function
_ZN9rocsolver6v33100L18trti2_kernel_smallILi36EfPfEEv13rocblas_fill_17rocblas_diagonal_T1_iil: ; @_ZN9rocsolver6v33100L18trti2_kernel_smallILi36EfPfEEv13rocblas_fill_17rocblas_diagonal_T1_iil
; %bb.0:
	s_add_u32 s0, s0, s9
	s_addc_u32 s1, s1, 0
	v_cmp_gt_u32_e32 vcc, 36, v0
	s_and_saveexec_b64 s[6:7], vcc
	s_cbranch_execz .LBB35_692
; %bb.1:
	s_load_dwordx8 s[12:19], s[4:5], 0x0
	s_ashr_i32 s6, s8, 31
	v_lshlrev_b32_e32 v1, 2, v0
	s_waitcnt lgkmcnt(0)
	s_mul_i32 s7, s8, s19
	s_mul_hi_u32 s9, s8, s18
	s_add_i32 s7, s9, s7
	s_mul_i32 s6, s6, s18
	s_add_i32 s7, s7, s6
	s_mul_i32 s6, s8, s18
	s_ashr_i32 s5, s16, 31
	s_lshl_b64 s[6:7], s[6:7], 2
	s_mov_b32 s4, s16
	s_add_u32 s6, s14, s6
	s_addc_u32 s7, s15, s7
	s_lshl_b64 s[4:5], s[4:5], 2
	s_add_u32 s4, s6, s4
	s_addc_u32 s5, s7, s5
	v_mov_b32_e32 v3, s5
	v_add_co_u32_e32 v2, vcc, s4, v1
	s_ashr_i32 s7, s17, 31
	s_mov_b32 s6, s17
	v_addc_co_u32_e32 v3, vcc, 0, v3, vcc
	s_lshl_b64 s[6:7], s[6:7], 2
	v_add_co_u32_e32 v4, vcc, s6, v2
	s_add_i32 s6, s17, s17
	v_add_u32_e32 v8, s6, v0
	v_mov_b32_e32 v5, s7
	v_ashrrev_i32_e32 v9, 31, v8
	v_addc_co_u32_e32 v5, vcc, v3, v5, vcc
	v_lshlrev_b64 v[6:7], 2, v[8:9]
	v_add_u32_e32 v10, s17, v8
	v_mov_b32_e32 v9, s5
	v_add_co_u32_e32 v6, vcc, s4, v6
	v_ashrrev_i32_e32 v11, 31, v10
	v_addc_co_u32_e32 v7, vcc, v9, v7, vcc
	v_lshlrev_b64 v[8:9], 2, v[10:11]
	v_add_u32_e32 v12, s17, v10
	v_mov_b32_e32 v11, s5
	v_add_co_u32_e32 v8, vcc, s4, v8
	;; [unrolled: 6-line block ×32, first 2 shown]
	v_ashrrev_i32_e32 v73, 31, v72
	v_addc_co_u32_e32 v69, vcc, v71, v69, vcc
	v_lshlrev_b64 v[70:71], 2, v[72:73]
	v_mov_b32_e32 v73, s5
	v_add_co_u32_e32 v70, vcc, s4, v70
	v_add_u32_e32 v72, s17, v72
	v_addc_co_u32_e32 v71, vcc, v73, v71, vcc
	v_ashrrev_i32_e32 v73, 31, v72
	v_lshlrev_b64 v[72:73], 2, v[72:73]
	v_mov_b32_e32 v91, s5
	v_add_co_u32_e32 v72, vcc, s4, v72
	global_load_dword v74, v1, s[4:5]
	v_addc_co_u32_e32 v73, vcc, v91, v73, vcc
	global_load_dword v76, v[4:5], off
	global_load_dword v75, v[6:7], off
	;; [unrolled: 1-line block ×35, first 2 shown]
	s_cmpk_lg_i32 s13, 0x84
	s_waitcnt vmcnt(35)
	buffer_store_dword v74, off, s[0:3], 0
	s_waitcnt vmcnt(35)
	buffer_store_dword v76, off, s[0:3], 0 offset:4
	v_mov_b32_e32 v91, 0
	s_cselect_b64 s[8:9], -1, 0
	s_cmpk_eq_i32 s13, 0x84
	v_mov_b32_e32 v74, -1.0
	s_waitcnt vmcnt(34)
	buffer_store_dword v77, off, s[0:3], 0 offset:12
	buffer_store_dword v75, off, s[0:3], 0 offset:8
	s_waitcnt vmcnt(35)
	buffer_store_dword v78, off, s[0:3], 0 offset:16
	s_waitcnt vmcnt(35)
	;; [unrolled: 2-line block ×7, first 2 shown]
	buffer_store_dword v85, off, s[0:3], 0 offset:44
	buffer_store_dword v84, off, s[0:3], 0 offset:40
	s_waitcnt vmcnt(35)
	buffer_store_dword v86, off, s[0:3], 0 offset:48
	s_waitcnt vmcnt(35)
	;; [unrolled: 2-line block ×9, first 2 shown]
	buffer_store_dword v96, off, s[0:3], 0 offset:84
	buffer_store_dword v95, off, s[0:3], 0 offset:80
	s_waitcnt vmcnt(34)
	buffer_store_dword v98, off, s[0:3], 0 offset:92
	buffer_store_dword v97, off, s[0:3], 0 offset:88
	s_waitcnt vmcnt(34)
	buffer_store_dword v100, off, s[0:3], 0 offset:100
	buffer_store_dword v99, off, s[0:3], 0 offset:96
	s_waitcnt vmcnt(34)
	buffer_store_dword v102, off, s[0:3], 0 offset:108
	buffer_store_dword v101, off, s[0:3], 0 offset:104
	s_waitcnt vmcnt(34)
	buffer_store_dword v104, off, s[0:3], 0 offset:116
	buffer_store_dword v103, off, s[0:3], 0 offset:112
	s_waitcnt vmcnt(34)
	buffer_store_dword v106, off, s[0:3], 0 offset:124
	buffer_store_dword v105, off, s[0:3], 0 offset:120
	s_waitcnt vmcnt(34)
	buffer_store_dword v108, off, s[0:3], 0 offset:132
	buffer_store_dword v107, off, s[0:3], 0 offset:128
	s_waitcnt vmcnt(35)
	buffer_store_dword v109, off, s[0:3], 0 offset:140
	s_waitcnt vmcnt(35)
	buffer_store_dword v110, off, s[0:3], 0 offset:136
	s_cbranch_scc1 .LBB35_3
; %bb.2:
	v_lshl_add_u32 v74, v0, 2, v91
	buffer_load_dword v75, v74, s[0:3], 0 offen
	s_waitcnt vmcnt(0)
	v_div_scale_f32 v76, s[4:5], v75, v75, 1.0
	v_rcp_f32_e32 v77, v76
	v_div_scale_f32 v78, vcc, 1.0, v75, 1.0
	v_fma_f32 v79, -v76, v77, 1.0
	v_fmac_f32_e32 v77, v79, v77
	v_mul_f32_e32 v79, v78, v77
	v_fma_f32 v80, -v76, v79, v78
	v_fmac_f32_e32 v79, v80, v77
	v_fma_f32 v76, -v76, v79, v78
	v_div_fmas_f32 v76, v76, v77, v79
	v_div_fixup_f32 v75, v76, v75, 1.0
	buffer_store_dword v75, v74, s[0:3], 0 offen
	v_xor_b32_e32 v74, 0x80000000, v75
.LBB35_3:
	ds_write_b32 v1, v74
	s_cmpk_eq_i32 s12, 0x79
	v_add_u32_e32 v74, 0x90, v1
	v_add_u32_e32 v75, 0, v1
	s_mov_b64 s[4:5], -1
	s_cbranch_scc1 .LBB35_347
; %bb.4:
	buffer_load_dword v76, off, s[0:3], 0 offset:136
	v_cmp_eq_u32_e64 s[4:5], 35, v0
	s_waitcnt vmcnt(0)
	ds_write_b32 v74, v76
	s_waitcnt lgkmcnt(0)
	; wave barrier
	s_waitcnt lgkmcnt(0)
	s_and_saveexec_b64 s[6:7], s[4:5]
	s_cbranch_execz .LBB35_10
; %bb.5:
	s_and_b64 vcc, exec, s[8:9]
	s_cbranch_vccz .LBB35_7
; %bb.6:
	buffer_load_dword v76, v75, s[0:3], 0 offen
	ds_read_b32 v77, v74
	s_waitcnt vmcnt(0) lgkmcnt(0)
	v_mul_f32_e32 v76, v76, v77
	s_cbranch_execz .LBB35_8
	s_branch .LBB35_9
.LBB35_7:
                                        ; implicit-def: $vgpr76
.LBB35_8:
	ds_read_b32 v76, v74
.LBB35_9:
	v_mov_b32_e32 v77, 0
	ds_read_b32 v77, v77 offset:136
	s_waitcnt lgkmcnt(0)
	v_mul_f32_e32 v76, v76, v77
	buffer_store_dword v76, off, s[0:3], 0 offset:136
.LBB35_10:
	s_or_b64 exec, exec, s[6:7]
	buffer_load_dword v92, off, s[0:3], 0 offset:132
	v_or_b32_e32 v76, 8, v91
	v_add_u32_e32 v77, 16, v91
	v_add_u32_e32 v78, 24, v91
	;; [unrolled: 1-line block ×15, first 2 shown]
	v_cmp_lt_u32_e64 s[6:7], 33, v0
	s_waitcnt vmcnt(0)
	ds_write_b32 v74, v92
	s_waitcnt lgkmcnt(0)
	; wave barrier
	s_waitcnt lgkmcnt(0)
	s_and_saveexec_b64 s[10:11], s[6:7]
	s_cbranch_execz .LBB35_16
; %bb.11:
	s_andn2_b64 vcc, exec, s[8:9]
	s_cbranch_vccnz .LBB35_13
; %bb.12:
	buffer_load_dword v92, v75, s[0:3], 0 offen
	ds_read_b32 v93, v74
	s_waitcnt vmcnt(0) lgkmcnt(0)
	v_mul_f32_e32 v92, v92, v93
	s_cbranch_execz .LBB35_14
	s_branch .LBB35_15
.LBB35_13:
                                        ; implicit-def: $vgpr92
.LBB35_14:
	ds_read_b32 v92, v74
.LBB35_15:
	buffer_load_dword v93, off, s[0:3], 0 offset:136
	v_mov_b32_e32 v94, 0
	ds_read2_b32 v[94:95], v94 offset0:33 offset1:70
	s_waitcnt vmcnt(0) lgkmcnt(0)
	v_fma_f32 v93, v93, v95, v92
	v_cndmask_b32_e64 v92, v92, v93, s[4:5]
	v_mul_f32_e32 v92, v92, v94
	buffer_store_dword v92, off, s[0:3], 0 offset:132
.LBB35_16:
	s_or_b64 exec, exec, s[10:11]
	buffer_load_dword v92, off, s[0:3], 0 offset:128
	v_cmp_lt_u32_e64 s[4:5], 32, v0
	s_waitcnt vmcnt(0)
	ds_write_b32 v74, v92
	s_waitcnt lgkmcnt(0)
	; wave barrier
	s_waitcnt lgkmcnt(0)
	s_and_saveexec_b64 s[10:11], s[4:5]
	s_cbranch_execz .LBB35_26
; %bb.17:
	s_andn2_b64 vcc, exec, s[8:9]
	s_cbranch_vccnz .LBB35_19
; %bb.18:
	buffer_load_dword v92, v75, s[0:3], 0 offen
	ds_read_b32 v93, v74
	s_waitcnt vmcnt(0) lgkmcnt(0)
	v_mul_f32_e32 v92, v92, v93
	s_cbranch_execz .LBB35_20
	s_branch .LBB35_21
.LBB35_19:
                                        ; implicit-def: $vgpr92
.LBB35_20:
	ds_read_b32 v92, v74
.LBB35_21:
	s_and_saveexec_b64 s[12:13], s[6:7]
	s_cbranch_execz .LBB35_25
; %bb.22:
	v_mov_b32_e32 v93, 0
	v_add_u32_e32 v93, 0x84, v93
	v_subrev_u32_e32 v94, 33, v0
	s_movk_i32 s14, 0x114
	s_mov_b64 s[6:7], 0
.LBB35_23:                              ; =>This Inner Loop Header: Depth=1
	buffer_load_dword v95, v93, s[0:3], 0 offen
	v_mov_b32_e32 v96, s14
	ds_read_b32 v96, v96
	v_add_u32_e32 v94, -1, v94
	s_add_i32 s14, s14, 4
	v_cmp_eq_u32_e32 vcc, 0, v94
	v_add_u32_e32 v93, 4, v93
	s_or_b64 s[6:7], vcc, s[6:7]
	s_waitcnt vmcnt(0) lgkmcnt(0)
	v_fmac_f32_e32 v92, v95, v96
	s_andn2_b64 exec, exec, s[6:7]
	s_cbranch_execnz .LBB35_23
; %bb.24:
	s_or_b64 exec, exec, s[6:7]
.LBB35_25:
	s_or_b64 exec, exec, s[12:13]
	v_mov_b32_e32 v93, 0
	ds_read_b32 v93, v93 offset:128
	s_waitcnt lgkmcnt(0)
	v_mul_f32_e32 v92, v92, v93
	buffer_store_dword v92, off, s[0:3], 0 offset:128
.LBB35_26:
	s_or_b64 exec, exec, s[10:11]
	buffer_load_dword v92, off, s[0:3], 0 offset:124
	v_cmp_lt_u32_e64 s[6:7], 31, v0
	s_waitcnt vmcnt(0)
	ds_write_b32 v74, v92
	s_waitcnt lgkmcnt(0)
	; wave barrier
	s_waitcnt lgkmcnt(0)
	s_and_saveexec_b64 s[10:11], s[6:7]
	s_cbranch_execz .LBB35_36
; %bb.27:
	s_andn2_b64 vcc, exec, s[8:9]
	s_cbranch_vccnz .LBB35_29
; %bb.28:
	buffer_load_dword v92, v75, s[0:3], 0 offen
	ds_read_b32 v93, v74
	s_waitcnt vmcnt(0) lgkmcnt(0)
	v_mul_f32_e32 v92, v92, v93
	s_cbranch_execz .LBB35_30
	s_branch .LBB35_31
.LBB35_29:
                                        ; implicit-def: $vgpr92
.LBB35_30:
	ds_read_b32 v92, v74
.LBB35_31:
	s_and_saveexec_b64 s[12:13], s[4:5]
	s_cbranch_execz .LBB35_35
; %bb.32:
	v_subrev_u32_e32 v93, 32, v0
	s_movk_i32 s14, 0x110
	s_mov_b64 s[4:5], 0
.LBB35_33:                              ; =>This Inner Loop Header: Depth=1
	buffer_load_dword v94, v91, s[0:3], 0 offen
	v_mov_b32_e32 v95, s14
	ds_read_b32 v95, v95
	v_add_u32_e32 v93, -1, v93
	s_add_i32 s14, s14, 4
	v_cmp_eq_u32_e32 vcc, 0, v93
	v_add_u32_e32 v91, 4, v91
	s_or_b64 s[4:5], vcc, s[4:5]
	s_waitcnt vmcnt(0) lgkmcnt(0)
	v_fmac_f32_e32 v92, v94, v95
	s_andn2_b64 exec, exec, s[4:5]
	s_cbranch_execnz .LBB35_33
; %bb.34:
	s_or_b64 exec, exec, s[4:5]
.LBB35_35:
	s_or_b64 exec, exec, s[12:13]
	v_mov_b32_e32 v91, 0
	ds_read_b32 v91, v91 offset:124
	s_waitcnt lgkmcnt(0)
	v_mul_f32_e32 v91, v92, v91
	buffer_store_dword v91, off, s[0:3], 0 offset:124
.LBB35_36:
	s_or_b64 exec, exec, s[10:11]
	buffer_load_dword v91, off, s[0:3], 0 offset:120
	v_cmp_lt_u32_e64 s[4:5], 30, v0
	s_waitcnt vmcnt(0)
	ds_write_b32 v74, v91
	s_waitcnt lgkmcnt(0)
	; wave barrier
	s_waitcnt lgkmcnt(0)
	s_and_saveexec_b64 s[10:11], s[4:5]
	s_cbranch_execz .LBB35_46
; %bb.37:
	s_andn2_b64 vcc, exec, s[8:9]
	s_cbranch_vccnz .LBB35_39
; %bb.38:
	buffer_load_dword v91, v75, s[0:3], 0 offen
	ds_read_b32 v92, v74
	s_waitcnt vmcnt(0) lgkmcnt(0)
	v_mul_f32_e32 v91, v91, v92
	s_cbranch_execz .LBB35_40
	s_branch .LBB35_41
.LBB35_39:
                                        ; implicit-def: $vgpr91
.LBB35_40:
	ds_read_b32 v91, v74
.LBB35_41:
	s_and_saveexec_b64 s[12:13], s[6:7]
	s_cbranch_execz .LBB35_45
; %bb.42:
	v_mov_b32_e32 v92, 0
	v_add_u32_e32 v92, 0x7c, v92
	v_subrev_u32_e32 v93, 31, v0
	s_movk_i32 s14, 0x10c
	s_mov_b64 s[6:7], 0
.LBB35_43:                              ; =>This Inner Loop Header: Depth=1
	buffer_load_dword v94, v92, s[0:3], 0 offen
	v_mov_b32_e32 v95, s14
	ds_read_b32 v95, v95
	v_add_u32_e32 v93, -1, v93
	s_add_i32 s14, s14, 4
	v_cmp_eq_u32_e32 vcc, 0, v93
	v_add_u32_e32 v92, 4, v92
	s_or_b64 s[6:7], vcc, s[6:7]
	s_waitcnt vmcnt(0) lgkmcnt(0)
	v_fmac_f32_e32 v91, v94, v95
	s_andn2_b64 exec, exec, s[6:7]
	s_cbranch_execnz .LBB35_43
; %bb.44:
	s_or_b64 exec, exec, s[6:7]
.LBB35_45:
	s_or_b64 exec, exec, s[12:13]
	v_mov_b32_e32 v92, 0
	ds_read_b32 v92, v92 offset:120
	s_waitcnt lgkmcnt(0)
	v_mul_f32_e32 v91, v91, v92
	buffer_store_dword v91, off, s[0:3], 0 offset:120
.LBB35_46:
	s_or_b64 exec, exec, s[10:11]
	buffer_load_dword v91, off, s[0:3], 0 offset:116
	v_cmp_lt_u32_e64 s[6:7], 29, v0
	s_waitcnt vmcnt(0)
	ds_write_b32 v74, v91
	s_waitcnt lgkmcnt(0)
	; wave barrier
	s_waitcnt lgkmcnt(0)
	s_and_saveexec_b64 s[10:11], s[6:7]
	s_cbranch_execz .LBB35_56
; %bb.47:
	s_andn2_b64 vcc, exec, s[8:9]
	s_cbranch_vccnz .LBB35_49
; %bb.48:
	buffer_load_dword v91, v75, s[0:3], 0 offen
	ds_read_b32 v92, v74
	s_waitcnt vmcnt(0) lgkmcnt(0)
	v_mul_f32_e32 v91, v91, v92
	s_cbranch_execz .LBB35_50
	s_branch .LBB35_51
.LBB35_49:
                                        ; implicit-def: $vgpr91
.LBB35_50:
	ds_read_b32 v91, v74
.LBB35_51:
	s_and_saveexec_b64 s[12:13], s[4:5]
	s_cbranch_execz .LBB35_55
; %bb.52:
	v_subrev_u32_e32 v92, 30, v0
	s_movk_i32 s14, 0x108
	s_mov_b64 s[4:5], 0
.LBB35_53:                              ; =>This Inner Loop Header: Depth=1
	buffer_load_dword v93, v90, s[0:3], 0 offen
	v_mov_b32_e32 v94, s14
	ds_read_b32 v94, v94
	v_add_u32_e32 v92, -1, v92
	s_add_i32 s14, s14, 4
	v_cmp_eq_u32_e32 vcc, 0, v92
	v_add_u32_e32 v90, 4, v90
	s_or_b64 s[4:5], vcc, s[4:5]
	s_waitcnt vmcnt(0) lgkmcnt(0)
	v_fmac_f32_e32 v91, v93, v94
	s_andn2_b64 exec, exec, s[4:5]
	s_cbranch_execnz .LBB35_53
; %bb.54:
	s_or_b64 exec, exec, s[4:5]
.LBB35_55:
	s_or_b64 exec, exec, s[12:13]
	v_mov_b32_e32 v90, 0
	ds_read_b32 v90, v90 offset:116
	s_waitcnt lgkmcnt(0)
	v_mul_f32_e32 v90, v91, v90
	buffer_store_dword v90, off, s[0:3], 0 offset:116
.LBB35_56:
	s_or_b64 exec, exec, s[10:11]
	buffer_load_dword v90, off, s[0:3], 0 offset:112
	v_cmp_lt_u32_e64 s[4:5], 28, v0
	s_waitcnt vmcnt(0)
	ds_write_b32 v74, v90
	s_waitcnt lgkmcnt(0)
	; wave barrier
	s_waitcnt lgkmcnt(0)
	s_and_saveexec_b64 s[10:11], s[4:5]
	s_cbranch_execz .LBB35_66
; %bb.57:
	s_andn2_b64 vcc, exec, s[8:9]
	s_cbranch_vccnz .LBB35_59
; %bb.58:
	buffer_load_dword v90, v75, s[0:3], 0 offen
	ds_read_b32 v91, v74
	s_waitcnt vmcnt(0) lgkmcnt(0)
	v_mul_f32_e32 v90, v90, v91
	s_cbranch_execz .LBB35_60
	s_branch .LBB35_61
.LBB35_59:
                                        ; implicit-def: $vgpr90
.LBB35_60:
	ds_read_b32 v90, v74
.LBB35_61:
	s_and_saveexec_b64 s[12:13], s[6:7]
	s_cbranch_execz .LBB35_65
; %bb.62:
	v_mov_b32_e32 v91, 0
	v_add_u32_e32 v91, 0x74, v91
	v_subrev_u32_e32 v92, 29, v0
	s_movk_i32 s14, 0x104
	s_mov_b64 s[6:7], 0
.LBB35_63:                              ; =>This Inner Loop Header: Depth=1
	buffer_load_dword v93, v91, s[0:3], 0 offen
	v_mov_b32_e32 v94, s14
	ds_read_b32 v94, v94
	v_add_u32_e32 v92, -1, v92
	s_add_i32 s14, s14, 4
	v_cmp_eq_u32_e32 vcc, 0, v92
	v_add_u32_e32 v91, 4, v91
	s_or_b64 s[6:7], vcc, s[6:7]
	s_waitcnt vmcnt(0) lgkmcnt(0)
	v_fmac_f32_e32 v90, v93, v94
	s_andn2_b64 exec, exec, s[6:7]
	s_cbranch_execnz .LBB35_63
; %bb.64:
	s_or_b64 exec, exec, s[6:7]
.LBB35_65:
	s_or_b64 exec, exec, s[12:13]
	v_mov_b32_e32 v91, 0
	ds_read_b32 v91, v91 offset:112
	s_waitcnt lgkmcnt(0)
	v_mul_f32_e32 v90, v90, v91
	buffer_store_dword v90, off, s[0:3], 0 offset:112
.LBB35_66:
	s_or_b64 exec, exec, s[10:11]
	buffer_load_dword v90, off, s[0:3], 0 offset:108
	v_cmp_lt_u32_e64 s[6:7], 27, v0
	s_waitcnt vmcnt(0)
	ds_write_b32 v74, v90
	s_waitcnt lgkmcnt(0)
	; wave barrier
	s_waitcnt lgkmcnt(0)
	s_and_saveexec_b64 s[10:11], s[6:7]
	s_cbranch_execz .LBB35_76
; %bb.67:
	s_andn2_b64 vcc, exec, s[8:9]
	s_cbranch_vccnz .LBB35_69
; %bb.68:
	buffer_load_dword v90, v75, s[0:3], 0 offen
	ds_read_b32 v91, v74
	s_waitcnt vmcnt(0) lgkmcnt(0)
	v_mul_f32_e32 v90, v90, v91
	s_cbranch_execz .LBB35_70
	s_branch .LBB35_71
.LBB35_69:
                                        ; implicit-def: $vgpr90
.LBB35_70:
	ds_read_b32 v90, v74
.LBB35_71:
	s_and_saveexec_b64 s[12:13], s[4:5]
	s_cbranch_execz .LBB35_75
; %bb.72:
	v_subrev_u32_e32 v91, 28, v0
	s_movk_i32 s14, 0x100
	s_mov_b64 s[4:5], 0
.LBB35_73:                              ; =>This Inner Loop Header: Depth=1
	buffer_load_dword v92, v89, s[0:3], 0 offen
	v_mov_b32_e32 v93, s14
	ds_read_b32 v93, v93
	v_add_u32_e32 v91, -1, v91
	s_add_i32 s14, s14, 4
	v_cmp_eq_u32_e32 vcc, 0, v91
	v_add_u32_e32 v89, 4, v89
	s_or_b64 s[4:5], vcc, s[4:5]
	s_waitcnt vmcnt(0) lgkmcnt(0)
	v_fmac_f32_e32 v90, v92, v93
	s_andn2_b64 exec, exec, s[4:5]
	s_cbranch_execnz .LBB35_73
; %bb.74:
	s_or_b64 exec, exec, s[4:5]
.LBB35_75:
	s_or_b64 exec, exec, s[12:13]
	v_mov_b32_e32 v89, 0
	ds_read_b32 v89, v89 offset:108
	s_waitcnt lgkmcnt(0)
	v_mul_f32_e32 v89, v90, v89
	buffer_store_dword v89, off, s[0:3], 0 offset:108
.LBB35_76:
	s_or_b64 exec, exec, s[10:11]
	buffer_load_dword v89, off, s[0:3], 0 offset:104
	v_cmp_lt_u32_e64 s[4:5], 26, v0
	s_waitcnt vmcnt(0)
	ds_write_b32 v74, v89
	s_waitcnt lgkmcnt(0)
	; wave barrier
	s_waitcnt lgkmcnt(0)
	s_and_saveexec_b64 s[10:11], s[4:5]
	s_cbranch_execz .LBB35_86
; %bb.77:
	s_andn2_b64 vcc, exec, s[8:9]
	s_cbranch_vccnz .LBB35_79
; %bb.78:
	buffer_load_dword v89, v75, s[0:3], 0 offen
	ds_read_b32 v90, v74
	s_waitcnt vmcnt(0) lgkmcnt(0)
	v_mul_f32_e32 v89, v89, v90
	s_cbranch_execz .LBB35_80
	s_branch .LBB35_81
.LBB35_79:
                                        ; implicit-def: $vgpr89
.LBB35_80:
	ds_read_b32 v89, v74
.LBB35_81:
	s_and_saveexec_b64 s[12:13], s[6:7]
	s_cbranch_execz .LBB35_85
; %bb.82:
	v_mov_b32_e32 v90, 0
	v_add_u32_e32 v90, 0x6c, v90
	v_subrev_u32_e32 v91, 27, v0
	s_movk_i32 s14, 0xfc
	s_mov_b64 s[6:7], 0
.LBB35_83:                              ; =>This Inner Loop Header: Depth=1
	buffer_load_dword v92, v90, s[0:3], 0 offen
	v_mov_b32_e32 v93, s14
	ds_read_b32 v93, v93
	v_add_u32_e32 v91, -1, v91
	s_add_i32 s14, s14, 4
	v_cmp_eq_u32_e32 vcc, 0, v91
	v_add_u32_e32 v90, 4, v90
	s_or_b64 s[6:7], vcc, s[6:7]
	s_waitcnt vmcnt(0) lgkmcnt(0)
	v_fmac_f32_e32 v89, v92, v93
	s_andn2_b64 exec, exec, s[6:7]
	s_cbranch_execnz .LBB35_83
; %bb.84:
	s_or_b64 exec, exec, s[6:7]
.LBB35_85:
	s_or_b64 exec, exec, s[12:13]
	v_mov_b32_e32 v90, 0
	ds_read_b32 v90, v90 offset:104
	s_waitcnt lgkmcnt(0)
	v_mul_f32_e32 v89, v89, v90
	buffer_store_dword v89, off, s[0:3], 0 offset:104
.LBB35_86:
	s_or_b64 exec, exec, s[10:11]
	buffer_load_dword v89, off, s[0:3], 0 offset:100
	v_cmp_lt_u32_e64 s[6:7], 25, v0
	s_waitcnt vmcnt(0)
	ds_write_b32 v74, v89
	s_waitcnt lgkmcnt(0)
	; wave barrier
	s_waitcnt lgkmcnt(0)
	s_and_saveexec_b64 s[10:11], s[6:7]
	s_cbranch_execz .LBB35_96
; %bb.87:
	s_andn2_b64 vcc, exec, s[8:9]
	s_cbranch_vccnz .LBB35_89
; %bb.88:
	buffer_load_dword v89, v75, s[0:3], 0 offen
	ds_read_b32 v90, v74
	s_waitcnt vmcnt(0) lgkmcnt(0)
	v_mul_f32_e32 v89, v89, v90
	s_cbranch_execz .LBB35_90
	s_branch .LBB35_91
.LBB35_89:
                                        ; implicit-def: $vgpr89
.LBB35_90:
	ds_read_b32 v89, v74
.LBB35_91:
	s_and_saveexec_b64 s[12:13], s[4:5]
	s_cbranch_execz .LBB35_95
; %bb.92:
	v_subrev_u32_e32 v90, 26, v0
	s_movk_i32 s14, 0xf8
	s_mov_b64 s[4:5], 0
.LBB35_93:                              ; =>This Inner Loop Header: Depth=1
	buffer_load_dword v91, v88, s[0:3], 0 offen
	v_mov_b32_e32 v92, s14
	ds_read_b32 v92, v92
	v_add_u32_e32 v90, -1, v90
	s_add_i32 s14, s14, 4
	v_cmp_eq_u32_e32 vcc, 0, v90
	v_add_u32_e32 v88, 4, v88
	s_or_b64 s[4:5], vcc, s[4:5]
	s_waitcnt vmcnt(0) lgkmcnt(0)
	v_fmac_f32_e32 v89, v91, v92
	s_andn2_b64 exec, exec, s[4:5]
	s_cbranch_execnz .LBB35_93
; %bb.94:
	s_or_b64 exec, exec, s[4:5]
.LBB35_95:
	s_or_b64 exec, exec, s[12:13]
	v_mov_b32_e32 v88, 0
	ds_read_b32 v88, v88 offset:100
	s_waitcnt lgkmcnt(0)
	v_mul_f32_e32 v88, v89, v88
	buffer_store_dword v88, off, s[0:3], 0 offset:100
.LBB35_96:
	s_or_b64 exec, exec, s[10:11]
	buffer_load_dword v88, off, s[0:3], 0 offset:96
	v_cmp_lt_u32_e64 s[4:5], 24, v0
	s_waitcnt vmcnt(0)
	ds_write_b32 v74, v88
	s_waitcnt lgkmcnt(0)
	; wave barrier
	s_waitcnt lgkmcnt(0)
	s_and_saveexec_b64 s[10:11], s[4:5]
	s_cbranch_execz .LBB35_106
; %bb.97:
	s_andn2_b64 vcc, exec, s[8:9]
	s_cbranch_vccnz .LBB35_99
; %bb.98:
	buffer_load_dword v88, v75, s[0:3], 0 offen
	ds_read_b32 v89, v74
	s_waitcnt vmcnt(0) lgkmcnt(0)
	v_mul_f32_e32 v88, v88, v89
	s_cbranch_execz .LBB35_100
	s_branch .LBB35_101
.LBB35_99:
                                        ; implicit-def: $vgpr88
.LBB35_100:
	ds_read_b32 v88, v74
.LBB35_101:
	s_and_saveexec_b64 s[12:13], s[6:7]
	s_cbranch_execz .LBB35_105
; %bb.102:
	v_mov_b32_e32 v89, 0
	v_add_u32_e32 v89, 0x64, v89
	v_subrev_u32_e32 v90, 25, v0
	s_movk_i32 s14, 0xf4
	s_mov_b64 s[6:7], 0
.LBB35_103:                             ; =>This Inner Loop Header: Depth=1
	buffer_load_dword v91, v89, s[0:3], 0 offen
	v_mov_b32_e32 v92, s14
	ds_read_b32 v92, v92
	v_add_u32_e32 v90, -1, v90
	s_add_i32 s14, s14, 4
	v_cmp_eq_u32_e32 vcc, 0, v90
	v_add_u32_e32 v89, 4, v89
	s_or_b64 s[6:7], vcc, s[6:7]
	s_waitcnt vmcnt(0) lgkmcnt(0)
	v_fmac_f32_e32 v88, v91, v92
	s_andn2_b64 exec, exec, s[6:7]
	s_cbranch_execnz .LBB35_103
; %bb.104:
	s_or_b64 exec, exec, s[6:7]
.LBB35_105:
	s_or_b64 exec, exec, s[12:13]
	v_mov_b32_e32 v89, 0
	ds_read_b32 v89, v89 offset:96
	s_waitcnt lgkmcnt(0)
	v_mul_f32_e32 v88, v88, v89
	buffer_store_dword v88, off, s[0:3], 0 offset:96
.LBB35_106:
	s_or_b64 exec, exec, s[10:11]
	buffer_load_dword v88, off, s[0:3], 0 offset:92
	v_cmp_lt_u32_e64 s[6:7], 23, v0
	s_waitcnt vmcnt(0)
	ds_write_b32 v74, v88
	s_waitcnt lgkmcnt(0)
	; wave barrier
	s_waitcnt lgkmcnt(0)
	s_and_saveexec_b64 s[10:11], s[6:7]
	s_cbranch_execz .LBB35_116
; %bb.107:
	s_andn2_b64 vcc, exec, s[8:9]
	s_cbranch_vccnz .LBB35_109
; %bb.108:
	buffer_load_dword v88, v75, s[0:3], 0 offen
	ds_read_b32 v89, v74
	s_waitcnt vmcnt(0) lgkmcnt(0)
	v_mul_f32_e32 v88, v88, v89
	s_cbranch_execz .LBB35_110
	s_branch .LBB35_111
.LBB35_109:
                                        ; implicit-def: $vgpr88
.LBB35_110:
	ds_read_b32 v88, v74
.LBB35_111:
	s_and_saveexec_b64 s[12:13], s[4:5]
	s_cbranch_execz .LBB35_115
; %bb.112:
	v_subrev_u32_e32 v89, 24, v0
	s_movk_i32 s14, 0xf0
	s_mov_b64 s[4:5], 0
.LBB35_113:                             ; =>This Inner Loop Header: Depth=1
	buffer_load_dword v90, v87, s[0:3], 0 offen
	v_mov_b32_e32 v91, s14
	ds_read_b32 v91, v91
	v_add_u32_e32 v89, -1, v89
	s_add_i32 s14, s14, 4
	v_cmp_eq_u32_e32 vcc, 0, v89
	v_add_u32_e32 v87, 4, v87
	s_or_b64 s[4:5], vcc, s[4:5]
	s_waitcnt vmcnt(0) lgkmcnt(0)
	v_fmac_f32_e32 v88, v90, v91
	s_andn2_b64 exec, exec, s[4:5]
	s_cbranch_execnz .LBB35_113
; %bb.114:
	s_or_b64 exec, exec, s[4:5]
.LBB35_115:
	s_or_b64 exec, exec, s[12:13]
	v_mov_b32_e32 v87, 0
	ds_read_b32 v87, v87 offset:92
	s_waitcnt lgkmcnt(0)
	v_mul_f32_e32 v87, v88, v87
	buffer_store_dword v87, off, s[0:3], 0 offset:92
.LBB35_116:
	s_or_b64 exec, exec, s[10:11]
	buffer_load_dword v87, off, s[0:3], 0 offset:88
	v_cmp_lt_u32_e64 s[4:5], 22, v0
	s_waitcnt vmcnt(0)
	ds_write_b32 v74, v87
	s_waitcnt lgkmcnt(0)
	; wave barrier
	s_waitcnt lgkmcnt(0)
	s_and_saveexec_b64 s[10:11], s[4:5]
	s_cbranch_execz .LBB35_126
; %bb.117:
	s_andn2_b64 vcc, exec, s[8:9]
	s_cbranch_vccnz .LBB35_119
; %bb.118:
	buffer_load_dword v87, v75, s[0:3], 0 offen
	ds_read_b32 v88, v74
	s_waitcnt vmcnt(0) lgkmcnt(0)
	v_mul_f32_e32 v87, v87, v88
	s_cbranch_execz .LBB35_120
	s_branch .LBB35_121
.LBB35_119:
                                        ; implicit-def: $vgpr87
.LBB35_120:
	ds_read_b32 v87, v74
.LBB35_121:
	s_and_saveexec_b64 s[12:13], s[6:7]
	s_cbranch_execz .LBB35_125
; %bb.122:
	v_mov_b32_e32 v88, 0
	v_add_u32_e32 v88, 0x5c, v88
	v_subrev_u32_e32 v89, 23, v0
	s_movk_i32 s14, 0xec
	s_mov_b64 s[6:7], 0
.LBB35_123:                             ; =>This Inner Loop Header: Depth=1
	buffer_load_dword v90, v88, s[0:3], 0 offen
	v_mov_b32_e32 v91, s14
	ds_read_b32 v91, v91
	v_add_u32_e32 v89, -1, v89
	s_add_i32 s14, s14, 4
	v_cmp_eq_u32_e32 vcc, 0, v89
	v_add_u32_e32 v88, 4, v88
	s_or_b64 s[6:7], vcc, s[6:7]
	s_waitcnt vmcnt(0) lgkmcnt(0)
	v_fmac_f32_e32 v87, v90, v91
	s_andn2_b64 exec, exec, s[6:7]
	s_cbranch_execnz .LBB35_123
; %bb.124:
	s_or_b64 exec, exec, s[6:7]
.LBB35_125:
	s_or_b64 exec, exec, s[12:13]
	v_mov_b32_e32 v88, 0
	ds_read_b32 v88, v88 offset:88
	s_waitcnt lgkmcnt(0)
	v_mul_f32_e32 v87, v87, v88
	buffer_store_dword v87, off, s[0:3], 0 offset:88
.LBB35_126:
	s_or_b64 exec, exec, s[10:11]
	buffer_load_dword v87, off, s[0:3], 0 offset:84
	v_cmp_lt_u32_e64 s[6:7], 21, v0
	s_waitcnt vmcnt(0)
	ds_write_b32 v74, v87
	s_waitcnt lgkmcnt(0)
	; wave barrier
	s_waitcnt lgkmcnt(0)
	s_and_saveexec_b64 s[10:11], s[6:7]
	s_cbranch_execz .LBB35_136
; %bb.127:
	s_andn2_b64 vcc, exec, s[8:9]
	s_cbranch_vccnz .LBB35_129
; %bb.128:
	buffer_load_dword v87, v75, s[0:3], 0 offen
	ds_read_b32 v88, v74
	s_waitcnt vmcnt(0) lgkmcnt(0)
	v_mul_f32_e32 v87, v87, v88
	s_cbranch_execz .LBB35_130
	s_branch .LBB35_131
.LBB35_129:
                                        ; implicit-def: $vgpr87
.LBB35_130:
	ds_read_b32 v87, v74
.LBB35_131:
	s_and_saveexec_b64 s[12:13], s[4:5]
	s_cbranch_execz .LBB35_135
; %bb.132:
	v_subrev_u32_e32 v88, 22, v0
	s_movk_i32 s14, 0xe8
	s_mov_b64 s[4:5], 0
.LBB35_133:                             ; =>This Inner Loop Header: Depth=1
	buffer_load_dword v89, v86, s[0:3], 0 offen
	v_mov_b32_e32 v90, s14
	ds_read_b32 v90, v90
	v_add_u32_e32 v88, -1, v88
	s_add_i32 s14, s14, 4
	v_cmp_eq_u32_e32 vcc, 0, v88
	v_add_u32_e32 v86, 4, v86
	s_or_b64 s[4:5], vcc, s[4:5]
	s_waitcnt vmcnt(0) lgkmcnt(0)
	v_fmac_f32_e32 v87, v89, v90
	s_andn2_b64 exec, exec, s[4:5]
	s_cbranch_execnz .LBB35_133
; %bb.134:
	s_or_b64 exec, exec, s[4:5]
.LBB35_135:
	s_or_b64 exec, exec, s[12:13]
	v_mov_b32_e32 v86, 0
	ds_read_b32 v86, v86 offset:84
	s_waitcnt lgkmcnt(0)
	v_mul_f32_e32 v86, v87, v86
	buffer_store_dword v86, off, s[0:3], 0 offset:84
.LBB35_136:
	s_or_b64 exec, exec, s[10:11]
	buffer_load_dword v86, off, s[0:3], 0 offset:80
	v_cmp_lt_u32_e64 s[4:5], 20, v0
	s_waitcnt vmcnt(0)
	ds_write_b32 v74, v86
	s_waitcnt lgkmcnt(0)
	; wave barrier
	s_waitcnt lgkmcnt(0)
	s_and_saveexec_b64 s[10:11], s[4:5]
	s_cbranch_execz .LBB35_146
; %bb.137:
	s_andn2_b64 vcc, exec, s[8:9]
	s_cbranch_vccnz .LBB35_139
; %bb.138:
	buffer_load_dword v86, v75, s[0:3], 0 offen
	ds_read_b32 v87, v74
	s_waitcnt vmcnt(0) lgkmcnt(0)
	v_mul_f32_e32 v86, v86, v87
	s_cbranch_execz .LBB35_140
	s_branch .LBB35_141
.LBB35_139:
                                        ; implicit-def: $vgpr86
.LBB35_140:
	ds_read_b32 v86, v74
.LBB35_141:
	s_and_saveexec_b64 s[12:13], s[6:7]
	s_cbranch_execz .LBB35_145
; %bb.142:
	v_mov_b32_e32 v87, 0
	v_add_u32_e32 v87, 0x54, v87
	v_subrev_u32_e32 v88, 21, v0
	s_movk_i32 s14, 0xe4
	s_mov_b64 s[6:7], 0
.LBB35_143:                             ; =>This Inner Loop Header: Depth=1
	buffer_load_dword v89, v87, s[0:3], 0 offen
	v_mov_b32_e32 v90, s14
	ds_read_b32 v90, v90
	v_add_u32_e32 v88, -1, v88
	s_add_i32 s14, s14, 4
	v_cmp_eq_u32_e32 vcc, 0, v88
	v_add_u32_e32 v87, 4, v87
	s_or_b64 s[6:7], vcc, s[6:7]
	s_waitcnt vmcnt(0) lgkmcnt(0)
	v_fmac_f32_e32 v86, v89, v90
	s_andn2_b64 exec, exec, s[6:7]
	s_cbranch_execnz .LBB35_143
; %bb.144:
	s_or_b64 exec, exec, s[6:7]
.LBB35_145:
	s_or_b64 exec, exec, s[12:13]
	v_mov_b32_e32 v87, 0
	ds_read_b32 v87, v87 offset:80
	s_waitcnt lgkmcnt(0)
	v_mul_f32_e32 v86, v86, v87
	buffer_store_dword v86, off, s[0:3], 0 offset:80
.LBB35_146:
	s_or_b64 exec, exec, s[10:11]
	buffer_load_dword v86, off, s[0:3], 0 offset:76
	v_cmp_lt_u32_e64 s[6:7], 19, v0
	s_waitcnt vmcnt(0)
	ds_write_b32 v74, v86
	s_waitcnt lgkmcnt(0)
	; wave barrier
	s_waitcnt lgkmcnt(0)
	s_and_saveexec_b64 s[10:11], s[6:7]
	s_cbranch_execz .LBB35_156
; %bb.147:
	s_andn2_b64 vcc, exec, s[8:9]
	s_cbranch_vccnz .LBB35_149
; %bb.148:
	buffer_load_dword v86, v75, s[0:3], 0 offen
	ds_read_b32 v87, v74
	s_waitcnt vmcnt(0) lgkmcnt(0)
	v_mul_f32_e32 v86, v86, v87
	s_cbranch_execz .LBB35_150
	s_branch .LBB35_151
.LBB35_149:
                                        ; implicit-def: $vgpr86
.LBB35_150:
	ds_read_b32 v86, v74
.LBB35_151:
	s_and_saveexec_b64 s[12:13], s[4:5]
	s_cbranch_execz .LBB35_155
; %bb.152:
	v_subrev_u32_e32 v87, 20, v0
	s_movk_i32 s14, 0xe0
	s_mov_b64 s[4:5], 0
.LBB35_153:                             ; =>This Inner Loop Header: Depth=1
	buffer_load_dword v88, v85, s[0:3], 0 offen
	v_mov_b32_e32 v89, s14
	ds_read_b32 v89, v89
	v_add_u32_e32 v87, -1, v87
	s_add_i32 s14, s14, 4
	v_cmp_eq_u32_e32 vcc, 0, v87
	v_add_u32_e32 v85, 4, v85
	s_or_b64 s[4:5], vcc, s[4:5]
	s_waitcnt vmcnt(0) lgkmcnt(0)
	v_fmac_f32_e32 v86, v88, v89
	s_andn2_b64 exec, exec, s[4:5]
	s_cbranch_execnz .LBB35_153
; %bb.154:
	s_or_b64 exec, exec, s[4:5]
.LBB35_155:
	s_or_b64 exec, exec, s[12:13]
	v_mov_b32_e32 v85, 0
	ds_read_b32 v85, v85 offset:76
	s_waitcnt lgkmcnt(0)
	v_mul_f32_e32 v85, v86, v85
	buffer_store_dword v85, off, s[0:3], 0 offset:76
.LBB35_156:
	s_or_b64 exec, exec, s[10:11]
	buffer_load_dword v85, off, s[0:3], 0 offset:72
	v_cmp_lt_u32_e64 s[4:5], 18, v0
	s_waitcnt vmcnt(0)
	ds_write_b32 v74, v85
	s_waitcnt lgkmcnt(0)
	; wave barrier
	s_waitcnt lgkmcnt(0)
	s_and_saveexec_b64 s[10:11], s[4:5]
	s_cbranch_execz .LBB35_166
; %bb.157:
	s_andn2_b64 vcc, exec, s[8:9]
	s_cbranch_vccnz .LBB35_159
; %bb.158:
	buffer_load_dword v85, v75, s[0:3], 0 offen
	ds_read_b32 v86, v74
	s_waitcnt vmcnt(0) lgkmcnt(0)
	v_mul_f32_e32 v85, v85, v86
	s_cbranch_execz .LBB35_160
	s_branch .LBB35_161
.LBB35_159:
                                        ; implicit-def: $vgpr85
.LBB35_160:
	ds_read_b32 v85, v74
.LBB35_161:
	s_and_saveexec_b64 s[12:13], s[6:7]
	s_cbranch_execz .LBB35_165
; %bb.162:
	v_mov_b32_e32 v86, 0
	v_add_u32_e32 v86, 0x4c, v86
	v_subrev_u32_e32 v87, 19, v0
	s_movk_i32 s14, 0xdc
	s_mov_b64 s[6:7], 0
.LBB35_163:                             ; =>This Inner Loop Header: Depth=1
	buffer_load_dword v88, v86, s[0:3], 0 offen
	v_mov_b32_e32 v89, s14
	ds_read_b32 v89, v89
	v_add_u32_e32 v87, -1, v87
	s_add_i32 s14, s14, 4
	v_cmp_eq_u32_e32 vcc, 0, v87
	v_add_u32_e32 v86, 4, v86
	s_or_b64 s[6:7], vcc, s[6:7]
	s_waitcnt vmcnt(0) lgkmcnt(0)
	v_fmac_f32_e32 v85, v88, v89
	s_andn2_b64 exec, exec, s[6:7]
	s_cbranch_execnz .LBB35_163
; %bb.164:
	s_or_b64 exec, exec, s[6:7]
.LBB35_165:
	s_or_b64 exec, exec, s[12:13]
	v_mov_b32_e32 v86, 0
	ds_read_b32 v86, v86 offset:72
	s_waitcnt lgkmcnt(0)
	v_mul_f32_e32 v85, v85, v86
	buffer_store_dword v85, off, s[0:3], 0 offset:72
.LBB35_166:
	s_or_b64 exec, exec, s[10:11]
	buffer_load_dword v85, off, s[0:3], 0 offset:68
	v_cmp_lt_u32_e64 s[6:7], 17, v0
	s_waitcnt vmcnt(0)
	ds_write_b32 v74, v85
	s_waitcnt lgkmcnt(0)
	; wave barrier
	s_waitcnt lgkmcnt(0)
	s_and_saveexec_b64 s[10:11], s[6:7]
	s_cbranch_execz .LBB35_176
; %bb.167:
	s_andn2_b64 vcc, exec, s[8:9]
	s_cbranch_vccnz .LBB35_169
; %bb.168:
	buffer_load_dword v85, v75, s[0:3], 0 offen
	ds_read_b32 v86, v74
	s_waitcnt vmcnt(0) lgkmcnt(0)
	v_mul_f32_e32 v85, v85, v86
	s_cbranch_execz .LBB35_170
	s_branch .LBB35_171
.LBB35_169:
                                        ; implicit-def: $vgpr85
.LBB35_170:
	ds_read_b32 v85, v74
.LBB35_171:
	s_and_saveexec_b64 s[12:13], s[4:5]
	s_cbranch_execz .LBB35_175
; %bb.172:
	v_subrev_u32_e32 v86, 18, v0
	s_movk_i32 s14, 0xd8
	s_mov_b64 s[4:5], 0
.LBB35_173:                             ; =>This Inner Loop Header: Depth=1
	buffer_load_dword v87, v84, s[0:3], 0 offen
	v_mov_b32_e32 v88, s14
	ds_read_b32 v88, v88
	v_add_u32_e32 v86, -1, v86
	s_add_i32 s14, s14, 4
	v_cmp_eq_u32_e32 vcc, 0, v86
	v_add_u32_e32 v84, 4, v84
	s_or_b64 s[4:5], vcc, s[4:5]
	s_waitcnt vmcnt(0) lgkmcnt(0)
	v_fmac_f32_e32 v85, v87, v88
	s_andn2_b64 exec, exec, s[4:5]
	s_cbranch_execnz .LBB35_173
; %bb.174:
	s_or_b64 exec, exec, s[4:5]
.LBB35_175:
	s_or_b64 exec, exec, s[12:13]
	v_mov_b32_e32 v84, 0
	ds_read_b32 v84, v84 offset:68
	s_waitcnt lgkmcnt(0)
	v_mul_f32_e32 v84, v85, v84
	buffer_store_dword v84, off, s[0:3], 0 offset:68
.LBB35_176:
	s_or_b64 exec, exec, s[10:11]
	buffer_load_dword v84, off, s[0:3], 0 offset:64
	v_cmp_lt_u32_e64 s[4:5], 16, v0
	s_waitcnt vmcnt(0)
	ds_write_b32 v74, v84
	s_waitcnt lgkmcnt(0)
	; wave barrier
	s_waitcnt lgkmcnt(0)
	s_and_saveexec_b64 s[10:11], s[4:5]
	s_cbranch_execz .LBB35_186
; %bb.177:
	s_andn2_b64 vcc, exec, s[8:9]
	s_cbranch_vccnz .LBB35_179
; %bb.178:
	buffer_load_dword v84, v75, s[0:3], 0 offen
	ds_read_b32 v85, v74
	s_waitcnt vmcnt(0) lgkmcnt(0)
	v_mul_f32_e32 v84, v84, v85
	s_cbranch_execz .LBB35_180
	s_branch .LBB35_181
.LBB35_179:
                                        ; implicit-def: $vgpr84
.LBB35_180:
	ds_read_b32 v84, v74
.LBB35_181:
	s_and_saveexec_b64 s[12:13], s[6:7]
	s_cbranch_execz .LBB35_185
; %bb.182:
	v_mov_b32_e32 v85, 0
	v_add_u32_e32 v85, 0x44, v85
	v_subrev_u32_e32 v86, 17, v0
	s_movk_i32 s14, 0xd4
	s_mov_b64 s[6:7], 0
.LBB35_183:                             ; =>This Inner Loop Header: Depth=1
	buffer_load_dword v87, v85, s[0:3], 0 offen
	v_mov_b32_e32 v88, s14
	ds_read_b32 v88, v88
	v_add_u32_e32 v86, -1, v86
	s_add_i32 s14, s14, 4
	v_cmp_eq_u32_e32 vcc, 0, v86
	v_add_u32_e32 v85, 4, v85
	s_or_b64 s[6:7], vcc, s[6:7]
	s_waitcnt vmcnt(0) lgkmcnt(0)
	v_fmac_f32_e32 v84, v87, v88
	s_andn2_b64 exec, exec, s[6:7]
	s_cbranch_execnz .LBB35_183
; %bb.184:
	s_or_b64 exec, exec, s[6:7]
.LBB35_185:
	s_or_b64 exec, exec, s[12:13]
	v_mov_b32_e32 v85, 0
	ds_read_b32 v85, v85 offset:64
	s_waitcnt lgkmcnt(0)
	v_mul_f32_e32 v84, v84, v85
	buffer_store_dword v84, off, s[0:3], 0 offset:64
.LBB35_186:
	s_or_b64 exec, exec, s[10:11]
	buffer_load_dword v84, off, s[0:3], 0 offset:60
	v_cmp_lt_u32_e64 s[6:7], 15, v0
	s_waitcnt vmcnt(0)
	ds_write_b32 v74, v84
	s_waitcnt lgkmcnt(0)
	; wave barrier
	s_waitcnt lgkmcnt(0)
	s_and_saveexec_b64 s[10:11], s[6:7]
	s_cbranch_execz .LBB35_196
; %bb.187:
	s_andn2_b64 vcc, exec, s[8:9]
	s_cbranch_vccnz .LBB35_189
; %bb.188:
	buffer_load_dword v84, v75, s[0:3], 0 offen
	ds_read_b32 v85, v74
	s_waitcnt vmcnt(0) lgkmcnt(0)
	v_mul_f32_e32 v84, v84, v85
	s_cbranch_execz .LBB35_190
	s_branch .LBB35_191
.LBB35_189:
                                        ; implicit-def: $vgpr84
.LBB35_190:
	ds_read_b32 v84, v74
.LBB35_191:
	s_and_saveexec_b64 s[12:13], s[4:5]
	s_cbranch_execz .LBB35_195
; %bb.192:
	v_add_u32_e32 v85, -16, v0
	s_movk_i32 s14, 0xd0
	s_mov_b64 s[4:5], 0
.LBB35_193:                             ; =>This Inner Loop Header: Depth=1
	buffer_load_dword v86, v83, s[0:3], 0 offen
	v_mov_b32_e32 v87, s14
	ds_read_b32 v87, v87
	v_add_u32_e32 v85, -1, v85
	s_add_i32 s14, s14, 4
	v_cmp_eq_u32_e32 vcc, 0, v85
	v_add_u32_e32 v83, 4, v83
	s_or_b64 s[4:5], vcc, s[4:5]
	s_waitcnt vmcnt(0) lgkmcnt(0)
	v_fmac_f32_e32 v84, v86, v87
	s_andn2_b64 exec, exec, s[4:5]
	s_cbranch_execnz .LBB35_193
; %bb.194:
	s_or_b64 exec, exec, s[4:5]
.LBB35_195:
	s_or_b64 exec, exec, s[12:13]
	v_mov_b32_e32 v83, 0
	ds_read_b32 v83, v83 offset:60
	s_waitcnt lgkmcnt(0)
	v_mul_f32_e32 v83, v84, v83
	buffer_store_dword v83, off, s[0:3], 0 offset:60
.LBB35_196:
	s_or_b64 exec, exec, s[10:11]
	buffer_load_dword v83, off, s[0:3], 0 offset:56
	v_cmp_lt_u32_e64 s[4:5], 14, v0
	s_waitcnt vmcnt(0)
	ds_write_b32 v74, v83
	s_waitcnt lgkmcnt(0)
	; wave barrier
	s_waitcnt lgkmcnt(0)
	s_and_saveexec_b64 s[10:11], s[4:5]
	s_cbranch_execz .LBB35_206
; %bb.197:
	s_andn2_b64 vcc, exec, s[8:9]
	s_cbranch_vccnz .LBB35_199
; %bb.198:
	buffer_load_dword v83, v75, s[0:3], 0 offen
	ds_read_b32 v84, v74
	s_waitcnt vmcnt(0) lgkmcnt(0)
	v_mul_f32_e32 v83, v83, v84
	s_cbranch_execz .LBB35_200
	s_branch .LBB35_201
.LBB35_199:
                                        ; implicit-def: $vgpr83
.LBB35_200:
	ds_read_b32 v83, v74
.LBB35_201:
	s_and_saveexec_b64 s[12:13], s[6:7]
	s_cbranch_execz .LBB35_205
; %bb.202:
	v_mov_b32_e32 v84, 0
	v_add_u32_e32 v84, 60, v84
	v_add_u32_e32 v85, -15, v0
	s_movk_i32 s14, 0xcc
	s_mov_b64 s[6:7], 0
.LBB35_203:                             ; =>This Inner Loop Header: Depth=1
	buffer_load_dword v86, v84, s[0:3], 0 offen
	v_mov_b32_e32 v87, s14
	ds_read_b32 v87, v87
	v_add_u32_e32 v85, -1, v85
	s_add_i32 s14, s14, 4
	v_cmp_eq_u32_e32 vcc, 0, v85
	v_add_u32_e32 v84, 4, v84
	s_or_b64 s[6:7], vcc, s[6:7]
	s_waitcnt vmcnt(0) lgkmcnt(0)
	v_fmac_f32_e32 v83, v86, v87
	s_andn2_b64 exec, exec, s[6:7]
	s_cbranch_execnz .LBB35_203
; %bb.204:
	s_or_b64 exec, exec, s[6:7]
.LBB35_205:
	s_or_b64 exec, exec, s[12:13]
	v_mov_b32_e32 v84, 0
	ds_read_b32 v84, v84 offset:56
	s_waitcnt lgkmcnt(0)
	v_mul_f32_e32 v83, v83, v84
	buffer_store_dword v83, off, s[0:3], 0 offset:56
.LBB35_206:
	s_or_b64 exec, exec, s[10:11]
	buffer_load_dword v83, off, s[0:3], 0 offset:52
	v_cmp_lt_u32_e64 s[6:7], 13, v0
	s_waitcnt vmcnt(0)
	ds_write_b32 v74, v83
	s_waitcnt lgkmcnt(0)
	; wave barrier
	s_waitcnt lgkmcnt(0)
	s_and_saveexec_b64 s[10:11], s[6:7]
	s_cbranch_execz .LBB35_216
; %bb.207:
	s_andn2_b64 vcc, exec, s[8:9]
	s_cbranch_vccnz .LBB35_209
; %bb.208:
	buffer_load_dword v83, v75, s[0:3], 0 offen
	ds_read_b32 v84, v74
	s_waitcnt vmcnt(0) lgkmcnt(0)
	v_mul_f32_e32 v83, v83, v84
	s_cbranch_execz .LBB35_210
	s_branch .LBB35_211
.LBB35_209:
                                        ; implicit-def: $vgpr83
.LBB35_210:
	ds_read_b32 v83, v74
.LBB35_211:
	s_and_saveexec_b64 s[12:13], s[4:5]
	s_cbranch_execz .LBB35_215
; %bb.212:
	v_add_u32_e32 v84, -14, v0
	s_movk_i32 s14, 0xc8
	s_mov_b64 s[4:5], 0
.LBB35_213:                             ; =>This Inner Loop Header: Depth=1
	buffer_load_dword v85, v82, s[0:3], 0 offen
	v_mov_b32_e32 v86, s14
	ds_read_b32 v86, v86
	v_add_u32_e32 v84, -1, v84
	s_add_i32 s14, s14, 4
	v_cmp_eq_u32_e32 vcc, 0, v84
	v_add_u32_e32 v82, 4, v82
	s_or_b64 s[4:5], vcc, s[4:5]
	s_waitcnt vmcnt(0) lgkmcnt(0)
	v_fmac_f32_e32 v83, v85, v86
	s_andn2_b64 exec, exec, s[4:5]
	s_cbranch_execnz .LBB35_213
; %bb.214:
	s_or_b64 exec, exec, s[4:5]
.LBB35_215:
	s_or_b64 exec, exec, s[12:13]
	v_mov_b32_e32 v82, 0
	ds_read_b32 v82, v82 offset:52
	s_waitcnt lgkmcnt(0)
	v_mul_f32_e32 v82, v83, v82
	buffer_store_dword v82, off, s[0:3], 0 offset:52
.LBB35_216:
	s_or_b64 exec, exec, s[10:11]
	buffer_load_dword v82, off, s[0:3], 0 offset:48
	v_cmp_lt_u32_e64 s[4:5], 12, v0
	s_waitcnt vmcnt(0)
	ds_write_b32 v74, v82
	s_waitcnt lgkmcnt(0)
	; wave barrier
	s_waitcnt lgkmcnt(0)
	s_and_saveexec_b64 s[10:11], s[4:5]
	s_cbranch_execz .LBB35_226
; %bb.217:
	s_andn2_b64 vcc, exec, s[8:9]
	s_cbranch_vccnz .LBB35_219
; %bb.218:
	buffer_load_dword v82, v75, s[0:3], 0 offen
	ds_read_b32 v83, v74
	s_waitcnt vmcnt(0) lgkmcnt(0)
	v_mul_f32_e32 v82, v82, v83
	s_cbranch_execz .LBB35_220
	s_branch .LBB35_221
.LBB35_219:
                                        ; implicit-def: $vgpr82
.LBB35_220:
	ds_read_b32 v82, v74
.LBB35_221:
	s_and_saveexec_b64 s[12:13], s[6:7]
	s_cbranch_execz .LBB35_225
; %bb.222:
	v_mov_b32_e32 v83, 0
	v_add_u32_e32 v83, 52, v83
	v_add_u32_e32 v84, -13, v0
	s_movk_i32 s14, 0xc4
	s_mov_b64 s[6:7], 0
.LBB35_223:                             ; =>This Inner Loop Header: Depth=1
	buffer_load_dword v85, v83, s[0:3], 0 offen
	v_mov_b32_e32 v86, s14
	ds_read_b32 v86, v86
	v_add_u32_e32 v84, -1, v84
	s_add_i32 s14, s14, 4
	v_cmp_eq_u32_e32 vcc, 0, v84
	v_add_u32_e32 v83, 4, v83
	s_or_b64 s[6:7], vcc, s[6:7]
	s_waitcnt vmcnt(0) lgkmcnt(0)
	v_fmac_f32_e32 v82, v85, v86
	s_andn2_b64 exec, exec, s[6:7]
	s_cbranch_execnz .LBB35_223
; %bb.224:
	s_or_b64 exec, exec, s[6:7]
.LBB35_225:
	s_or_b64 exec, exec, s[12:13]
	v_mov_b32_e32 v83, 0
	ds_read_b32 v83, v83 offset:48
	s_waitcnt lgkmcnt(0)
	v_mul_f32_e32 v82, v82, v83
	buffer_store_dword v82, off, s[0:3], 0 offset:48
.LBB35_226:
	s_or_b64 exec, exec, s[10:11]
	buffer_load_dword v82, off, s[0:3], 0 offset:44
	v_cmp_lt_u32_e64 s[6:7], 11, v0
	s_waitcnt vmcnt(0)
	ds_write_b32 v74, v82
	s_waitcnt lgkmcnt(0)
	; wave barrier
	s_waitcnt lgkmcnt(0)
	s_and_saveexec_b64 s[10:11], s[6:7]
	s_cbranch_execz .LBB35_236
; %bb.227:
	s_andn2_b64 vcc, exec, s[8:9]
	s_cbranch_vccnz .LBB35_229
; %bb.228:
	buffer_load_dword v82, v75, s[0:3], 0 offen
	ds_read_b32 v83, v74
	s_waitcnt vmcnt(0) lgkmcnt(0)
	v_mul_f32_e32 v82, v82, v83
	s_cbranch_execz .LBB35_230
	s_branch .LBB35_231
.LBB35_229:
                                        ; implicit-def: $vgpr82
.LBB35_230:
	ds_read_b32 v82, v74
.LBB35_231:
	s_and_saveexec_b64 s[12:13], s[4:5]
	s_cbranch_execz .LBB35_235
; %bb.232:
	v_add_u32_e32 v83, -12, v0
	s_movk_i32 s14, 0xc0
	s_mov_b64 s[4:5], 0
.LBB35_233:                             ; =>This Inner Loop Header: Depth=1
	buffer_load_dword v84, v81, s[0:3], 0 offen
	v_mov_b32_e32 v85, s14
	ds_read_b32 v85, v85
	v_add_u32_e32 v83, -1, v83
	s_add_i32 s14, s14, 4
	v_cmp_eq_u32_e32 vcc, 0, v83
	v_add_u32_e32 v81, 4, v81
	s_or_b64 s[4:5], vcc, s[4:5]
	s_waitcnt vmcnt(0) lgkmcnt(0)
	v_fmac_f32_e32 v82, v84, v85
	s_andn2_b64 exec, exec, s[4:5]
	s_cbranch_execnz .LBB35_233
; %bb.234:
	s_or_b64 exec, exec, s[4:5]
.LBB35_235:
	s_or_b64 exec, exec, s[12:13]
	v_mov_b32_e32 v81, 0
	ds_read_b32 v81, v81 offset:44
	s_waitcnt lgkmcnt(0)
	v_mul_f32_e32 v81, v82, v81
	buffer_store_dword v81, off, s[0:3], 0 offset:44
.LBB35_236:
	s_or_b64 exec, exec, s[10:11]
	buffer_load_dword v81, off, s[0:3], 0 offset:40
	v_cmp_lt_u32_e64 s[4:5], 10, v0
	s_waitcnt vmcnt(0)
	ds_write_b32 v74, v81
	s_waitcnt lgkmcnt(0)
	; wave barrier
	s_waitcnt lgkmcnt(0)
	s_and_saveexec_b64 s[10:11], s[4:5]
	s_cbranch_execz .LBB35_246
; %bb.237:
	s_andn2_b64 vcc, exec, s[8:9]
	s_cbranch_vccnz .LBB35_239
; %bb.238:
	buffer_load_dword v81, v75, s[0:3], 0 offen
	ds_read_b32 v82, v74
	s_waitcnt vmcnt(0) lgkmcnt(0)
	v_mul_f32_e32 v81, v81, v82
	s_cbranch_execz .LBB35_240
	s_branch .LBB35_241
.LBB35_239:
                                        ; implicit-def: $vgpr81
.LBB35_240:
	ds_read_b32 v81, v74
.LBB35_241:
	s_and_saveexec_b64 s[12:13], s[6:7]
	s_cbranch_execz .LBB35_245
; %bb.242:
	v_mov_b32_e32 v82, 0
	v_add_u32_e32 v82, 44, v82
	v_add_u32_e32 v83, -11, v0
	s_movk_i32 s14, 0xbc
	s_mov_b64 s[6:7], 0
.LBB35_243:                             ; =>This Inner Loop Header: Depth=1
	buffer_load_dword v84, v82, s[0:3], 0 offen
	v_mov_b32_e32 v85, s14
	ds_read_b32 v85, v85
	v_add_u32_e32 v83, -1, v83
	s_add_i32 s14, s14, 4
	v_cmp_eq_u32_e32 vcc, 0, v83
	v_add_u32_e32 v82, 4, v82
	s_or_b64 s[6:7], vcc, s[6:7]
	s_waitcnt vmcnt(0) lgkmcnt(0)
	v_fmac_f32_e32 v81, v84, v85
	s_andn2_b64 exec, exec, s[6:7]
	s_cbranch_execnz .LBB35_243
; %bb.244:
	s_or_b64 exec, exec, s[6:7]
.LBB35_245:
	s_or_b64 exec, exec, s[12:13]
	v_mov_b32_e32 v82, 0
	ds_read_b32 v82, v82 offset:40
	s_waitcnt lgkmcnt(0)
	v_mul_f32_e32 v81, v81, v82
	buffer_store_dword v81, off, s[0:3], 0 offset:40
.LBB35_246:
	s_or_b64 exec, exec, s[10:11]
	buffer_load_dword v81, off, s[0:3], 0 offset:36
	v_cmp_lt_u32_e64 s[6:7], 9, v0
	s_waitcnt vmcnt(0)
	ds_write_b32 v74, v81
	s_waitcnt lgkmcnt(0)
	; wave barrier
	s_waitcnt lgkmcnt(0)
	s_and_saveexec_b64 s[10:11], s[6:7]
	s_cbranch_execz .LBB35_256
; %bb.247:
	s_andn2_b64 vcc, exec, s[8:9]
	s_cbranch_vccnz .LBB35_249
; %bb.248:
	buffer_load_dword v81, v75, s[0:3], 0 offen
	ds_read_b32 v82, v74
	s_waitcnt vmcnt(0) lgkmcnt(0)
	v_mul_f32_e32 v81, v81, v82
	s_cbranch_execz .LBB35_250
	s_branch .LBB35_251
.LBB35_249:
                                        ; implicit-def: $vgpr81
.LBB35_250:
	ds_read_b32 v81, v74
.LBB35_251:
	s_and_saveexec_b64 s[12:13], s[4:5]
	s_cbranch_execz .LBB35_255
; %bb.252:
	v_add_u32_e32 v82, -10, v0
	s_movk_i32 s14, 0xb8
	s_mov_b64 s[4:5], 0
.LBB35_253:                             ; =>This Inner Loop Header: Depth=1
	buffer_load_dword v83, v80, s[0:3], 0 offen
	v_mov_b32_e32 v84, s14
	ds_read_b32 v84, v84
	v_add_u32_e32 v82, -1, v82
	s_add_i32 s14, s14, 4
	v_cmp_eq_u32_e32 vcc, 0, v82
	v_add_u32_e32 v80, 4, v80
	s_or_b64 s[4:5], vcc, s[4:5]
	s_waitcnt vmcnt(0) lgkmcnt(0)
	v_fmac_f32_e32 v81, v83, v84
	s_andn2_b64 exec, exec, s[4:5]
	s_cbranch_execnz .LBB35_253
; %bb.254:
	s_or_b64 exec, exec, s[4:5]
.LBB35_255:
	s_or_b64 exec, exec, s[12:13]
	v_mov_b32_e32 v80, 0
	ds_read_b32 v80, v80 offset:36
	s_waitcnt lgkmcnt(0)
	v_mul_f32_e32 v80, v81, v80
	buffer_store_dword v80, off, s[0:3], 0 offset:36
.LBB35_256:
	s_or_b64 exec, exec, s[10:11]
	buffer_load_dword v80, off, s[0:3], 0 offset:32
	v_cmp_lt_u32_e64 s[4:5], 8, v0
	s_waitcnt vmcnt(0)
	ds_write_b32 v74, v80
	s_waitcnt lgkmcnt(0)
	; wave barrier
	s_waitcnt lgkmcnt(0)
	s_and_saveexec_b64 s[10:11], s[4:5]
	s_cbranch_execz .LBB35_266
; %bb.257:
	s_andn2_b64 vcc, exec, s[8:9]
	s_cbranch_vccnz .LBB35_259
; %bb.258:
	buffer_load_dword v80, v75, s[0:3], 0 offen
	ds_read_b32 v81, v74
	s_waitcnt vmcnt(0) lgkmcnt(0)
	v_mul_f32_e32 v80, v80, v81
	s_cbranch_execz .LBB35_260
	s_branch .LBB35_261
.LBB35_259:
                                        ; implicit-def: $vgpr80
.LBB35_260:
	ds_read_b32 v80, v74
.LBB35_261:
	s_and_saveexec_b64 s[12:13], s[6:7]
	s_cbranch_execz .LBB35_265
; %bb.262:
	v_mov_b32_e32 v81, 0
	v_add_u32_e32 v81, 36, v81
	v_add_u32_e32 v82, -9, v0
	s_movk_i32 s14, 0xb4
	s_mov_b64 s[6:7], 0
.LBB35_263:                             ; =>This Inner Loop Header: Depth=1
	buffer_load_dword v83, v81, s[0:3], 0 offen
	v_mov_b32_e32 v84, s14
	ds_read_b32 v84, v84
	v_add_u32_e32 v82, -1, v82
	s_add_i32 s14, s14, 4
	v_cmp_eq_u32_e32 vcc, 0, v82
	v_add_u32_e32 v81, 4, v81
	s_or_b64 s[6:7], vcc, s[6:7]
	s_waitcnt vmcnt(0) lgkmcnt(0)
	v_fmac_f32_e32 v80, v83, v84
	s_andn2_b64 exec, exec, s[6:7]
	s_cbranch_execnz .LBB35_263
; %bb.264:
	s_or_b64 exec, exec, s[6:7]
.LBB35_265:
	s_or_b64 exec, exec, s[12:13]
	v_mov_b32_e32 v81, 0
	ds_read_b32 v81, v81 offset:32
	s_waitcnt lgkmcnt(0)
	v_mul_f32_e32 v80, v80, v81
	buffer_store_dword v80, off, s[0:3], 0 offset:32
.LBB35_266:
	s_or_b64 exec, exec, s[10:11]
	buffer_load_dword v80, off, s[0:3], 0 offset:28
	v_cmp_lt_u32_e64 s[6:7], 7, v0
	s_waitcnt vmcnt(0)
	ds_write_b32 v74, v80
	s_waitcnt lgkmcnt(0)
	; wave barrier
	s_waitcnt lgkmcnt(0)
	s_and_saveexec_b64 s[10:11], s[6:7]
	s_cbranch_execz .LBB35_276
; %bb.267:
	s_andn2_b64 vcc, exec, s[8:9]
	s_cbranch_vccnz .LBB35_269
; %bb.268:
	buffer_load_dword v80, v75, s[0:3], 0 offen
	ds_read_b32 v81, v74
	s_waitcnt vmcnt(0) lgkmcnt(0)
	v_mul_f32_e32 v80, v80, v81
	s_cbranch_execz .LBB35_270
	s_branch .LBB35_271
.LBB35_269:
                                        ; implicit-def: $vgpr80
.LBB35_270:
	ds_read_b32 v80, v74
.LBB35_271:
	s_and_saveexec_b64 s[12:13], s[4:5]
	s_cbranch_execz .LBB35_275
; %bb.272:
	v_add_u32_e32 v81, -8, v0
	s_movk_i32 s14, 0xb0
	s_mov_b64 s[4:5], 0
.LBB35_273:                             ; =>This Inner Loop Header: Depth=1
	buffer_load_dword v82, v79, s[0:3], 0 offen
	v_mov_b32_e32 v83, s14
	ds_read_b32 v83, v83
	v_add_u32_e32 v81, -1, v81
	s_add_i32 s14, s14, 4
	v_cmp_eq_u32_e32 vcc, 0, v81
	v_add_u32_e32 v79, 4, v79
	s_or_b64 s[4:5], vcc, s[4:5]
	s_waitcnt vmcnt(0) lgkmcnt(0)
	v_fmac_f32_e32 v80, v82, v83
	s_andn2_b64 exec, exec, s[4:5]
	s_cbranch_execnz .LBB35_273
; %bb.274:
	s_or_b64 exec, exec, s[4:5]
.LBB35_275:
	s_or_b64 exec, exec, s[12:13]
	v_mov_b32_e32 v79, 0
	ds_read_b32 v79, v79 offset:28
	s_waitcnt lgkmcnt(0)
	v_mul_f32_e32 v79, v80, v79
	buffer_store_dword v79, off, s[0:3], 0 offset:28
.LBB35_276:
	s_or_b64 exec, exec, s[10:11]
	buffer_load_dword v79, off, s[0:3], 0 offset:24
	v_cmp_lt_u32_e64 s[4:5], 6, v0
	s_waitcnt vmcnt(0)
	ds_write_b32 v74, v79
	s_waitcnt lgkmcnt(0)
	; wave barrier
	s_waitcnt lgkmcnt(0)
	s_and_saveexec_b64 s[10:11], s[4:5]
	s_cbranch_execz .LBB35_286
; %bb.277:
	s_andn2_b64 vcc, exec, s[8:9]
	s_cbranch_vccnz .LBB35_279
; %bb.278:
	buffer_load_dword v79, v75, s[0:3], 0 offen
	ds_read_b32 v80, v74
	s_waitcnt vmcnt(0) lgkmcnt(0)
	v_mul_f32_e32 v79, v79, v80
	s_cbranch_execz .LBB35_280
	s_branch .LBB35_281
.LBB35_279:
                                        ; implicit-def: $vgpr79
.LBB35_280:
	ds_read_b32 v79, v74
.LBB35_281:
	s_and_saveexec_b64 s[12:13], s[6:7]
	s_cbranch_execz .LBB35_285
; %bb.282:
	v_mov_b32_e32 v80, 0
	v_add_u32_e32 v80, 28, v80
	v_add_u32_e32 v81, -7, v0
	s_movk_i32 s14, 0xac
	s_mov_b64 s[6:7], 0
.LBB35_283:                             ; =>This Inner Loop Header: Depth=1
	buffer_load_dword v82, v80, s[0:3], 0 offen
	v_mov_b32_e32 v83, s14
	ds_read_b32 v83, v83
	v_add_u32_e32 v81, -1, v81
	s_add_i32 s14, s14, 4
	v_cmp_eq_u32_e32 vcc, 0, v81
	v_add_u32_e32 v80, 4, v80
	s_or_b64 s[6:7], vcc, s[6:7]
	s_waitcnt vmcnt(0) lgkmcnt(0)
	v_fmac_f32_e32 v79, v82, v83
	s_andn2_b64 exec, exec, s[6:7]
	s_cbranch_execnz .LBB35_283
; %bb.284:
	s_or_b64 exec, exec, s[6:7]
.LBB35_285:
	s_or_b64 exec, exec, s[12:13]
	v_mov_b32_e32 v80, 0
	ds_read_b32 v80, v80 offset:24
	s_waitcnt lgkmcnt(0)
	v_mul_f32_e32 v79, v79, v80
	buffer_store_dword v79, off, s[0:3], 0 offset:24
.LBB35_286:
	s_or_b64 exec, exec, s[10:11]
	buffer_load_dword v79, off, s[0:3], 0 offset:20
	v_cmp_lt_u32_e64 s[6:7], 5, v0
	s_waitcnt vmcnt(0)
	ds_write_b32 v74, v79
	s_waitcnt lgkmcnt(0)
	; wave barrier
	s_waitcnt lgkmcnt(0)
	s_and_saveexec_b64 s[10:11], s[6:7]
	s_cbranch_execz .LBB35_296
; %bb.287:
	s_andn2_b64 vcc, exec, s[8:9]
	s_cbranch_vccnz .LBB35_289
; %bb.288:
	buffer_load_dword v79, v75, s[0:3], 0 offen
	ds_read_b32 v80, v74
	s_waitcnt vmcnt(0) lgkmcnt(0)
	v_mul_f32_e32 v79, v79, v80
	s_cbranch_execz .LBB35_290
	s_branch .LBB35_291
.LBB35_289:
                                        ; implicit-def: $vgpr79
.LBB35_290:
	ds_read_b32 v79, v74
.LBB35_291:
	s_and_saveexec_b64 s[12:13], s[4:5]
	s_cbranch_execz .LBB35_295
; %bb.292:
	v_add_u32_e32 v80, -6, v0
	s_movk_i32 s14, 0xa8
	s_mov_b64 s[4:5], 0
.LBB35_293:                             ; =>This Inner Loop Header: Depth=1
	buffer_load_dword v81, v78, s[0:3], 0 offen
	v_mov_b32_e32 v82, s14
	ds_read_b32 v82, v82
	v_add_u32_e32 v80, -1, v80
	s_add_i32 s14, s14, 4
	v_cmp_eq_u32_e32 vcc, 0, v80
	v_add_u32_e32 v78, 4, v78
	s_or_b64 s[4:5], vcc, s[4:5]
	s_waitcnt vmcnt(0) lgkmcnt(0)
	v_fmac_f32_e32 v79, v81, v82
	s_andn2_b64 exec, exec, s[4:5]
	s_cbranch_execnz .LBB35_293
; %bb.294:
	s_or_b64 exec, exec, s[4:5]
.LBB35_295:
	s_or_b64 exec, exec, s[12:13]
	v_mov_b32_e32 v78, 0
	ds_read_b32 v78, v78 offset:20
	s_waitcnt lgkmcnt(0)
	v_mul_f32_e32 v78, v79, v78
	buffer_store_dword v78, off, s[0:3], 0 offset:20
.LBB35_296:
	s_or_b64 exec, exec, s[10:11]
	buffer_load_dword v78, off, s[0:3], 0 offset:16
	v_cmp_lt_u32_e64 s[4:5], 4, v0
	s_waitcnt vmcnt(0)
	ds_write_b32 v74, v78
	s_waitcnt lgkmcnt(0)
	; wave barrier
	s_waitcnt lgkmcnt(0)
	s_and_saveexec_b64 s[10:11], s[4:5]
	s_cbranch_execz .LBB35_306
; %bb.297:
	s_andn2_b64 vcc, exec, s[8:9]
	s_cbranch_vccnz .LBB35_299
; %bb.298:
	buffer_load_dword v78, v75, s[0:3], 0 offen
	ds_read_b32 v79, v74
	s_waitcnt vmcnt(0) lgkmcnt(0)
	v_mul_f32_e32 v78, v78, v79
	s_cbranch_execz .LBB35_300
	s_branch .LBB35_301
.LBB35_299:
                                        ; implicit-def: $vgpr78
.LBB35_300:
	ds_read_b32 v78, v74
.LBB35_301:
	s_and_saveexec_b64 s[12:13], s[6:7]
	s_cbranch_execz .LBB35_305
; %bb.302:
	v_mov_b32_e32 v79, 0
	v_add_u32_e32 v79, 20, v79
	v_add_u32_e32 v80, -5, v0
	s_movk_i32 s14, 0xa4
	s_mov_b64 s[6:7], 0
.LBB35_303:                             ; =>This Inner Loop Header: Depth=1
	buffer_load_dword v81, v79, s[0:3], 0 offen
	v_mov_b32_e32 v82, s14
	ds_read_b32 v82, v82
	v_add_u32_e32 v80, -1, v80
	s_add_i32 s14, s14, 4
	v_cmp_eq_u32_e32 vcc, 0, v80
	v_add_u32_e32 v79, 4, v79
	s_or_b64 s[6:7], vcc, s[6:7]
	s_waitcnt vmcnt(0) lgkmcnt(0)
	v_fmac_f32_e32 v78, v81, v82
	s_andn2_b64 exec, exec, s[6:7]
	s_cbranch_execnz .LBB35_303
; %bb.304:
	s_or_b64 exec, exec, s[6:7]
.LBB35_305:
	s_or_b64 exec, exec, s[12:13]
	v_mov_b32_e32 v79, 0
	ds_read_b32 v79, v79 offset:16
	s_waitcnt lgkmcnt(0)
	v_mul_f32_e32 v78, v78, v79
	buffer_store_dword v78, off, s[0:3], 0 offset:16
.LBB35_306:
	s_or_b64 exec, exec, s[10:11]
	buffer_load_dword v78, off, s[0:3], 0 offset:12
	v_cmp_lt_u32_e64 s[6:7], 3, v0
	s_waitcnt vmcnt(0)
	ds_write_b32 v74, v78
	s_waitcnt lgkmcnt(0)
	; wave barrier
	s_waitcnt lgkmcnt(0)
	s_and_saveexec_b64 s[10:11], s[6:7]
	s_cbranch_execz .LBB35_316
; %bb.307:
	s_andn2_b64 vcc, exec, s[8:9]
	s_cbranch_vccnz .LBB35_309
; %bb.308:
	buffer_load_dword v78, v75, s[0:3], 0 offen
	ds_read_b32 v79, v74
	s_waitcnt vmcnt(0) lgkmcnt(0)
	v_mul_f32_e32 v78, v78, v79
	s_cbranch_execz .LBB35_310
	s_branch .LBB35_311
.LBB35_309:
                                        ; implicit-def: $vgpr78
.LBB35_310:
	ds_read_b32 v78, v74
.LBB35_311:
	s_and_saveexec_b64 s[12:13], s[4:5]
	s_cbranch_execz .LBB35_315
; %bb.312:
	v_add_u32_e32 v79, -4, v0
	s_movk_i32 s14, 0xa0
	s_mov_b64 s[4:5], 0
.LBB35_313:                             ; =>This Inner Loop Header: Depth=1
	buffer_load_dword v80, v77, s[0:3], 0 offen
	v_mov_b32_e32 v81, s14
	ds_read_b32 v81, v81
	v_add_u32_e32 v79, -1, v79
	s_add_i32 s14, s14, 4
	v_cmp_eq_u32_e32 vcc, 0, v79
	v_add_u32_e32 v77, 4, v77
	s_or_b64 s[4:5], vcc, s[4:5]
	s_waitcnt vmcnt(0) lgkmcnt(0)
	v_fmac_f32_e32 v78, v80, v81
	s_andn2_b64 exec, exec, s[4:5]
	s_cbranch_execnz .LBB35_313
; %bb.314:
	s_or_b64 exec, exec, s[4:5]
.LBB35_315:
	s_or_b64 exec, exec, s[12:13]
	v_mov_b32_e32 v77, 0
	ds_read_b32 v77, v77 offset:12
	s_waitcnt lgkmcnt(0)
	v_mul_f32_e32 v77, v78, v77
	buffer_store_dword v77, off, s[0:3], 0 offset:12
.LBB35_316:
	s_or_b64 exec, exec, s[10:11]
	buffer_load_dword v77, off, s[0:3], 0 offset:8
	v_cmp_lt_u32_e64 s[4:5], 2, v0
	s_waitcnt vmcnt(0)
	ds_write_b32 v74, v77
	s_waitcnt lgkmcnt(0)
	; wave barrier
	s_waitcnt lgkmcnt(0)
	s_and_saveexec_b64 s[10:11], s[4:5]
	s_cbranch_execz .LBB35_326
; %bb.317:
	s_andn2_b64 vcc, exec, s[8:9]
	s_cbranch_vccnz .LBB35_319
; %bb.318:
	buffer_load_dword v77, v75, s[0:3], 0 offen
	ds_read_b32 v78, v74
	s_waitcnt vmcnt(0) lgkmcnt(0)
	v_mul_f32_e32 v77, v77, v78
	s_cbranch_execz .LBB35_320
	s_branch .LBB35_321
.LBB35_319:
                                        ; implicit-def: $vgpr77
.LBB35_320:
	ds_read_b32 v77, v74
.LBB35_321:
	s_and_saveexec_b64 s[12:13], s[6:7]
	s_cbranch_execz .LBB35_325
; %bb.322:
	v_mov_b32_e32 v78, 0
	v_or_b32_e32 v78, 12, v78
	v_add_u32_e32 v79, -3, v0
	s_movk_i32 s14, 0x9c
	s_mov_b64 s[6:7], 0
.LBB35_323:                             ; =>This Inner Loop Header: Depth=1
	buffer_load_dword v80, v78, s[0:3], 0 offen
	v_mov_b32_e32 v81, s14
	ds_read_b32 v81, v81
	v_add_u32_e32 v79, -1, v79
	s_add_i32 s14, s14, 4
	v_cmp_eq_u32_e32 vcc, 0, v79
	v_add_u32_e32 v78, 4, v78
	s_or_b64 s[6:7], vcc, s[6:7]
	s_waitcnt vmcnt(0) lgkmcnt(0)
	v_fmac_f32_e32 v77, v80, v81
	s_andn2_b64 exec, exec, s[6:7]
	s_cbranch_execnz .LBB35_323
; %bb.324:
	s_or_b64 exec, exec, s[6:7]
.LBB35_325:
	s_or_b64 exec, exec, s[12:13]
	v_mov_b32_e32 v78, 0
	ds_read_b32 v78, v78 offset:8
	s_waitcnt lgkmcnt(0)
	v_mul_f32_e32 v77, v77, v78
	buffer_store_dword v77, off, s[0:3], 0 offset:8
.LBB35_326:
	s_or_b64 exec, exec, s[10:11]
	buffer_load_dword v77, off, s[0:3], 0 offset:4
	v_cmp_lt_u32_e64 s[6:7], 1, v0
	s_waitcnt vmcnt(0)
	ds_write_b32 v74, v77
	s_waitcnt lgkmcnt(0)
	; wave barrier
	s_waitcnt lgkmcnt(0)
	s_and_saveexec_b64 s[10:11], s[6:7]
	s_cbranch_execz .LBB35_336
; %bb.327:
	s_andn2_b64 vcc, exec, s[8:9]
	s_cbranch_vccnz .LBB35_329
; %bb.328:
	buffer_load_dword v77, v75, s[0:3], 0 offen
	ds_read_b32 v78, v74
	s_waitcnt vmcnt(0) lgkmcnt(0)
	v_mul_f32_e32 v77, v77, v78
	s_cbranch_execz .LBB35_330
	s_branch .LBB35_331
.LBB35_329:
                                        ; implicit-def: $vgpr77
.LBB35_330:
	ds_read_b32 v77, v74
.LBB35_331:
	s_and_saveexec_b64 s[12:13], s[4:5]
	s_cbranch_execz .LBB35_335
; %bb.332:
	v_add_u32_e32 v78, -2, v0
	s_movk_i32 s14, 0x98
	s_mov_b64 s[4:5], 0
.LBB35_333:                             ; =>This Inner Loop Header: Depth=1
	buffer_load_dword v79, v76, s[0:3], 0 offen
	v_mov_b32_e32 v80, s14
	ds_read_b32 v80, v80
	v_add_u32_e32 v78, -1, v78
	s_add_i32 s14, s14, 4
	v_cmp_eq_u32_e32 vcc, 0, v78
	v_add_u32_e32 v76, 4, v76
	s_or_b64 s[4:5], vcc, s[4:5]
	s_waitcnt vmcnt(0) lgkmcnt(0)
	v_fmac_f32_e32 v77, v79, v80
	s_andn2_b64 exec, exec, s[4:5]
	s_cbranch_execnz .LBB35_333
; %bb.334:
	s_or_b64 exec, exec, s[4:5]
.LBB35_335:
	s_or_b64 exec, exec, s[12:13]
	v_mov_b32_e32 v76, 0
	ds_read_b32 v76, v76 offset:4
	s_waitcnt lgkmcnt(0)
	v_mul_f32_e32 v76, v77, v76
	buffer_store_dword v76, off, s[0:3], 0 offset:4
.LBB35_336:
	s_or_b64 exec, exec, s[10:11]
	buffer_load_dword v76, off, s[0:3], 0
	v_cmp_ne_u32_e32 vcc, 0, v0
	s_waitcnt vmcnt(0)
	ds_write_b32 v74, v76
	s_waitcnt lgkmcnt(0)
	; wave barrier
	s_waitcnt lgkmcnt(0)
	s_and_saveexec_b64 s[4:5], vcc
	s_cbranch_execz .LBB35_346
; %bb.337:
	s_andn2_b64 vcc, exec, s[8:9]
	s_cbranch_vccnz .LBB35_339
; %bb.338:
	buffer_load_dword v76, v75, s[0:3], 0 offen
	ds_read_b32 v77, v74
	s_waitcnt vmcnt(0) lgkmcnt(0)
	v_mul_f32_e32 v76, v76, v77
	s_cbranch_execz .LBB35_340
	s_branch .LBB35_341
.LBB35_339:
                                        ; implicit-def: $vgpr76
.LBB35_340:
	ds_read_b32 v76, v74
.LBB35_341:
	s_and_saveexec_b64 s[10:11], s[6:7]
	s_cbranch_execz .LBB35_345
; %bb.342:
	v_mov_b32_e32 v77, 0
	v_or_b32_e32 v77, 4, v77
	v_add_u32_e32 v78, -1, v0
	s_movk_i32 s12, 0x94
	s_mov_b64 s[6:7], 0
.LBB35_343:                             ; =>This Inner Loop Header: Depth=1
	buffer_load_dword v79, v77, s[0:3], 0 offen
	v_mov_b32_e32 v80, s12
	ds_read_b32 v80, v80
	v_add_u32_e32 v78, -1, v78
	s_add_i32 s12, s12, 4
	v_cmp_eq_u32_e32 vcc, 0, v78
	v_add_u32_e32 v77, 4, v77
	s_or_b64 s[6:7], vcc, s[6:7]
	s_waitcnt vmcnt(0) lgkmcnt(0)
	v_fmac_f32_e32 v76, v79, v80
	s_andn2_b64 exec, exec, s[6:7]
	s_cbranch_execnz .LBB35_343
; %bb.344:
	s_or_b64 exec, exec, s[6:7]
.LBB35_345:
	s_or_b64 exec, exec, s[10:11]
	v_mov_b32_e32 v77, 0
	ds_read_b32 v77, v77
	s_waitcnt lgkmcnt(0)
	v_mul_f32_e32 v76, v76, v77
	buffer_store_dword v76, off, s[0:3], 0
.LBB35_346:
	s_or_b64 exec, exec, s[4:5]
	s_mov_b64 s[4:5], 0
.LBB35_347:
	s_and_b64 vcc, exec, s[4:5]
	s_cbranch_vccz .LBB35_691
; %bb.348:
	buffer_load_dword v76, off, s[0:3], 0 offset:4
	v_cmp_eq_u32_e64 s[6:7], 0, v0
	s_waitcnt vmcnt(0)
	ds_write_b32 v74, v76
	s_waitcnt lgkmcnt(0)
	; wave barrier
	s_waitcnt lgkmcnt(0)
	s_and_saveexec_b64 s[4:5], s[6:7]
	s_cbranch_execz .LBB35_354
; %bb.349:
	s_and_b64 vcc, exec, s[8:9]
	s_cbranch_vccz .LBB35_351
; %bb.350:
	buffer_load_dword v76, v75, s[0:3], 0 offen
	ds_read_b32 v77, v74
	s_waitcnt vmcnt(0) lgkmcnt(0)
	v_mul_f32_e32 v76, v76, v77
	s_cbranch_execz .LBB35_352
	s_branch .LBB35_353
.LBB35_351:
                                        ; implicit-def: $vgpr76
.LBB35_352:
	ds_read_b32 v76, v74
.LBB35_353:
	v_mov_b32_e32 v77, 0
	ds_read_b32 v77, v77 offset:4
	s_waitcnt lgkmcnt(0)
	v_mul_f32_e32 v76, v76, v77
	buffer_store_dword v76, off, s[0:3], 0 offset:4
.LBB35_354:
	s_or_b64 exec, exec, s[4:5]
	buffer_load_dword v76, off, s[0:3], 0 offset:8
	v_cndmask_b32_e64 v77, 0, 1, s[8:9]
	v_cmp_gt_u32_e32 vcc, 2, v0
	v_cmp_ne_u32_e64 s[4:5], 1, v77
	s_waitcnt vmcnt(0)
	ds_write_b32 v74, v76
	s_waitcnt lgkmcnt(0)
	; wave barrier
	s_waitcnt lgkmcnt(0)
	s_and_saveexec_b64 s[8:9], vcc
	s_cbranch_execz .LBB35_362
; %bb.355:
	s_and_b64 vcc, exec, s[4:5]
	s_cbranch_vccnz .LBB35_357
; %bb.356:
	buffer_load_dword v76, v75, s[0:3], 0 offen
	ds_read_b32 v77, v74
	s_waitcnt vmcnt(0) lgkmcnt(0)
	v_mul_f32_e32 v76, v76, v77
	s_cbranch_execz .LBB35_358
	s_branch .LBB35_359
.LBB35_357:
                                        ; implicit-def: $vgpr76
.LBB35_358:
	ds_read_b32 v76, v74
.LBB35_359:
	s_and_saveexec_b64 s[10:11], s[6:7]
	s_cbranch_execz .LBB35_361
; %bb.360:
	buffer_load_dword v77, v75, s[0:3], 0 offen offset:4
	ds_read_b32 v78, v74 offset:4
	s_waitcnt vmcnt(0) lgkmcnt(0)
	v_fmac_f32_e32 v76, v77, v78
.LBB35_361:
	s_or_b64 exec, exec, s[10:11]
	v_mov_b32_e32 v77, 0
	ds_read_b32 v77, v77 offset:8
	s_waitcnt lgkmcnt(0)
	v_mul_f32_e32 v76, v76, v77
	buffer_store_dword v76, off, s[0:3], 0 offset:8
.LBB35_362:
	s_or_b64 exec, exec, s[8:9]
	buffer_load_dword v76, off, s[0:3], 0 offset:12
	v_cmp_gt_u32_e32 vcc, 3, v0
	s_waitcnt vmcnt(0)
	ds_write_b32 v74, v76
	s_waitcnt lgkmcnt(0)
	; wave barrier
	s_waitcnt lgkmcnt(0)
	s_and_saveexec_b64 s[8:9], vcc
	s_cbranch_execz .LBB35_370
; %bb.363:
	s_and_b64 vcc, exec, s[4:5]
	s_cbranch_vccnz .LBB35_365
; %bb.364:
	buffer_load_dword v76, v75, s[0:3], 0 offen
	ds_read_b32 v77, v74
	s_waitcnt vmcnt(0) lgkmcnt(0)
	v_mul_f32_e32 v76, v76, v77
	s_cbranch_execz .LBB35_366
	s_branch .LBB35_367
.LBB35_365:
                                        ; implicit-def: $vgpr76
.LBB35_366:
	ds_read_b32 v76, v74
.LBB35_367:
	v_cmp_ne_u32_e32 vcc, 2, v0
	s_and_saveexec_b64 s[10:11], vcc
	s_cbranch_execz .LBB35_369
; %bb.368:
	buffer_load_dword v77, v75, s[0:3], 0 offen offset:4
	buffer_load_dword v78, off, s[0:3], 0 offset:8
	v_mov_b32_e32 v79, 0
	ds_read_b32 v80, v74 offset:4
	ds_read_b32 v79, v79 offset:152
	s_waitcnt vmcnt(1) lgkmcnt(1)
	v_fmac_f32_e32 v76, v77, v80
	s_waitcnt vmcnt(0) lgkmcnt(0)
	v_fma_f32 v77, v78, v79, v76
	v_cndmask_b32_e64 v76, v76, v77, s[6:7]
.LBB35_369:
	s_or_b64 exec, exec, s[10:11]
	v_mov_b32_e32 v77, 0
	ds_read_b32 v77, v77 offset:12
	s_waitcnt lgkmcnt(0)
	v_mul_f32_e32 v76, v76, v77
	buffer_store_dword v76, off, s[0:3], 0 offset:12
.LBB35_370:
	s_or_b64 exec, exec, s[8:9]
	buffer_load_dword v76, off, s[0:3], 0 offset:16
	v_cmp_gt_u32_e32 vcc, 4, v0
	s_waitcnt vmcnt(0)
	ds_write_b32 v74, v76
	s_waitcnt lgkmcnt(0)
	; wave barrier
	s_waitcnt lgkmcnt(0)
	s_and_saveexec_b64 s[6:7], vcc
	s_cbranch_execz .LBB35_380
; %bb.371:
	s_and_b64 vcc, exec, s[4:5]
	s_cbranch_vccnz .LBB35_373
; %bb.372:
	buffer_load_dword v76, v75, s[0:3], 0 offen
	ds_read_b32 v77, v74
	s_waitcnt vmcnt(0) lgkmcnt(0)
	v_mul_f32_e32 v76, v76, v77
	s_cbranch_execz .LBB35_374
	s_branch .LBB35_375
.LBB35_373:
                                        ; implicit-def: $vgpr76
.LBB35_374:
	ds_read_b32 v76, v74
.LBB35_375:
	v_cmp_ne_u32_e32 vcc, 3, v0
	s_and_saveexec_b64 s[8:9], vcc
	s_cbranch_execz .LBB35_379
; %bb.376:
	v_mov_b32_e32 v78, 0
	v_add_u32_e32 v77, 0x94, v1
	v_add3_u32 v78, v1, v78, 4
	s_mov_b64 s[10:11], 0
	v_mov_b32_e32 v79, v0
.LBB35_377:                             ; =>This Inner Loop Header: Depth=1
	buffer_load_dword v80, v78, s[0:3], 0 offen
	ds_read_b32 v81, v77
	v_add_u32_e32 v79, 1, v79
	v_cmp_lt_u32_e32 vcc, 2, v79
	v_add_u32_e32 v77, 4, v77
	v_add_u32_e32 v78, 4, v78
	s_or_b64 s[10:11], vcc, s[10:11]
	s_waitcnt vmcnt(0) lgkmcnt(0)
	v_fmac_f32_e32 v76, v80, v81
	s_andn2_b64 exec, exec, s[10:11]
	s_cbranch_execnz .LBB35_377
; %bb.378:
	s_or_b64 exec, exec, s[10:11]
.LBB35_379:
	s_or_b64 exec, exec, s[8:9]
	v_mov_b32_e32 v77, 0
	ds_read_b32 v77, v77 offset:16
	s_waitcnt lgkmcnt(0)
	v_mul_f32_e32 v76, v76, v77
	buffer_store_dword v76, off, s[0:3], 0 offset:16
.LBB35_380:
	s_or_b64 exec, exec, s[6:7]
	buffer_load_dword v76, off, s[0:3], 0 offset:20
	v_cmp_gt_u32_e32 vcc, 5, v0
	s_waitcnt vmcnt(0)
	ds_write_b32 v74, v76
	s_waitcnt lgkmcnt(0)
	; wave barrier
	s_waitcnt lgkmcnt(0)
	s_and_saveexec_b64 s[6:7], vcc
	s_cbranch_execz .LBB35_390
; %bb.381:
	s_and_b64 vcc, exec, s[4:5]
	s_cbranch_vccnz .LBB35_383
; %bb.382:
	buffer_load_dword v76, v75, s[0:3], 0 offen
	ds_read_b32 v77, v74
	s_waitcnt vmcnt(0) lgkmcnt(0)
	v_mul_f32_e32 v76, v76, v77
	s_cbranch_execz .LBB35_384
	s_branch .LBB35_385
.LBB35_383:
                                        ; implicit-def: $vgpr76
.LBB35_384:
	ds_read_b32 v76, v74
.LBB35_385:
	v_cmp_ne_u32_e32 vcc, 4, v0
	s_and_saveexec_b64 s[8:9], vcc
	s_cbranch_execz .LBB35_389
; %bb.386:
	v_mov_b32_e32 v78, 0
	v_add_u32_e32 v77, 0x94, v1
	v_add3_u32 v78, v1, v78, 4
	s_mov_b64 s[10:11], 0
	v_mov_b32_e32 v79, v0
.LBB35_387:                             ; =>This Inner Loop Header: Depth=1
	buffer_load_dword v80, v78, s[0:3], 0 offen
	ds_read_b32 v81, v77
	v_add_u32_e32 v79, 1, v79
	v_cmp_lt_u32_e32 vcc, 3, v79
	v_add_u32_e32 v77, 4, v77
	v_add_u32_e32 v78, 4, v78
	s_or_b64 s[10:11], vcc, s[10:11]
	s_waitcnt vmcnt(0) lgkmcnt(0)
	v_fmac_f32_e32 v76, v80, v81
	s_andn2_b64 exec, exec, s[10:11]
	s_cbranch_execnz .LBB35_387
; %bb.388:
	s_or_b64 exec, exec, s[10:11]
.LBB35_389:
	s_or_b64 exec, exec, s[8:9]
	v_mov_b32_e32 v77, 0
	ds_read_b32 v77, v77 offset:20
	s_waitcnt lgkmcnt(0)
	v_mul_f32_e32 v76, v76, v77
	buffer_store_dword v76, off, s[0:3], 0 offset:20
.LBB35_390:
	;; [unrolled: 56-line block ×30, first 2 shown]
	s_or_b64 exec, exec, s[6:7]
	buffer_load_dword v76, off, s[0:3], 0 offset:136
	v_cmp_gt_u32_e64 s[6:7], 34, v0
	s_waitcnt vmcnt(0)
	ds_write_b32 v74, v76
	s_waitcnt lgkmcnt(0)
	; wave barrier
	s_waitcnt lgkmcnt(0)
	s_and_saveexec_b64 s[8:9], s[6:7]
	s_cbranch_execz .LBB35_680
; %bb.671:
	s_and_b64 vcc, exec, s[4:5]
	s_cbranch_vccnz .LBB35_673
; %bb.672:
	buffer_load_dword v76, v75, s[0:3], 0 offen
	ds_read_b32 v77, v74
	s_waitcnt vmcnt(0) lgkmcnt(0)
	v_mul_f32_e32 v76, v76, v77
	s_cbranch_execz .LBB35_674
	s_branch .LBB35_675
.LBB35_673:
                                        ; implicit-def: $vgpr76
.LBB35_674:
	ds_read_b32 v76, v74
.LBB35_675:
	v_cmp_ne_u32_e32 vcc, 33, v0
	s_and_saveexec_b64 s[10:11], vcc
	s_cbranch_execz .LBB35_679
; %bb.676:
	v_mov_b32_e32 v78, 0
	v_add_u32_e32 v77, 0x94, v1
	v_add3_u32 v78, v1, v78, 4
	s_mov_b64 s[12:13], 0
	v_mov_b32_e32 v79, v0
.LBB35_677:                             ; =>This Inner Loop Header: Depth=1
	buffer_load_dword v80, v78, s[0:3], 0 offen
	ds_read_b32 v81, v77
	v_add_u32_e32 v79, 1, v79
	v_cmp_lt_u32_e32 vcc, 32, v79
	v_add_u32_e32 v77, 4, v77
	v_add_u32_e32 v78, 4, v78
	s_or_b64 s[12:13], vcc, s[12:13]
	s_waitcnt vmcnt(0) lgkmcnt(0)
	v_fmac_f32_e32 v76, v80, v81
	s_andn2_b64 exec, exec, s[12:13]
	s_cbranch_execnz .LBB35_677
; %bb.678:
	s_or_b64 exec, exec, s[12:13]
.LBB35_679:
	s_or_b64 exec, exec, s[10:11]
	v_mov_b32_e32 v77, 0
	ds_read_b32 v77, v77 offset:136
	s_waitcnt lgkmcnt(0)
	v_mul_f32_e32 v76, v76, v77
	buffer_store_dword v76, off, s[0:3], 0 offset:136
.LBB35_680:
	s_or_b64 exec, exec, s[8:9]
	buffer_load_dword v76, off, s[0:3], 0 offset:140
	v_cmp_ne_u32_e32 vcc, 35, v0
	s_waitcnt vmcnt(0)
	ds_write_b32 v74, v76
	s_waitcnt lgkmcnt(0)
	; wave barrier
	s_waitcnt lgkmcnt(0)
	s_and_saveexec_b64 s[8:9], vcc
	s_cbranch_execz .LBB35_690
; %bb.681:
	s_and_b64 vcc, exec, s[4:5]
	s_cbranch_vccnz .LBB35_683
; %bb.682:
	buffer_load_dword v75, v75, s[0:3], 0 offen
	ds_read_b32 v76, v74
	s_waitcnt vmcnt(0) lgkmcnt(0)
	v_mul_f32_e32 v75, v75, v76
	s_cbranch_execz .LBB35_684
	s_branch .LBB35_685
.LBB35_683:
                                        ; implicit-def: $vgpr75
.LBB35_684:
	ds_read_b32 v75, v74
.LBB35_685:
	s_and_saveexec_b64 s[4:5], s[6:7]
	s_cbranch_execz .LBB35_689
; %bb.686:
	v_mov_b32_e32 v76, 0
	v_add_u32_e32 v74, 0x94, v1
	v_add3_u32 v1, v1, v76, 4
	s_mov_b64 s[6:7], 0
.LBB35_687:                             ; =>This Inner Loop Header: Depth=1
	buffer_load_dword v76, v1, s[0:3], 0 offen
	ds_read_b32 v77, v74
	v_add_u32_e32 v0, 1, v0
	v_cmp_lt_u32_e32 vcc, 33, v0
	v_add_u32_e32 v74, 4, v74
	v_add_u32_e32 v1, 4, v1
	s_or_b64 s[6:7], vcc, s[6:7]
	s_waitcnt vmcnt(0) lgkmcnt(0)
	v_fmac_f32_e32 v75, v76, v77
	s_andn2_b64 exec, exec, s[6:7]
	s_cbranch_execnz .LBB35_687
; %bb.688:
	s_or_b64 exec, exec, s[6:7]
.LBB35_689:
	s_or_b64 exec, exec, s[4:5]
	v_mov_b32_e32 v0, 0
	ds_read_b32 v0, v0 offset:140
	s_waitcnt lgkmcnt(0)
	v_mul_f32_e32 v0, v75, v0
	buffer_store_dword v0, off, s[0:3], 0 offset:140
.LBB35_690:
	s_or_b64 exec, exec, s[8:9]
.LBB35_691:
	buffer_load_dword v0, off, s[0:3], 0
	buffer_load_dword v1, off, s[0:3], 0 offset:4
	buffer_load_dword v74, off, s[0:3], 0 offset:8
	;; [unrolled: 1-line block ×35, first 2 shown]
	s_waitcnt vmcnt(35)
	global_store_dword v[2:3], v0, off
	s_waitcnt vmcnt(35)
	global_store_dword v[4:5], v1, off
	;; [unrolled: 2-line block ×36, first 2 shown]
.LBB35_692:
	s_endpgm
	.section	.rodata,"a",@progbits
	.p2align	6, 0x0
	.amdhsa_kernel _ZN9rocsolver6v33100L18trti2_kernel_smallILi36EfPfEEv13rocblas_fill_17rocblas_diagonal_T1_iil
		.amdhsa_group_segment_fixed_size 288
		.amdhsa_private_segment_fixed_size 160
		.amdhsa_kernarg_size 32
		.amdhsa_user_sgpr_count 8
		.amdhsa_user_sgpr_private_segment_buffer 1
		.amdhsa_user_sgpr_dispatch_ptr 0
		.amdhsa_user_sgpr_queue_ptr 0
		.amdhsa_user_sgpr_kernarg_segment_ptr 1
		.amdhsa_user_sgpr_dispatch_id 0
		.amdhsa_user_sgpr_flat_scratch_init 1
		.amdhsa_user_sgpr_kernarg_preload_length 0
		.amdhsa_user_sgpr_kernarg_preload_offset 0
		.amdhsa_user_sgpr_private_segment_size 0
		.amdhsa_uses_dynamic_stack 0
		.amdhsa_system_sgpr_private_segment_wavefront_offset 1
		.amdhsa_system_sgpr_workgroup_id_x 1
		.amdhsa_system_sgpr_workgroup_id_y 0
		.amdhsa_system_sgpr_workgroup_id_z 0
		.amdhsa_system_sgpr_workgroup_info 0
		.amdhsa_system_vgpr_workitem_id 0
		.amdhsa_next_free_vgpr 111
		.amdhsa_next_free_sgpr 20
		.amdhsa_accum_offset 112
		.amdhsa_reserve_vcc 1
		.amdhsa_reserve_flat_scratch 0
		.amdhsa_float_round_mode_32 0
		.amdhsa_float_round_mode_16_64 0
		.amdhsa_float_denorm_mode_32 3
		.amdhsa_float_denorm_mode_16_64 3
		.amdhsa_dx10_clamp 1
		.amdhsa_ieee_mode 1
		.amdhsa_fp16_overflow 0
		.amdhsa_tg_split 0
		.amdhsa_exception_fp_ieee_invalid_op 0
		.amdhsa_exception_fp_denorm_src 0
		.amdhsa_exception_fp_ieee_div_zero 0
		.amdhsa_exception_fp_ieee_overflow 0
		.amdhsa_exception_fp_ieee_underflow 0
		.amdhsa_exception_fp_ieee_inexact 0
		.amdhsa_exception_int_div_zero 0
	.end_amdhsa_kernel
	.section	.text._ZN9rocsolver6v33100L18trti2_kernel_smallILi36EfPfEEv13rocblas_fill_17rocblas_diagonal_T1_iil,"axG",@progbits,_ZN9rocsolver6v33100L18trti2_kernel_smallILi36EfPfEEv13rocblas_fill_17rocblas_diagonal_T1_iil,comdat
.Lfunc_end35:
	.size	_ZN9rocsolver6v33100L18trti2_kernel_smallILi36EfPfEEv13rocblas_fill_17rocblas_diagonal_T1_iil, .Lfunc_end35-_ZN9rocsolver6v33100L18trti2_kernel_smallILi36EfPfEEv13rocblas_fill_17rocblas_diagonal_T1_iil
                                        ; -- End function
	.section	.AMDGPU.csdata,"",@progbits
; Kernel info:
; codeLenInByte = 17604
; NumSgprs: 24
; NumVgprs: 111
; NumAgprs: 0
; TotalNumVgprs: 111
; ScratchSize: 160
; MemoryBound: 0
; FloatMode: 240
; IeeeMode: 1
; LDSByteSize: 288 bytes/workgroup (compile time only)
; SGPRBlocks: 2
; VGPRBlocks: 13
; NumSGPRsForWavesPerEU: 24
; NumVGPRsForWavesPerEU: 111
; AccumOffset: 112
; Occupancy: 4
; WaveLimiterHint : 0
; COMPUTE_PGM_RSRC2:SCRATCH_EN: 1
; COMPUTE_PGM_RSRC2:USER_SGPR: 8
; COMPUTE_PGM_RSRC2:TRAP_HANDLER: 0
; COMPUTE_PGM_RSRC2:TGID_X_EN: 1
; COMPUTE_PGM_RSRC2:TGID_Y_EN: 0
; COMPUTE_PGM_RSRC2:TGID_Z_EN: 0
; COMPUTE_PGM_RSRC2:TIDIG_COMP_CNT: 0
; COMPUTE_PGM_RSRC3_GFX90A:ACCUM_OFFSET: 27
; COMPUTE_PGM_RSRC3_GFX90A:TG_SPLIT: 0
	.section	.text._ZN9rocsolver6v33100L18trti2_kernel_smallILi37EfPfEEv13rocblas_fill_17rocblas_diagonal_T1_iil,"axG",@progbits,_ZN9rocsolver6v33100L18trti2_kernel_smallILi37EfPfEEv13rocblas_fill_17rocblas_diagonal_T1_iil,comdat
	.globl	_ZN9rocsolver6v33100L18trti2_kernel_smallILi37EfPfEEv13rocblas_fill_17rocblas_diagonal_T1_iil ; -- Begin function _ZN9rocsolver6v33100L18trti2_kernel_smallILi37EfPfEEv13rocblas_fill_17rocblas_diagonal_T1_iil
	.p2align	8
	.type	_ZN9rocsolver6v33100L18trti2_kernel_smallILi37EfPfEEv13rocblas_fill_17rocblas_diagonal_T1_iil,@function
_ZN9rocsolver6v33100L18trti2_kernel_smallILi37EfPfEEv13rocblas_fill_17rocblas_diagonal_T1_iil: ; @_ZN9rocsolver6v33100L18trti2_kernel_smallILi37EfPfEEv13rocblas_fill_17rocblas_diagonal_T1_iil
; %bb.0:
	s_add_u32 s0, s0, s9
	s_addc_u32 s1, s1, 0
	v_cmp_gt_u32_e32 vcc, 37, v0
	s_and_saveexec_b64 s[6:7], vcc
	s_cbranch_execz .LBB36_712
; %bb.1:
	s_load_dwordx8 s[12:19], s[4:5], 0x0
	s_ashr_i32 s6, s8, 31
	v_lshlrev_b32_e32 v1, 2, v0
	s_waitcnt lgkmcnt(0)
	s_mul_i32 s7, s8, s19
	s_mul_hi_u32 s9, s8, s18
	s_add_i32 s7, s9, s7
	s_mul_i32 s6, s6, s18
	s_add_i32 s7, s7, s6
	s_mul_i32 s6, s8, s18
	s_ashr_i32 s5, s16, 31
	s_lshl_b64 s[6:7], s[6:7], 2
	s_mov_b32 s4, s16
	s_add_u32 s6, s14, s6
	s_addc_u32 s7, s15, s7
	s_lshl_b64 s[4:5], s[4:5], 2
	s_add_u32 s4, s6, s4
	s_addc_u32 s5, s7, s5
	v_mov_b32_e32 v3, s5
	v_add_co_u32_e32 v2, vcc, s4, v1
	s_ashr_i32 s7, s17, 31
	s_mov_b32 s6, s17
	v_addc_co_u32_e32 v3, vcc, 0, v3, vcc
	s_lshl_b64 s[6:7], s[6:7], 2
	v_add_co_u32_e32 v4, vcc, s6, v2
	s_add_i32 s6, s17, s17
	v_add_u32_e32 v8, s6, v0
	v_mov_b32_e32 v5, s7
	v_ashrrev_i32_e32 v9, 31, v8
	v_addc_co_u32_e32 v5, vcc, v3, v5, vcc
	v_lshlrev_b64 v[6:7], 2, v[8:9]
	v_add_u32_e32 v10, s17, v8
	v_mov_b32_e32 v9, s5
	v_add_co_u32_e32 v6, vcc, s4, v6
	v_ashrrev_i32_e32 v11, 31, v10
	v_addc_co_u32_e32 v7, vcc, v9, v7, vcc
	v_lshlrev_b64 v[8:9], 2, v[10:11]
	v_add_u32_e32 v12, s17, v10
	v_mov_b32_e32 v11, s5
	v_add_co_u32_e32 v8, vcc, s4, v8
	;; [unrolled: 6-line block ×33, first 2 shown]
	v_ashrrev_i32_e32 v75, 31, v74
	v_addc_co_u32_e32 v71, vcc, v73, v71, vcc
	v_lshlrev_b64 v[72:73], 2, v[74:75]
	global_load_dword v76, v1, s[4:5]
	v_mov_b32_e32 v75, s5
	v_add_co_u32_e32 v72, vcc, s4, v72
	global_load_dword v83, v[4:5], off
	global_load_dword v77, v[6:7], off
	global_load_dword v84, v[8:9], off
	global_load_dword v78, v[10:11], off
	global_load_dword v79, v[12:13], off
	global_load_dword v80, v[14:15], off
	global_load_dword v81, v[16:17], off
	global_load_dword v82, v[18:19], off
	global_load_dword v85, v[20:21], off
	global_load_dword v86, v[22:23], off
	global_load_dword v87, v[24:25], off
	global_load_dword v88, v[26:27], off
	global_load_dword v89, v[28:29], off
	global_load_dword v90, v[30:31], off
	global_load_dword v91, v[32:33], off
	global_load_dword v92, v[34:35], off
	global_load_dword v93, v[36:37], off
	global_load_dword v95, v[38:39], off
	global_load_dword v96, v[40:41], off
	global_load_dword v97, v[42:43], off
	global_load_dword v98, v[44:45], off
	global_load_dword v99, v[46:47], off
	global_load_dword v100, v[48:49], off
	global_load_dword v101, v[50:51], off
	global_load_dword v102, v[52:53], off
	global_load_dword v103, v[54:55], off
	global_load_dword v104, v[56:57], off
	global_load_dword v105, v[58:59], off
	global_load_dword v106, v[60:61], off
	global_load_dword v107, v[62:63], off
	global_load_dword v108, v[64:65], off
	global_load_dword v109, v[66:67], off
	v_addc_co_u32_e32 v73, vcc, v75, v73, vcc
	global_load_dword v110, v[68:69], off
	global_load_dword v111, v[70:71], off
	;; [unrolled: 1-line block ×3, first 2 shown]
	v_add_u32_e32 v74, s17, v74
	v_ashrrev_i32_e32 v75, 31, v74
	v_lshlrev_b64 v[74:75], 2, v[74:75]
	v_mov_b32_e32 v94, s5
	v_add_co_u32_e32 v74, vcc, s4, v74
	v_addc_co_u32_e32 v75, vcc, v94, v75, vcc
	global_load_dword v113, v[74:75], off
	s_cmpk_lg_i32 s13, 0x84
	s_waitcnt vmcnt(36)
	buffer_store_dword v76, off, s[0:3], 0
	s_waitcnt vmcnt(36)
	buffer_store_dword v83, off, s[0:3], 0 offset:4
	v_mov_b32_e32 v94, 0
	s_cselect_b64 s[10:11], -1, 0
	s_cmpk_eq_i32 s13, 0x84
	v_mov_b32_e32 v76, -1.0
	s_waitcnt vmcnt(35)
	buffer_store_dword v84, off, s[0:3], 0 offset:12
	buffer_store_dword v77, off, s[0:3], 0 offset:8
	s_waitcnt vmcnt(36)
	buffer_store_dword v78, off, s[0:3], 0 offset:16
	s_waitcnt vmcnt(36)
	;; [unrolled: 2-line block ×7, first 2 shown]
	buffer_store_dword v87, off, s[0:3], 0 offset:44
	buffer_store_dword v86, off, s[0:3], 0 offset:40
	s_waitcnt vmcnt(36)
	buffer_store_dword v88, off, s[0:3], 0 offset:48
	s_waitcnt vmcnt(36)
	buffer_store_dword v89, off, s[0:3], 0 offset:52
	s_waitcnt vmcnt(36)
	buffer_store_dword v90, off, s[0:3], 0 offset:56
	s_waitcnt vmcnt(36)
	buffer_store_dword v91, off, s[0:3], 0 offset:60
	s_waitcnt vmcnt(36)
	buffer_store_dword v92, off, s[0:3], 0 offset:64
	s_waitcnt vmcnt(36)
	buffer_store_dword v93, off, s[0:3], 0 offset:68
	s_waitcnt vmcnt(36)
	buffer_store_dword v95, off, s[0:3], 0 offset:72
	s_waitcnt vmcnt(36)
	buffer_store_dword v96, off, s[0:3], 0 offset:76
	s_waitcnt vmcnt(35)
	buffer_store_dword v98, off, s[0:3], 0 offset:84
	buffer_store_dword v97, off, s[0:3], 0 offset:80
	s_waitcnt vmcnt(35)
	buffer_store_dword v100, off, s[0:3], 0 offset:92
	buffer_store_dword v99, off, s[0:3], 0 offset:88
	s_waitcnt vmcnt(35)
	;; [unrolled: 3-line block ×8, first 2 shown]
	buffer_store_dword v113, off, s[0:3], 0 offset:144
	s_cbranch_scc1 .LBB36_3
; %bb.2:
	v_lshl_add_u32 v76, v0, 2, v94
	buffer_load_dword v77, v76, s[0:3], 0 offen
	s_waitcnt vmcnt(0)
	v_div_scale_f32 v78, s[4:5], v77, v77, 1.0
	v_rcp_f32_e32 v79, v78
	v_div_scale_f32 v80, vcc, 1.0, v77, 1.0
	v_fma_f32 v81, -v78, v79, 1.0
	v_fmac_f32_e32 v79, v81, v79
	v_mul_f32_e32 v81, v80, v79
	v_fma_f32 v82, -v78, v81, v80
	v_fmac_f32_e32 v81, v82, v79
	v_fma_f32 v78, -v78, v81, v80
	v_div_fmas_f32 v78, v78, v79, v81
	v_div_fixup_f32 v77, v78, v77, 1.0
	buffer_store_dword v77, v76, s[0:3], 0 offen
	v_xor_b32_e32 v76, 0x80000000, v77
.LBB36_3:
	ds_write_b32 v1, v76
	s_cmpk_eq_i32 s12, 0x79
	v_add_u32_e32 v76, 0xa0, v1
	v_add_u32_e32 v77, 0, v1
	s_mov_b64 s[4:5], -1
	s_cbranch_scc1 .LBB36_357
; %bb.4:
	buffer_load_dword v78, off, s[0:3], 0 offset:140
	v_cmp_eq_u32_e64 s[4:5], 36, v0
	s_waitcnt vmcnt(0)
	ds_write_b32 v76, v78
	s_waitcnt lgkmcnt(0)
	; wave barrier
	s_waitcnt lgkmcnt(0)
	s_and_saveexec_b64 s[6:7], s[4:5]
	s_cbranch_execz .LBB36_10
; %bb.5:
	s_and_b64 vcc, exec, s[10:11]
	s_cbranch_vccz .LBB36_7
; %bb.6:
	buffer_load_dword v78, v77, s[0:3], 0 offen
	ds_read_b32 v79, v76
	s_waitcnt vmcnt(0) lgkmcnt(0)
	v_mul_f32_e32 v78, v78, v79
	s_cbranch_execz .LBB36_8
	s_branch .LBB36_9
.LBB36_7:
                                        ; implicit-def: $vgpr78
.LBB36_8:
	ds_read_b32 v78, v76
.LBB36_9:
	v_mov_b32_e32 v79, 0
	ds_read_b32 v79, v79 offset:140
	s_waitcnt lgkmcnt(0)
	v_mul_f32_e32 v78, v78, v79
	buffer_store_dword v78, off, s[0:3], 0 offset:140
.LBB36_10:
	s_or_b64 exec, exec, s[6:7]
	buffer_load_dword v95, off, s[0:3], 0 offset:136
	v_or_b32_e32 v78, 8, v94
	v_add_u32_e32 v79, 16, v94
	v_add_u32_e32 v80, 24, v94
	;; [unrolled: 1-line block ×16, first 2 shown]
	v_cmp_lt_u32_e64 s[8:9], 34, v0
	s_waitcnt vmcnt(0)
	ds_write_b32 v76, v95
	s_waitcnt lgkmcnt(0)
	; wave barrier
	s_waitcnt lgkmcnt(0)
	s_and_saveexec_b64 s[6:7], s[8:9]
	s_cbranch_execz .LBB36_16
; %bb.11:
	s_andn2_b64 vcc, exec, s[10:11]
	s_cbranch_vccnz .LBB36_13
; %bb.12:
	buffer_load_dword v95, v77, s[0:3], 0 offen
	ds_read_b32 v96, v76
	s_waitcnt vmcnt(0) lgkmcnt(0)
	v_mul_f32_e32 v95, v95, v96
	s_cbranch_execz .LBB36_14
	s_branch .LBB36_15
.LBB36_13:
                                        ; implicit-def: $vgpr95
.LBB36_14:
	ds_read_b32 v95, v76
.LBB36_15:
	buffer_load_dword v98, off, s[0:3], 0 offset:140
	v_mov_b32_e32 v96, 0
	ds_read2_b32 v[96:97], v96 offset0:34 offset1:75
	s_waitcnt vmcnt(0) lgkmcnt(0)
	v_fma_f32 v97, v98, v97, v95
	v_cndmask_b32_e64 v95, v95, v97, s[4:5]
	v_mul_f32_e32 v95, v95, v96
	buffer_store_dword v95, off, s[0:3], 0 offset:136
.LBB36_16:
	s_or_b64 exec, exec, s[6:7]
	buffer_load_dword v95, off, s[0:3], 0 offset:132
	v_cmp_lt_u32_e64 s[6:7], 33, v0
	s_waitcnt vmcnt(0)
	ds_write_b32 v76, v95
	s_waitcnt lgkmcnt(0)
	; wave barrier
	s_waitcnt lgkmcnt(0)
	s_and_saveexec_b64 s[4:5], s[6:7]
	s_cbranch_execz .LBB36_26
; %bb.17:
	s_andn2_b64 vcc, exec, s[10:11]
	s_cbranch_vccnz .LBB36_19
; %bb.18:
	buffer_load_dword v95, v77, s[0:3], 0 offen
	ds_read_b32 v96, v76
	s_waitcnt vmcnt(0) lgkmcnt(0)
	v_mul_f32_e32 v95, v95, v96
	s_cbranch_execz .LBB36_20
	s_branch .LBB36_21
.LBB36_19:
                                        ; implicit-def: $vgpr95
.LBB36_20:
	ds_read_b32 v95, v76
.LBB36_21:
	s_and_saveexec_b64 s[12:13], s[8:9]
	s_cbranch_execz .LBB36_25
; %bb.22:
	v_subrev_u32_e32 v96, 34, v0
	s_movk_i32 s14, 0x128
	s_mov_b64 s[8:9], 0
.LBB36_23:                              ; =>This Inner Loop Header: Depth=1
	buffer_load_dword v97, v94, s[0:3], 0 offen
	v_mov_b32_e32 v98, s14
	ds_read_b32 v98, v98
	v_add_u32_e32 v96, -1, v96
	s_add_i32 s14, s14, 4
	v_cmp_eq_u32_e32 vcc, 0, v96
	v_add_u32_e32 v94, 4, v94
	s_or_b64 s[8:9], vcc, s[8:9]
	s_waitcnt vmcnt(0) lgkmcnt(0)
	v_fmac_f32_e32 v95, v97, v98
	s_andn2_b64 exec, exec, s[8:9]
	s_cbranch_execnz .LBB36_23
; %bb.24:
	s_or_b64 exec, exec, s[8:9]
.LBB36_25:
	s_or_b64 exec, exec, s[12:13]
	v_mov_b32_e32 v94, 0
	ds_read_b32 v94, v94 offset:132
	s_waitcnt lgkmcnt(0)
	v_mul_f32_e32 v94, v95, v94
	buffer_store_dword v94, off, s[0:3], 0 offset:132
.LBB36_26:
	s_or_b64 exec, exec, s[4:5]
	buffer_load_dword v94, off, s[0:3], 0 offset:128
	v_cmp_lt_u32_e64 s[4:5], 32, v0
	s_waitcnt vmcnt(0)
	ds_write_b32 v76, v94
	s_waitcnt lgkmcnt(0)
	; wave barrier
	s_waitcnt lgkmcnt(0)
	s_and_saveexec_b64 s[8:9], s[4:5]
	s_cbranch_execz .LBB36_36
; %bb.27:
	s_andn2_b64 vcc, exec, s[10:11]
	s_cbranch_vccnz .LBB36_29
; %bb.28:
	buffer_load_dword v94, v77, s[0:3], 0 offen
	ds_read_b32 v95, v76
	s_waitcnt vmcnt(0) lgkmcnt(0)
	v_mul_f32_e32 v94, v94, v95
	s_cbranch_execz .LBB36_30
	s_branch .LBB36_31
.LBB36_29:
                                        ; implicit-def: $vgpr94
.LBB36_30:
	ds_read_b32 v94, v76
.LBB36_31:
	s_and_saveexec_b64 s[12:13], s[6:7]
	s_cbranch_execz .LBB36_35
; %bb.32:
	v_mov_b32_e32 v95, 0
	v_add_u32_e32 v95, 0x84, v95
	v_subrev_u32_e32 v96, 33, v0
	s_movk_i32 s14, 0x124
	s_mov_b64 s[6:7], 0
.LBB36_33:                              ; =>This Inner Loop Header: Depth=1
	buffer_load_dword v97, v95, s[0:3], 0 offen
	v_mov_b32_e32 v98, s14
	ds_read_b32 v98, v98
	v_add_u32_e32 v96, -1, v96
	s_add_i32 s14, s14, 4
	v_cmp_eq_u32_e32 vcc, 0, v96
	v_add_u32_e32 v95, 4, v95
	s_or_b64 s[6:7], vcc, s[6:7]
	s_waitcnt vmcnt(0) lgkmcnt(0)
	v_fmac_f32_e32 v94, v97, v98
	s_andn2_b64 exec, exec, s[6:7]
	s_cbranch_execnz .LBB36_33
; %bb.34:
	s_or_b64 exec, exec, s[6:7]
.LBB36_35:
	s_or_b64 exec, exec, s[12:13]
	v_mov_b32_e32 v95, 0
	ds_read_b32 v95, v95 offset:128
	s_waitcnt lgkmcnt(0)
	v_mul_f32_e32 v94, v94, v95
	buffer_store_dword v94, off, s[0:3], 0 offset:128
.LBB36_36:
	s_or_b64 exec, exec, s[8:9]
	buffer_load_dword v94, off, s[0:3], 0 offset:124
	v_cmp_lt_u32_e64 s[6:7], 31, v0
	s_waitcnt vmcnt(0)
	ds_write_b32 v76, v94
	s_waitcnt lgkmcnt(0)
	; wave barrier
	s_waitcnt lgkmcnt(0)
	s_and_saveexec_b64 s[8:9], s[6:7]
	s_cbranch_execz .LBB36_46
; %bb.37:
	s_andn2_b64 vcc, exec, s[10:11]
	s_cbranch_vccnz .LBB36_39
; %bb.38:
	buffer_load_dword v94, v77, s[0:3], 0 offen
	ds_read_b32 v95, v76
	s_waitcnt vmcnt(0) lgkmcnt(0)
	v_mul_f32_e32 v94, v94, v95
	s_cbranch_execz .LBB36_40
	s_branch .LBB36_41
.LBB36_39:
                                        ; implicit-def: $vgpr94
.LBB36_40:
	ds_read_b32 v94, v76
.LBB36_41:
	s_and_saveexec_b64 s[12:13], s[4:5]
	s_cbranch_execz .LBB36_45
; %bb.42:
	v_subrev_u32_e32 v95, 32, v0
	s_movk_i32 s14, 0x120
	s_mov_b64 s[4:5], 0
.LBB36_43:                              ; =>This Inner Loop Header: Depth=1
	buffer_load_dword v96, v93, s[0:3], 0 offen
	v_mov_b32_e32 v97, s14
	ds_read_b32 v97, v97
	v_add_u32_e32 v95, -1, v95
	s_add_i32 s14, s14, 4
	v_cmp_eq_u32_e32 vcc, 0, v95
	v_add_u32_e32 v93, 4, v93
	s_or_b64 s[4:5], vcc, s[4:5]
	s_waitcnt vmcnt(0) lgkmcnt(0)
	v_fmac_f32_e32 v94, v96, v97
	s_andn2_b64 exec, exec, s[4:5]
	s_cbranch_execnz .LBB36_43
; %bb.44:
	s_or_b64 exec, exec, s[4:5]
.LBB36_45:
	s_or_b64 exec, exec, s[12:13]
	v_mov_b32_e32 v93, 0
	ds_read_b32 v93, v93 offset:124
	s_waitcnt lgkmcnt(0)
	v_mul_f32_e32 v93, v94, v93
	buffer_store_dword v93, off, s[0:3], 0 offset:124
.LBB36_46:
	s_or_b64 exec, exec, s[8:9]
	buffer_load_dword v93, off, s[0:3], 0 offset:120
	v_cmp_lt_u32_e64 s[4:5], 30, v0
	s_waitcnt vmcnt(0)
	ds_write_b32 v76, v93
	s_waitcnt lgkmcnt(0)
	; wave barrier
	s_waitcnt lgkmcnt(0)
	s_and_saveexec_b64 s[8:9], s[4:5]
	s_cbranch_execz .LBB36_56
; %bb.47:
	s_andn2_b64 vcc, exec, s[10:11]
	s_cbranch_vccnz .LBB36_49
; %bb.48:
	buffer_load_dword v93, v77, s[0:3], 0 offen
	ds_read_b32 v94, v76
	s_waitcnt vmcnt(0) lgkmcnt(0)
	v_mul_f32_e32 v93, v93, v94
	s_cbranch_execz .LBB36_50
	s_branch .LBB36_51
.LBB36_49:
                                        ; implicit-def: $vgpr93
.LBB36_50:
	ds_read_b32 v93, v76
.LBB36_51:
	s_and_saveexec_b64 s[12:13], s[6:7]
	s_cbranch_execz .LBB36_55
; %bb.52:
	v_mov_b32_e32 v94, 0
	v_add_u32_e32 v94, 0x7c, v94
	v_subrev_u32_e32 v95, 31, v0
	s_movk_i32 s14, 0x11c
	s_mov_b64 s[6:7], 0
.LBB36_53:                              ; =>This Inner Loop Header: Depth=1
	buffer_load_dword v96, v94, s[0:3], 0 offen
	v_mov_b32_e32 v97, s14
	ds_read_b32 v97, v97
	v_add_u32_e32 v95, -1, v95
	s_add_i32 s14, s14, 4
	v_cmp_eq_u32_e32 vcc, 0, v95
	v_add_u32_e32 v94, 4, v94
	s_or_b64 s[6:7], vcc, s[6:7]
	s_waitcnt vmcnt(0) lgkmcnt(0)
	v_fmac_f32_e32 v93, v96, v97
	s_andn2_b64 exec, exec, s[6:7]
	s_cbranch_execnz .LBB36_53
; %bb.54:
	s_or_b64 exec, exec, s[6:7]
.LBB36_55:
	s_or_b64 exec, exec, s[12:13]
	v_mov_b32_e32 v94, 0
	ds_read_b32 v94, v94 offset:120
	s_waitcnt lgkmcnt(0)
	v_mul_f32_e32 v93, v93, v94
	buffer_store_dword v93, off, s[0:3], 0 offset:120
.LBB36_56:
	s_or_b64 exec, exec, s[8:9]
	buffer_load_dword v93, off, s[0:3], 0 offset:116
	v_cmp_lt_u32_e64 s[6:7], 29, v0
	s_waitcnt vmcnt(0)
	ds_write_b32 v76, v93
	s_waitcnt lgkmcnt(0)
	; wave barrier
	s_waitcnt lgkmcnt(0)
	s_and_saveexec_b64 s[8:9], s[6:7]
	s_cbranch_execz .LBB36_66
; %bb.57:
	s_andn2_b64 vcc, exec, s[10:11]
	s_cbranch_vccnz .LBB36_59
; %bb.58:
	buffer_load_dword v93, v77, s[0:3], 0 offen
	ds_read_b32 v94, v76
	s_waitcnt vmcnt(0) lgkmcnt(0)
	v_mul_f32_e32 v93, v93, v94
	s_cbranch_execz .LBB36_60
	s_branch .LBB36_61
.LBB36_59:
                                        ; implicit-def: $vgpr93
.LBB36_60:
	ds_read_b32 v93, v76
.LBB36_61:
	s_and_saveexec_b64 s[12:13], s[4:5]
	s_cbranch_execz .LBB36_65
; %bb.62:
	v_subrev_u32_e32 v94, 30, v0
	s_movk_i32 s14, 0x118
	s_mov_b64 s[4:5], 0
.LBB36_63:                              ; =>This Inner Loop Header: Depth=1
	buffer_load_dword v95, v92, s[0:3], 0 offen
	v_mov_b32_e32 v96, s14
	ds_read_b32 v96, v96
	v_add_u32_e32 v94, -1, v94
	s_add_i32 s14, s14, 4
	v_cmp_eq_u32_e32 vcc, 0, v94
	v_add_u32_e32 v92, 4, v92
	s_or_b64 s[4:5], vcc, s[4:5]
	s_waitcnt vmcnt(0) lgkmcnt(0)
	v_fmac_f32_e32 v93, v95, v96
	s_andn2_b64 exec, exec, s[4:5]
	s_cbranch_execnz .LBB36_63
; %bb.64:
	s_or_b64 exec, exec, s[4:5]
.LBB36_65:
	s_or_b64 exec, exec, s[12:13]
	v_mov_b32_e32 v92, 0
	ds_read_b32 v92, v92 offset:116
	s_waitcnt lgkmcnt(0)
	v_mul_f32_e32 v92, v93, v92
	buffer_store_dword v92, off, s[0:3], 0 offset:116
.LBB36_66:
	s_or_b64 exec, exec, s[8:9]
	buffer_load_dword v92, off, s[0:3], 0 offset:112
	v_cmp_lt_u32_e64 s[4:5], 28, v0
	s_waitcnt vmcnt(0)
	ds_write_b32 v76, v92
	s_waitcnt lgkmcnt(0)
	; wave barrier
	s_waitcnt lgkmcnt(0)
	s_and_saveexec_b64 s[8:9], s[4:5]
	s_cbranch_execz .LBB36_76
; %bb.67:
	s_andn2_b64 vcc, exec, s[10:11]
	s_cbranch_vccnz .LBB36_69
; %bb.68:
	buffer_load_dword v92, v77, s[0:3], 0 offen
	ds_read_b32 v93, v76
	s_waitcnt vmcnt(0) lgkmcnt(0)
	v_mul_f32_e32 v92, v92, v93
	s_cbranch_execz .LBB36_70
	s_branch .LBB36_71
.LBB36_69:
                                        ; implicit-def: $vgpr92
.LBB36_70:
	ds_read_b32 v92, v76
.LBB36_71:
	s_and_saveexec_b64 s[12:13], s[6:7]
	s_cbranch_execz .LBB36_75
; %bb.72:
	v_mov_b32_e32 v93, 0
	v_add_u32_e32 v93, 0x74, v93
	v_subrev_u32_e32 v94, 29, v0
	s_movk_i32 s14, 0x114
	s_mov_b64 s[6:7], 0
.LBB36_73:                              ; =>This Inner Loop Header: Depth=1
	buffer_load_dword v95, v93, s[0:3], 0 offen
	v_mov_b32_e32 v96, s14
	ds_read_b32 v96, v96
	v_add_u32_e32 v94, -1, v94
	s_add_i32 s14, s14, 4
	v_cmp_eq_u32_e32 vcc, 0, v94
	v_add_u32_e32 v93, 4, v93
	s_or_b64 s[6:7], vcc, s[6:7]
	s_waitcnt vmcnt(0) lgkmcnt(0)
	v_fmac_f32_e32 v92, v95, v96
	s_andn2_b64 exec, exec, s[6:7]
	s_cbranch_execnz .LBB36_73
; %bb.74:
	s_or_b64 exec, exec, s[6:7]
.LBB36_75:
	s_or_b64 exec, exec, s[12:13]
	v_mov_b32_e32 v93, 0
	ds_read_b32 v93, v93 offset:112
	s_waitcnt lgkmcnt(0)
	v_mul_f32_e32 v92, v92, v93
	buffer_store_dword v92, off, s[0:3], 0 offset:112
.LBB36_76:
	s_or_b64 exec, exec, s[8:9]
	buffer_load_dword v92, off, s[0:3], 0 offset:108
	v_cmp_lt_u32_e64 s[6:7], 27, v0
	s_waitcnt vmcnt(0)
	ds_write_b32 v76, v92
	s_waitcnt lgkmcnt(0)
	; wave barrier
	s_waitcnt lgkmcnt(0)
	s_and_saveexec_b64 s[8:9], s[6:7]
	s_cbranch_execz .LBB36_86
; %bb.77:
	s_andn2_b64 vcc, exec, s[10:11]
	s_cbranch_vccnz .LBB36_79
; %bb.78:
	buffer_load_dword v92, v77, s[0:3], 0 offen
	ds_read_b32 v93, v76
	s_waitcnt vmcnt(0) lgkmcnt(0)
	v_mul_f32_e32 v92, v92, v93
	s_cbranch_execz .LBB36_80
	s_branch .LBB36_81
.LBB36_79:
                                        ; implicit-def: $vgpr92
.LBB36_80:
	ds_read_b32 v92, v76
.LBB36_81:
	s_and_saveexec_b64 s[12:13], s[4:5]
	s_cbranch_execz .LBB36_85
; %bb.82:
	v_subrev_u32_e32 v93, 28, v0
	s_movk_i32 s14, 0x110
	s_mov_b64 s[4:5], 0
.LBB36_83:                              ; =>This Inner Loop Header: Depth=1
	buffer_load_dword v94, v91, s[0:3], 0 offen
	v_mov_b32_e32 v95, s14
	ds_read_b32 v95, v95
	v_add_u32_e32 v93, -1, v93
	s_add_i32 s14, s14, 4
	v_cmp_eq_u32_e32 vcc, 0, v93
	v_add_u32_e32 v91, 4, v91
	s_or_b64 s[4:5], vcc, s[4:5]
	s_waitcnt vmcnt(0) lgkmcnt(0)
	v_fmac_f32_e32 v92, v94, v95
	s_andn2_b64 exec, exec, s[4:5]
	s_cbranch_execnz .LBB36_83
; %bb.84:
	s_or_b64 exec, exec, s[4:5]
.LBB36_85:
	s_or_b64 exec, exec, s[12:13]
	v_mov_b32_e32 v91, 0
	ds_read_b32 v91, v91 offset:108
	s_waitcnt lgkmcnt(0)
	v_mul_f32_e32 v91, v92, v91
	buffer_store_dword v91, off, s[0:3], 0 offset:108
.LBB36_86:
	s_or_b64 exec, exec, s[8:9]
	buffer_load_dword v91, off, s[0:3], 0 offset:104
	v_cmp_lt_u32_e64 s[4:5], 26, v0
	s_waitcnt vmcnt(0)
	ds_write_b32 v76, v91
	s_waitcnt lgkmcnt(0)
	; wave barrier
	s_waitcnt lgkmcnt(0)
	s_and_saveexec_b64 s[8:9], s[4:5]
	s_cbranch_execz .LBB36_96
; %bb.87:
	s_andn2_b64 vcc, exec, s[10:11]
	s_cbranch_vccnz .LBB36_89
; %bb.88:
	buffer_load_dword v91, v77, s[0:3], 0 offen
	ds_read_b32 v92, v76
	s_waitcnt vmcnt(0) lgkmcnt(0)
	v_mul_f32_e32 v91, v91, v92
	s_cbranch_execz .LBB36_90
	s_branch .LBB36_91
.LBB36_89:
                                        ; implicit-def: $vgpr91
.LBB36_90:
	ds_read_b32 v91, v76
.LBB36_91:
	s_and_saveexec_b64 s[12:13], s[6:7]
	s_cbranch_execz .LBB36_95
; %bb.92:
	v_mov_b32_e32 v92, 0
	v_add_u32_e32 v92, 0x6c, v92
	v_subrev_u32_e32 v93, 27, v0
	s_movk_i32 s14, 0x10c
	s_mov_b64 s[6:7], 0
.LBB36_93:                              ; =>This Inner Loop Header: Depth=1
	buffer_load_dword v94, v92, s[0:3], 0 offen
	v_mov_b32_e32 v95, s14
	ds_read_b32 v95, v95
	v_add_u32_e32 v93, -1, v93
	s_add_i32 s14, s14, 4
	v_cmp_eq_u32_e32 vcc, 0, v93
	v_add_u32_e32 v92, 4, v92
	s_or_b64 s[6:7], vcc, s[6:7]
	s_waitcnt vmcnt(0) lgkmcnt(0)
	v_fmac_f32_e32 v91, v94, v95
	s_andn2_b64 exec, exec, s[6:7]
	s_cbranch_execnz .LBB36_93
; %bb.94:
	s_or_b64 exec, exec, s[6:7]
.LBB36_95:
	s_or_b64 exec, exec, s[12:13]
	v_mov_b32_e32 v92, 0
	ds_read_b32 v92, v92 offset:104
	s_waitcnt lgkmcnt(0)
	v_mul_f32_e32 v91, v91, v92
	buffer_store_dword v91, off, s[0:3], 0 offset:104
.LBB36_96:
	s_or_b64 exec, exec, s[8:9]
	buffer_load_dword v91, off, s[0:3], 0 offset:100
	v_cmp_lt_u32_e64 s[6:7], 25, v0
	s_waitcnt vmcnt(0)
	ds_write_b32 v76, v91
	s_waitcnt lgkmcnt(0)
	; wave barrier
	s_waitcnt lgkmcnt(0)
	s_and_saveexec_b64 s[8:9], s[6:7]
	s_cbranch_execz .LBB36_106
; %bb.97:
	s_andn2_b64 vcc, exec, s[10:11]
	s_cbranch_vccnz .LBB36_99
; %bb.98:
	buffer_load_dword v91, v77, s[0:3], 0 offen
	ds_read_b32 v92, v76
	s_waitcnt vmcnt(0) lgkmcnt(0)
	v_mul_f32_e32 v91, v91, v92
	s_cbranch_execz .LBB36_100
	s_branch .LBB36_101
.LBB36_99:
                                        ; implicit-def: $vgpr91
.LBB36_100:
	ds_read_b32 v91, v76
.LBB36_101:
	s_and_saveexec_b64 s[12:13], s[4:5]
	s_cbranch_execz .LBB36_105
; %bb.102:
	v_subrev_u32_e32 v92, 26, v0
	s_movk_i32 s14, 0x108
	s_mov_b64 s[4:5], 0
.LBB36_103:                             ; =>This Inner Loop Header: Depth=1
	buffer_load_dword v93, v90, s[0:3], 0 offen
	v_mov_b32_e32 v94, s14
	ds_read_b32 v94, v94
	v_add_u32_e32 v92, -1, v92
	s_add_i32 s14, s14, 4
	v_cmp_eq_u32_e32 vcc, 0, v92
	v_add_u32_e32 v90, 4, v90
	s_or_b64 s[4:5], vcc, s[4:5]
	s_waitcnt vmcnt(0) lgkmcnt(0)
	v_fmac_f32_e32 v91, v93, v94
	s_andn2_b64 exec, exec, s[4:5]
	s_cbranch_execnz .LBB36_103
; %bb.104:
	s_or_b64 exec, exec, s[4:5]
.LBB36_105:
	s_or_b64 exec, exec, s[12:13]
	v_mov_b32_e32 v90, 0
	ds_read_b32 v90, v90 offset:100
	s_waitcnt lgkmcnt(0)
	v_mul_f32_e32 v90, v91, v90
	buffer_store_dword v90, off, s[0:3], 0 offset:100
.LBB36_106:
	s_or_b64 exec, exec, s[8:9]
	buffer_load_dword v90, off, s[0:3], 0 offset:96
	v_cmp_lt_u32_e64 s[4:5], 24, v0
	s_waitcnt vmcnt(0)
	ds_write_b32 v76, v90
	s_waitcnt lgkmcnt(0)
	; wave barrier
	s_waitcnt lgkmcnt(0)
	s_and_saveexec_b64 s[8:9], s[4:5]
	s_cbranch_execz .LBB36_116
; %bb.107:
	s_andn2_b64 vcc, exec, s[10:11]
	s_cbranch_vccnz .LBB36_109
; %bb.108:
	buffer_load_dword v90, v77, s[0:3], 0 offen
	ds_read_b32 v91, v76
	s_waitcnt vmcnt(0) lgkmcnt(0)
	v_mul_f32_e32 v90, v90, v91
	s_cbranch_execz .LBB36_110
	s_branch .LBB36_111
.LBB36_109:
                                        ; implicit-def: $vgpr90
.LBB36_110:
	ds_read_b32 v90, v76
.LBB36_111:
	s_and_saveexec_b64 s[12:13], s[6:7]
	s_cbranch_execz .LBB36_115
; %bb.112:
	v_mov_b32_e32 v91, 0
	v_add_u32_e32 v91, 0x64, v91
	v_subrev_u32_e32 v92, 25, v0
	s_movk_i32 s14, 0x104
	s_mov_b64 s[6:7], 0
.LBB36_113:                             ; =>This Inner Loop Header: Depth=1
	buffer_load_dword v93, v91, s[0:3], 0 offen
	v_mov_b32_e32 v94, s14
	ds_read_b32 v94, v94
	v_add_u32_e32 v92, -1, v92
	s_add_i32 s14, s14, 4
	v_cmp_eq_u32_e32 vcc, 0, v92
	v_add_u32_e32 v91, 4, v91
	s_or_b64 s[6:7], vcc, s[6:7]
	s_waitcnt vmcnt(0) lgkmcnt(0)
	v_fmac_f32_e32 v90, v93, v94
	s_andn2_b64 exec, exec, s[6:7]
	s_cbranch_execnz .LBB36_113
; %bb.114:
	s_or_b64 exec, exec, s[6:7]
.LBB36_115:
	s_or_b64 exec, exec, s[12:13]
	v_mov_b32_e32 v91, 0
	ds_read_b32 v91, v91 offset:96
	s_waitcnt lgkmcnt(0)
	v_mul_f32_e32 v90, v90, v91
	buffer_store_dword v90, off, s[0:3], 0 offset:96
.LBB36_116:
	s_or_b64 exec, exec, s[8:9]
	buffer_load_dword v90, off, s[0:3], 0 offset:92
	v_cmp_lt_u32_e64 s[6:7], 23, v0
	s_waitcnt vmcnt(0)
	ds_write_b32 v76, v90
	s_waitcnt lgkmcnt(0)
	; wave barrier
	s_waitcnt lgkmcnt(0)
	s_and_saveexec_b64 s[8:9], s[6:7]
	s_cbranch_execz .LBB36_126
; %bb.117:
	s_andn2_b64 vcc, exec, s[10:11]
	s_cbranch_vccnz .LBB36_119
; %bb.118:
	buffer_load_dword v90, v77, s[0:3], 0 offen
	ds_read_b32 v91, v76
	s_waitcnt vmcnt(0) lgkmcnt(0)
	v_mul_f32_e32 v90, v90, v91
	s_cbranch_execz .LBB36_120
	s_branch .LBB36_121
.LBB36_119:
                                        ; implicit-def: $vgpr90
.LBB36_120:
	ds_read_b32 v90, v76
.LBB36_121:
	s_and_saveexec_b64 s[12:13], s[4:5]
	s_cbranch_execz .LBB36_125
; %bb.122:
	v_subrev_u32_e32 v91, 24, v0
	s_movk_i32 s14, 0x100
	s_mov_b64 s[4:5], 0
.LBB36_123:                             ; =>This Inner Loop Header: Depth=1
	buffer_load_dword v92, v89, s[0:3], 0 offen
	v_mov_b32_e32 v93, s14
	ds_read_b32 v93, v93
	v_add_u32_e32 v91, -1, v91
	s_add_i32 s14, s14, 4
	v_cmp_eq_u32_e32 vcc, 0, v91
	v_add_u32_e32 v89, 4, v89
	s_or_b64 s[4:5], vcc, s[4:5]
	s_waitcnt vmcnt(0) lgkmcnt(0)
	v_fmac_f32_e32 v90, v92, v93
	s_andn2_b64 exec, exec, s[4:5]
	s_cbranch_execnz .LBB36_123
; %bb.124:
	s_or_b64 exec, exec, s[4:5]
.LBB36_125:
	s_or_b64 exec, exec, s[12:13]
	v_mov_b32_e32 v89, 0
	ds_read_b32 v89, v89 offset:92
	s_waitcnt lgkmcnt(0)
	v_mul_f32_e32 v89, v90, v89
	buffer_store_dword v89, off, s[0:3], 0 offset:92
.LBB36_126:
	s_or_b64 exec, exec, s[8:9]
	buffer_load_dword v89, off, s[0:3], 0 offset:88
	v_cmp_lt_u32_e64 s[4:5], 22, v0
	s_waitcnt vmcnt(0)
	ds_write_b32 v76, v89
	s_waitcnt lgkmcnt(0)
	; wave barrier
	s_waitcnt lgkmcnt(0)
	s_and_saveexec_b64 s[8:9], s[4:5]
	s_cbranch_execz .LBB36_136
; %bb.127:
	s_andn2_b64 vcc, exec, s[10:11]
	s_cbranch_vccnz .LBB36_129
; %bb.128:
	buffer_load_dword v89, v77, s[0:3], 0 offen
	ds_read_b32 v90, v76
	s_waitcnt vmcnt(0) lgkmcnt(0)
	v_mul_f32_e32 v89, v89, v90
	s_cbranch_execz .LBB36_130
	s_branch .LBB36_131
.LBB36_129:
                                        ; implicit-def: $vgpr89
.LBB36_130:
	ds_read_b32 v89, v76
.LBB36_131:
	s_and_saveexec_b64 s[12:13], s[6:7]
	s_cbranch_execz .LBB36_135
; %bb.132:
	v_mov_b32_e32 v90, 0
	v_add_u32_e32 v90, 0x5c, v90
	v_subrev_u32_e32 v91, 23, v0
	s_movk_i32 s14, 0xfc
	s_mov_b64 s[6:7], 0
.LBB36_133:                             ; =>This Inner Loop Header: Depth=1
	buffer_load_dword v92, v90, s[0:3], 0 offen
	v_mov_b32_e32 v93, s14
	ds_read_b32 v93, v93
	v_add_u32_e32 v91, -1, v91
	s_add_i32 s14, s14, 4
	v_cmp_eq_u32_e32 vcc, 0, v91
	v_add_u32_e32 v90, 4, v90
	s_or_b64 s[6:7], vcc, s[6:7]
	s_waitcnt vmcnt(0) lgkmcnt(0)
	v_fmac_f32_e32 v89, v92, v93
	s_andn2_b64 exec, exec, s[6:7]
	s_cbranch_execnz .LBB36_133
; %bb.134:
	s_or_b64 exec, exec, s[6:7]
.LBB36_135:
	s_or_b64 exec, exec, s[12:13]
	v_mov_b32_e32 v90, 0
	ds_read_b32 v90, v90 offset:88
	s_waitcnt lgkmcnt(0)
	v_mul_f32_e32 v89, v89, v90
	buffer_store_dword v89, off, s[0:3], 0 offset:88
.LBB36_136:
	s_or_b64 exec, exec, s[8:9]
	buffer_load_dword v89, off, s[0:3], 0 offset:84
	v_cmp_lt_u32_e64 s[6:7], 21, v0
	s_waitcnt vmcnt(0)
	ds_write_b32 v76, v89
	s_waitcnt lgkmcnt(0)
	; wave barrier
	s_waitcnt lgkmcnt(0)
	s_and_saveexec_b64 s[8:9], s[6:7]
	s_cbranch_execz .LBB36_146
; %bb.137:
	s_andn2_b64 vcc, exec, s[10:11]
	s_cbranch_vccnz .LBB36_139
; %bb.138:
	buffer_load_dword v89, v77, s[0:3], 0 offen
	ds_read_b32 v90, v76
	s_waitcnt vmcnt(0) lgkmcnt(0)
	v_mul_f32_e32 v89, v89, v90
	s_cbranch_execz .LBB36_140
	s_branch .LBB36_141
.LBB36_139:
                                        ; implicit-def: $vgpr89
.LBB36_140:
	ds_read_b32 v89, v76
.LBB36_141:
	s_and_saveexec_b64 s[12:13], s[4:5]
	s_cbranch_execz .LBB36_145
; %bb.142:
	v_subrev_u32_e32 v90, 22, v0
	s_movk_i32 s14, 0xf8
	s_mov_b64 s[4:5], 0
.LBB36_143:                             ; =>This Inner Loop Header: Depth=1
	buffer_load_dword v91, v88, s[0:3], 0 offen
	v_mov_b32_e32 v92, s14
	ds_read_b32 v92, v92
	v_add_u32_e32 v90, -1, v90
	s_add_i32 s14, s14, 4
	v_cmp_eq_u32_e32 vcc, 0, v90
	v_add_u32_e32 v88, 4, v88
	s_or_b64 s[4:5], vcc, s[4:5]
	s_waitcnt vmcnt(0) lgkmcnt(0)
	v_fmac_f32_e32 v89, v91, v92
	s_andn2_b64 exec, exec, s[4:5]
	s_cbranch_execnz .LBB36_143
; %bb.144:
	s_or_b64 exec, exec, s[4:5]
.LBB36_145:
	s_or_b64 exec, exec, s[12:13]
	v_mov_b32_e32 v88, 0
	ds_read_b32 v88, v88 offset:84
	s_waitcnt lgkmcnt(0)
	v_mul_f32_e32 v88, v89, v88
	buffer_store_dword v88, off, s[0:3], 0 offset:84
.LBB36_146:
	s_or_b64 exec, exec, s[8:9]
	buffer_load_dword v88, off, s[0:3], 0 offset:80
	v_cmp_lt_u32_e64 s[4:5], 20, v0
	s_waitcnt vmcnt(0)
	ds_write_b32 v76, v88
	s_waitcnt lgkmcnt(0)
	; wave barrier
	s_waitcnt lgkmcnt(0)
	s_and_saveexec_b64 s[8:9], s[4:5]
	s_cbranch_execz .LBB36_156
; %bb.147:
	s_andn2_b64 vcc, exec, s[10:11]
	s_cbranch_vccnz .LBB36_149
; %bb.148:
	buffer_load_dword v88, v77, s[0:3], 0 offen
	ds_read_b32 v89, v76
	s_waitcnt vmcnt(0) lgkmcnt(0)
	v_mul_f32_e32 v88, v88, v89
	s_cbranch_execz .LBB36_150
	s_branch .LBB36_151
.LBB36_149:
                                        ; implicit-def: $vgpr88
.LBB36_150:
	ds_read_b32 v88, v76
.LBB36_151:
	s_and_saveexec_b64 s[12:13], s[6:7]
	s_cbranch_execz .LBB36_155
; %bb.152:
	v_mov_b32_e32 v89, 0
	v_add_u32_e32 v89, 0x54, v89
	v_subrev_u32_e32 v90, 21, v0
	s_movk_i32 s14, 0xf4
	s_mov_b64 s[6:7], 0
.LBB36_153:                             ; =>This Inner Loop Header: Depth=1
	buffer_load_dword v91, v89, s[0:3], 0 offen
	v_mov_b32_e32 v92, s14
	ds_read_b32 v92, v92
	v_add_u32_e32 v90, -1, v90
	s_add_i32 s14, s14, 4
	v_cmp_eq_u32_e32 vcc, 0, v90
	v_add_u32_e32 v89, 4, v89
	s_or_b64 s[6:7], vcc, s[6:7]
	s_waitcnt vmcnt(0) lgkmcnt(0)
	v_fmac_f32_e32 v88, v91, v92
	s_andn2_b64 exec, exec, s[6:7]
	s_cbranch_execnz .LBB36_153
; %bb.154:
	s_or_b64 exec, exec, s[6:7]
.LBB36_155:
	s_or_b64 exec, exec, s[12:13]
	v_mov_b32_e32 v89, 0
	ds_read_b32 v89, v89 offset:80
	s_waitcnt lgkmcnt(0)
	v_mul_f32_e32 v88, v88, v89
	buffer_store_dword v88, off, s[0:3], 0 offset:80
.LBB36_156:
	s_or_b64 exec, exec, s[8:9]
	buffer_load_dword v88, off, s[0:3], 0 offset:76
	v_cmp_lt_u32_e64 s[6:7], 19, v0
	s_waitcnt vmcnt(0)
	ds_write_b32 v76, v88
	s_waitcnt lgkmcnt(0)
	; wave barrier
	s_waitcnt lgkmcnt(0)
	s_and_saveexec_b64 s[8:9], s[6:7]
	s_cbranch_execz .LBB36_166
; %bb.157:
	s_andn2_b64 vcc, exec, s[10:11]
	s_cbranch_vccnz .LBB36_159
; %bb.158:
	buffer_load_dword v88, v77, s[0:3], 0 offen
	ds_read_b32 v89, v76
	s_waitcnt vmcnt(0) lgkmcnt(0)
	v_mul_f32_e32 v88, v88, v89
	s_cbranch_execz .LBB36_160
	s_branch .LBB36_161
.LBB36_159:
                                        ; implicit-def: $vgpr88
.LBB36_160:
	ds_read_b32 v88, v76
.LBB36_161:
	s_and_saveexec_b64 s[12:13], s[4:5]
	s_cbranch_execz .LBB36_165
; %bb.162:
	v_subrev_u32_e32 v89, 20, v0
	s_movk_i32 s14, 0xf0
	s_mov_b64 s[4:5], 0
.LBB36_163:                             ; =>This Inner Loop Header: Depth=1
	buffer_load_dword v90, v87, s[0:3], 0 offen
	v_mov_b32_e32 v91, s14
	ds_read_b32 v91, v91
	v_add_u32_e32 v89, -1, v89
	s_add_i32 s14, s14, 4
	v_cmp_eq_u32_e32 vcc, 0, v89
	v_add_u32_e32 v87, 4, v87
	s_or_b64 s[4:5], vcc, s[4:5]
	s_waitcnt vmcnt(0) lgkmcnt(0)
	v_fmac_f32_e32 v88, v90, v91
	s_andn2_b64 exec, exec, s[4:5]
	s_cbranch_execnz .LBB36_163
; %bb.164:
	s_or_b64 exec, exec, s[4:5]
.LBB36_165:
	s_or_b64 exec, exec, s[12:13]
	v_mov_b32_e32 v87, 0
	ds_read_b32 v87, v87 offset:76
	s_waitcnt lgkmcnt(0)
	v_mul_f32_e32 v87, v88, v87
	buffer_store_dword v87, off, s[0:3], 0 offset:76
.LBB36_166:
	s_or_b64 exec, exec, s[8:9]
	buffer_load_dword v87, off, s[0:3], 0 offset:72
	v_cmp_lt_u32_e64 s[4:5], 18, v0
	s_waitcnt vmcnt(0)
	ds_write_b32 v76, v87
	s_waitcnt lgkmcnt(0)
	; wave barrier
	s_waitcnt lgkmcnt(0)
	s_and_saveexec_b64 s[8:9], s[4:5]
	s_cbranch_execz .LBB36_176
; %bb.167:
	s_andn2_b64 vcc, exec, s[10:11]
	s_cbranch_vccnz .LBB36_169
; %bb.168:
	buffer_load_dword v87, v77, s[0:3], 0 offen
	ds_read_b32 v88, v76
	s_waitcnt vmcnt(0) lgkmcnt(0)
	v_mul_f32_e32 v87, v87, v88
	s_cbranch_execz .LBB36_170
	s_branch .LBB36_171
.LBB36_169:
                                        ; implicit-def: $vgpr87
.LBB36_170:
	ds_read_b32 v87, v76
.LBB36_171:
	s_and_saveexec_b64 s[12:13], s[6:7]
	s_cbranch_execz .LBB36_175
; %bb.172:
	v_mov_b32_e32 v88, 0
	v_add_u32_e32 v88, 0x4c, v88
	v_subrev_u32_e32 v89, 19, v0
	s_movk_i32 s14, 0xec
	s_mov_b64 s[6:7], 0
.LBB36_173:                             ; =>This Inner Loop Header: Depth=1
	buffer_load_dword v90, v88, s[0:3], 0 offen
	v_mov_b32_e32 v91, s14
	ds_read_b32 v91, v91
	v_add_u32_e32 v89, -1, v89
	s_add_i32 s14, s14, 4
	v_cmp_eq_u32_e32 vcc, 0, v89
	v_add_u32_e32 v88, 4, v88
	s_or_b64 s[6:7], vcc, s[6:7]
	s_waitcnt vmcnt(0) lgkmcnt(0)
	v_fmac_f32_e32 v87, v90, v91
	s_andn2_b64 exec, exec, s[6:7]
	s_cbranch_execnz .LBB36_173
; %bb.174:
	s_or_b64 exec, exec, s[6:7]
.LBB36_175:
	s_or_b64 exec, exec, s[12:13]
	v_mov_b32_e32 v88, 0
	ds_read_b32 v88, v88 offset:72
	s_waitcnt lgkmcnt(0)
	v_mul_f32_e32 v87, v87, v88
	buffer_store_dword v87, off, s[0:3], 0 offset:72
.LBB36_176:
	s_or_b64 exec, exec, s[8:9]
	buffer_load_dword v87, off, s[0:3], 0 offset:68
	v_cmp_lt_u32_e64 s[6:7], 17, v0
	s_waitcnt vmcnt(0)
	ds_write_b32 v76, v87
	s_waitcnt lgkmcnt(0)
	; wave barrier
	s_waitcnt lgkmcnt(0)
	s_and_saveexec_b64 s[8:9], s[6:7]
	s_cbranch_execz .LBB36_186
; %bb.177:
	s_andn2_b64 vcc, exec, s[10:11]
	s_cbranch_vccnz .LBB36_179
; %bb.178:
	buffer_load_dword v87, v77, s[0:3], 0 offen
	ds_read_b32 v88, v76
	s_waitcnt vmcnt(0) lgkmcnt(0)
	v_mul_f32_e32 v87, v87, v88
	s_cbranch_execz .LBB36_180
	s_branch .LBB36_181
.LBB36_179:
                                        ; implicit-def: $vgpr87
.LBB36_180:
	ds_read_b32 v87, v76
.LBB36_181:
	s_and_saveexec_b64 s[12:13], s[4:5]
	s_cbranch_execz .LBB36_185
; %bb.182:
	v_subrev_u32_e32 v88, 18, v0
	s_movk_i32 s14, 0xe8
	s_mov_b64 s[4:5], 0
.LBB36_183:                             ; =>This Inner Loop Header: Depth=1
	buffer_load_dword v89, v86, s[0:3], 0 offen
	v_mov_b32_e32 v90, s14
	ds_read_b32 v90, v90
	v_add_u32_e32 v88, -1, v88
	s_add_i32 s14, s14, 4
	v_cmp_eq_u32_e32 vcc, 0, v88
	v_add_u32_e32 v86, 4, v86
	s_or_b64 s[4:5], vcc, s[4:5]
	s_waitcnt vmcnt(0) lgkmcnt(0)
	v_fmac_f32_e32 v87, v89, v90
	s_andn2_b64 exec, exec, s[4:5]
	s_cbranch_execnz .LBB36_183
; %bb.184:
	s_or_b64 exec, exec, s[4:5]
.LBB36_185:
	s_or_b64 exec, exec, s[12:13]
	v_mov_b32_e32 v86, 0
	ds_read_b32 v86, v86 offset:68
	s_waitcnt lgkmcnt(0)
	v_mul_f32_e32 v86, v87, v86
	buffer_store_dword v86, off, s[0:3], 0 offset:68
.LBB36_186:
	s_or_b64 exec, exec, s[8:9]
	buffer_load_dword v86, off, s[0:3], 0 offset:64
	v_cmp_lt_u32_e64 s[4:5], 16, v0
	s_waitcnt vmcnt(0)
	ds_write_b32 v76, v86
	s_waitcnt lgkmcnt(0)
	; wave barrier
	s_waitcnt lgkmcnt(0)
	s_and_saveexec_b64 s[8:9], s[4:5]
	s_cbranch_execz .LBB36_196
; %bb.187:
	s_andn2_b64 vcc, exec, s[10:11]
	s_cbranch_vccnz .LBB36_189
; %bb.188:
	buffer_load_dword v86, v77, s[0:3], 0 offen
	ds_read_b32 v87, v76
	s_waitcnt vmcnt(0) lgkmcnt(0)
	v_mul_f32_e32 v86, v86, v87
	s_cbranch_execz .LBB36_190
	s_branch .LBB36_191
.LBB36_189:
                                        ; implicit-def: $vgpr86
.LBB36_190:
	ds_read_b32 v86, v76
.LBB36_191:
	s_and_saveexec_b64 s[12:13], s[6:7]
	s_cbranch_execz .LBB36_195
; %bb.192:
	v_mov_b32_e32 v87, 0
	v_add_u32_e32 v87, 0x44, v87
	v_subrev_u32_e32 v88, 17, v0
	s_movk_i32 s14, 0xe4
	s_mov_b64 s[6:7], 0
.LBB36_193:                             ; =>This Inner Loop Header: Depth=1
	buffer_load_dword v89, v87, s[0:3], 0 offen
	v_mov_b32_e32 v90, s14
	ds_read_b32 v90, v90
	v_add_u32_e32 v88, -1, v88
	s_add_i32 s14, s14, 4
	v_cmp_eq_u32_e32 vcc, 0, v88
	v_add_u32_e32 v87, 4, v87
	s_or_b64 s[6:7], vcc, s[6:7]
	s_waitcnt vmcnt(0) lgkmcnt(0)
	v_fmac_f32_e32 v86, v89, v90
	s_andn2_b64 exec, exec, s[6:7]
	s_cbranch_execnz .LBB36_193
; %bb.194:
	s_or_b64 exec, exec, s[6:7]
.LBB36_195:
	s_or_b64 exec, exec, s[12:13]
	v_mov_b32_e32 v87, 0
	ds_read_b32 v87, v87 offset:64
	s_waitcnt lgkmcnt(0)
	v_mul_f32_e32 v86, v86, v87
	buffer_store_dword v86, off, s[0:3], 0 offset:64
.LBB36_196:
	s_or_b64 exec, exec, s[8:9]
	buffer_load_dword v86, off, s[0:3], 0 offset:60
	v_cmp_lt_u32_e64 s[6:7], 15, v0
	s_waitcnt vmcnt(0)
	ds_write_b32 v76, v86
	s_waitcnt lgkmcnt(0)
	; wave barrier
	s_waitcnt lgkmcnt(0)
	s_and_saveexec_b64 s[8:9], s[6:7]
	s_cbranch_execz .LBB36_206
; %bb.197:
	s_andn2_b64 vcc, exec, s[10:11]
	s_cbranch_vccnz .LBB36_199
; %bb.198:
	buffer_load_dword v86, v77, s[0:3], 0 offen
	ds_read_b32 v87, v76
	s_waitcnt vmcnt(0) lgkmcnt(0)
	v_mul_f32_e32 v86, v86, v87
	s_cbranch_execz .LBB36_200
	s_branch .LBB36_201
.LBB36_199:
                                        ; implicit-def: $vgpr86
.LBB36_200:
	ds_read_b32 v86, v76
.LBB36_201:
	s_and_saveexec_b64 s[12:13], s[4:5]
	s_cbranch_execz .LBB36_205
; %bb.202:
	v_add_u32_e32 v87, -16, v0
	s_movk_i32 s14, 0xe0
	s_mov_b64 s[4:5], 0
.LBB36_203:                             ; =>This Inner Loop Header: Depth=1
	buffer_load_dword v88, v85, s[0:3], 0 offen
	v_mov_b32_e32 v89, s14
	ds_read_b32 v89, v89
	v_add_u32_e32 v87, -1, v87
	s_add_i32 s14, s14, 4
	v_cmp_eq_u32_e32 vcc, 0, v87
	v_add_u32_e32 v85, 4, v85
	s_or_b64 s[4:5], vcc, s[4:5]
	s_waitcnt vmcnt(0) lgkmcnt(0)
	v_fmac_f32_e32 v86, v88, v89
	s_andn2_b64 exec, exec, s[4:5]
	s_cbranch_execnz .LBB36_203
; %bb.204:
	s_or_b64 exec, exec, s[4:5]
.LBB36_205:
	s_or_b64 exec, exec, s[12:13]
	v_mov_b32_e32 v85, 0
	ds_read_b32 v85, v85 offset:60
	s_waitcnt lgkmcnt(0)
	v_mul_f32_e32 v85, v86, v85
	buffer_store_dword v85, off, s[0:3], 0 offset:60
.LBB36_206:
	s_or_b64 exec, exec, s[8:9]
	buffer_load_dword v85, off, s[0:3], 0 offset:56
	v_cmp_lt_u32_e64 s[4:5], 14, v0
	s_waitcnt vmcnt(0)
	ds_write_b32 v76, v85
	s_waitcnt lgkmcnt(0)
	; wave barrier
	s_waitcnt lgkmcnt(0)
	s_and_saveexec_b64 s[8:9], s[4:5]
	s_cbranch_execz .LBB36_216
; %bb.207:
	s_andn2_b64 vcc, exec, s[10:11]
	s_cbranch_vccnz .LBB36_209
; %bb.208:
	buffer_load_dword v85, v77, s[0:3], 0 offen
	ds_read_b32 v86, v76
	s_waitcnt vmcnt(0) lgkmcnt(0)
	v_mul_f32_e32 v85, v85, v86
	s_cbranch_execz .LBB36_210
	s_branch .LBB36_211
.LBB36_209:
                                        ; implicit-def: $vgpr85
.LBB36_210:
	ds_read_b32 v85, v76
.LBB36_211:
	s_and_saveexec_b64 s[12:13], s[6:7]
	s_cbranch_execz .LBB36_215
; %bb.212:
	v_mov_b32_e32 v86, 0
	v_add_u32_e32 v86, 60, v86
	v_add_u32_e32 v87, -15, v0
	s_movk_i32 s14, 0xdc
	s_mov_b64 s[6:7], 0
.LBB36_213:                             ; =>This Inner Loop Header: Depth=1
	buffer_load_dword v88, v86, s[0:3], 0 offen
	v_mov_b32_e32 v89, s14
	ds_read_b32 v89, v89
	v_add_u32_e32 v87, -1, v87
	s_add_i32 s14, s14, 4
	v_cmp_eq_u32_e32 vcc, 0, v87
	v_add_u32_e32 v86, 4, v86
	s_or_b64 s[6:7], vcc, s[6:7]
	s_waitcnt vmcnt(0) lgkmcnt(0)
	v_fmac_f32_e32 v85, v88, v89
	s_andn2_b64 exec, exec, s[6:7]
	s_cbranch_execnz .LBB36_213
; %bb.214:
	s_or_b64 exec, exec, s[6:7]
.LBB36_215:
	s_or_b64 exec, exec, s[12:13]
	v_mov_b32_e32 v86, 0
	ds_read_b32 v86, v86 offset:56
	s_waitcnt lgkmcnt(0)
	v_mul_f32_e32 v85, v85, v86
	buffer_store_dword v85, off, s[0:3], 0 offset:56
.LBB36_216:
	s_or_b64 exec, exec, s[8:9]
	buffer_load_dword v85, off, s[0:3], 0 offset:52
	v_cmp_lt_u32_e64 s[6:7], 13, v0
	s_waitcnt vmcnt(0)
	ds_write_b32 v76, v85
	s_waitcnt lgkmcnt(0)
	; wave barrier
	s_waitcnt lgkmcnt(0)
	s_and_saveexec_b64 s[8:9], s[6:7]
	s_cbranch_execz .LBB36_226
; %bb.217:
	s_andn2_b64 vcc, exec, s[10:11]
	s_cbranch_vccnz .LBB36_219
; %bb.218:
	buffer_load_dword v85, v77, s[0:3], 0 offen
	ds_read_b32 v86, v76
	s_waitcnt vmcnt(0) lgkmcnt(0)
	v_mul_f32_e32 v85, v85, v86
	s_cbranch_execz .LBB36_220
	s_branch .LBB36_221
.LBB36_219:
                                        ; implicit-def: $vgpr85
.LBB36_220:
	ds_read_b32 v85, v76
.LBB36_221:
	s_and_saveexec_b64 s[12:13], s[4:5]
	s_cbranch_execz .LBB36_225
; %bb.222:
	v_add_u32_e32 v86, -14, v0
	s_movk_i32 s14, 0xd8
	s_mov_b64 s[4:5], 0
.LBB36_223:                             ; =>This Inner Loop Header: Depth=1
	buffer_load_dword v87, v84, s[0:3], 0 offen
	v_mov_b32_e32 v88, s14
	ds_read_b32 v88, v88
	v_add_u32_e32 v86, -1, v86
	s_add_i32 s14, s14, 4
	v_cmp_eq_u32_e32 vcc, 0, v86
	v_add_u32_e32 v84, 4, v84
	s_or_b64 s[4:5], vcc, s[4:5]
	s_waitcnt vmcnt(0) lgkmcnt(0)
	v_fmac_f32_e32 v85, v87, v88
	s_andn2_b64 exec, exec, s[4:5]
	s_cbranch_execnz .LBB36_223
; %bb.224:
	s_or_b64 exec, exec, s[4:5]
.LBB36_225:
	s_or_b64 exec, exec, s[12:13]
	v_mov_b32_e32 v84, 0
	ds_read_b32 v84, v84 offset:52
	s_waitcnt lgkmcnt(0)
	v_mul_f32_e32 v84, v85, v84
	buffer_store_dword v84, off, s[0:3], 0 offset:52
.LBB36_226:
	s_or_b64 exec, exec, s[8:9]
	buffer_load_dword v84, off, s[0:3], 0 offset:48
	v_cmp_lt_u32_e64 s[4:5], 12, v0
	s_waitcnt vmcnt(0)
	ds_write_b32 v76, v84
	s_waitcnt lgkmcnt(0)
	; wave barrier
	s_waitcnt lgkmcnt(0)
	s_and_saveexec_b64 s[8:9], s[4:5]
	s_cbranch_execz .LBB36_236
; %bb.227:
	s_andn2_b64 vcc, exec, s[10:11]
	s_cbranch_vccnz .LBB36_229
; %bb.228:
	buffer_load_dword v84, v77, s[0:3], 0 offen
	ds_read_b32 v85, v76
	s_waitcnt vmcnt(0) lgkmcnt(0)
	v_mul_f32_e32 v84, v84, v85
	s_cbranch_execz .LBB36_230
	s_branch .LBB36_231
.LBB36_229:
                                        ; implicit-def: $vgpr84
.LBB36_230:
	ds_read_b32 v84, v76
.LBB36_231:
	s_and_saveexec_b64 s[12:13], s[6:7]
	s_cbranch_execz .LBB36_235
; %bb.232:
	v_mov_b32_e32 v85, 0
	v_add_u32_e32 v85, 52, v85
	v_add_u32_e32 v86, -13, v0
	s_movk_i32 s14, 0xd4
	s_mov_b64 s[6:7], 0
.LBB36_233:                             ; =>This Inner Loop Header: Depth=1
	buffer_load_dword v87, v85, s[0:3], 0 offen
	v_mov_b32_e32 v88, s14
	ds_read_b32 v88, v88
	v_add_u32_e32 v86, -1, v86
	s_add_i32 s14, s14, 4
	v_cmp_eq_u32_e32 vcc, 0, v86
	v_add_u32_e32 v85, 4, v85
	s_or_b64 s[6:7], vcc, s[6:7]
	s_waitcnt vmcnt(0) lgkmcnt(0)
	v_fmac_f32_e32 v84, v87, v88
	s_andn2_b64 exec, exec, s[6:7]
	s_cbranch_execnz .LBB36_233
; %bb.234:
	s_or_b64 exec, exec, s[6:7]
.LBB36_235:
	s_or_b64 exec, exec, s[12:13]
	v_mov_b32_e32 v85, 0
	ds_read_b32 v85, v85 offset:48
	s_waitcnt lgkmcnt(0)
	v_mul_f32_e32 v84, v84, v85
	buffer_store_dword v84, off, s[0:3], 0 offset:48
.LBB36_236:
	s_or_b64 exec, exec, s[8:9]
	buffer_load_dword v84, off, s[0:3], 0 offset:44
	v_cmp_lt_u32_e64 s[6:7], 11, v0
	s_waitcnt vmcnt(0)
	ds_write_b32 v76, v84
	s_waitcnt lgkmcnt(0)
	; wave barrier
	s_waitcnt lgkmcnt(0)
	s_and_saveexec_b64 s[8:9], s[6:7]
	s_cbranch_execz .LBB36_246
; %bb.237:
	s_andn2_b64 vcc, exec, s[10:11]
	s_cbranch_vccnz .LBB36_239
; %bb.238:
	buffer_load_dword v84, v77, s[0:3], 0 offen
	ds_read_b32 v85, v76
	s_waitcnt vmcnt(0) lgkmcnt(0)
	v_mul_f32_e32 v84, v84, v85
	s_cbranch_execz .LBB36_240
	s_branch .LBB36_241
.LBB36_239:
                                        ; implicit-def: $vgpr84
.LBB36_240:
	ds_read_b32 v84, v76
.LBB36_241:
	s_and_saveexec_b64 s[12:13], s[4:5]
	s_cbranch_execz .LBB36_245
; %bb.242:
	v_add_u32_e32 v85, -12, v0
	s_movk_i32 s14, 0xd0
	s_mov_b64 s[4:5], 0
.LBB36_243:                             ; =>This Inner Loop Header: Depth=1
	buffer_load_dword v86, v83, s[0:3], 0 offen
	v_mov_b32_e32 v87, s14
	ds_read_b32 v87, v87
	v_add_u32_e32 v85, -1, v85
	s_add_i32 s14, s14, 4
	v_cmp_eq_u32_e32 vcc, 0, v85
	v_add_u32_e32 v83, 4, v83
	s_or_b64 s[4:5], vcc, s[4:5]
	s_waitcnt vmcnt(0) lgkmcnt(0)
	v_fmac_f32_e32 v84, v86, v87
	s_andn2_b64 exec, exec, s[4:5]
	s_cbranch_execnz .LBB36_243
; %bb.244:
	s_or_b64 exec, exec, s[4:5]
.LBB36_245:
	s_or_b64 exec, exec, s[12:13]
	v_mov_b32_e32 v83, 0
	ds_read_b32 v83, v83 offset:44
	s_waitcnt lgkmcnt(0)
	v_mul_f32_e32 v83, v84, v83
	buffer_store_dword v83, off, s[0:3], 0 offset:44
.LBB36_246:
	s_or_b64 exec, exec, s[8:9]
	buffer_load_dword v83, off, s[0:3], 0 offset:40
	v_cmp_lt_u32_e64 s[4:5], 10, v0
	s_waitcnt vmcnt(0)
	ds_write_b32 v76, v83
	s_waitcnt lgkmcnt(0)
	; wave barrier
	s_waitcnt lgkmcnt(0)
	s_and_saveexec_b64 s[8:9], s[4:5]
	s_cbranch_execz .LBB36_256
; %bb.247:
	s_andn2_b64 vcc, exec, s[10:11]
	s_cbranch_vccnz .LBB36_249
; %bb.248:
	buffer_load_dword v83, v77, s[0:3], 0 offen
	ds_read_b32 v84, v76
	s_waitcnt vmcnt(0) lgkmcnt(0)
	v_mul_f32_e32 v83, v83, v84
	s_cbranch_execz .LBB36_250
	s_branch .LBB36_251
.LBB36_249:
                                        ; implicit-def: $vgpr83
.LBB36_250:
	ds_read_b32 v83, v76
.LBB36_251:
	s_and_saveexec_b64 s[12:13], s[6:7]
	s_cbranch_execz .LBB36_255
; %bb.252:
	v_mov_b32_e32 v84, 0
	v_add_u32_e32 v84, 44, v84
	v_add_u32_e32 v85, -11, v0
	s_movk_i32 s14, 0xcc
	s_mov_b64 s[6:7], 0
.LBB36_253:                             ; =>This Inner Loop Header: Depth=1
	buffer_load_dword v86, v84, s[0:3], 0 offen
	v_mov_b32_e32 v87, s14
	ds_read_b32 v87, v87
	v_add_u32_e32 v85, -1, v85
	s_add_i32 s14, s14, 4
	v_cmp_eq_u32_e32 vcc, 0, v85
	v_add_u32_e32 v84, 4, v84
	s_or_b64 s[6:7], vcc, s[6:7]
	s_waitcnt vmcnt(0) lgkmcnt(0)
	v_fmac_f32_e32 v83, v86, v87
	s_andn2_b64 exec, exec, s[6:7]
	s_cbranch_execnz .LBB36_253
; %bb.254:
	s_or_b64 exec, exec, s[6:7]
.LBB36_255:
	s_or_b64 exec, exec, s[12:13]
	v_mov_b32_e32 v84, 0
	ds_read_b32 v84, v84 offset:40
	s_waitcnt lgkmcnt(0)
	v_mul_f32_e32 v83, v83, v84
	buffer_store_dword v83, off, s[0:3], 0 offset:40
.LBB36_256:
	s_or_b64 exec, exec, s[8:9]
	buffer_load_dword v83, off, s[0:3], 0 offset:36
	v_cmp_lt_u32_e64 s[6:7], 9, v0
	s_waitcnt vmcnt(0)
	ds_write_b32 v76, v83
	s_waitcnt lgkmcnt(0)
	; wave barrier
	s_waitcnt lgkmcnt(0)
	s_and_saveexec_b64 s[8:9], s[6:7]
	s_cbranch_execz .LBB36_266
; %bb.257:
	s_andn2_b64 vcc, exec, s[10:11]
	s_cbranch_vccnz .LBB36_259
; %bb.258:
	buffer_load_dword v83, v77, s[0:3], 0 offen
	ds_read_b32 v84, v76
	s_waitcnt vmcnt(0) lgkmcnt(0)
	v_mul_f32_e32 v83, v83, v84
	s_cbranch_execz .LBB36_260
	s_branch .LBB36_261
.LBB36_259:
                                        ; implicit-def: $vgpr83
.LBB36_260:
	ds_read_b32 v83, v76
.LBB36_261:
	s_and_saveexec_b64 s[12:13], s[4:5]
	s_cbranch_execz .LBB36_265
; %bb.262:
	v_add_u32_e32 v84, -10, v0
	s_movk_i32 s14, 0xc8
	s_mov_b64 s[4:5], 0
.LBB36_263:                             ; =>This Inner Loop Header: Depth=1
	buffer_load_dword v85, v82, s[0:3], 0 offen
	v_mov_b32_e32 v86, s14
	ds_read_b32 v86, v86
	v_add_u32_e32 v84, -1, v84
	s_add_i32 s14, s14, 4
	v_cmp_eq_u32_e32 vcc, 0, v84
	v_add_u32_e32 v82, 4, v82
	s_or_b64 s[4:5], vcc, s[4:5]
	s_waitcnt vmcnt(0) lgkmcnt(0)
	v_fmac_f32_e32 v83, v85, v86
	s_andn2_b64 exec, exec, s[4:5]
	s_cbranch_execnz .LBB36_263
; %bb.264:
	s_or_b64 exec, exec, s[4:5]
.LBB36_265:
	s_or_b64 exec, exec, s[12:13]
	v_mov_b32_e32 v82, 0
	ds_read_b32 v82, v82 offset:36
	s_waitcnt lgkmcnt(0)
	v_mul_f32_e32 v82, v83, v82
	buffer_store_dword v82, off, s[0:3], 0 offset:36
.LBB36_266:
	s_or_b64 exec, exec, s[8:9]
	buffer_load_dword v82, off, s[0:3], 0 offset:32
	v_cmp_lt_u32_e64 s[4:5], 8, v0
	s_waitcnt vmcnt(0)
	ds_write_b32 v76, v82
	s_waitcnt lgkmcnt(0)
	; wave barrier
	s_waitcnt lgkmcnt(0)
	s_and_saveexec_b64 s[8:9], s[4:5]
	s_cbranch_execz .LBB36_276
; %bb.267:
	s_andn2_b64 vcc, exec, s[10:11]
	s_cbranch_vccnz .LBB36_269
; %bb.268:
	buffer_load_dword v82, v77, s[0:3], 0 offen
	ds_read_b32 v83, v76
	s_waitcnt vmcnt(0) lgkmcnt(0)
	v_mul_f32_e32 v82, v82, v83
	s_cbranch_execz .LBB36_270
	s_branch .LBB36_271
.LBB36_269:
                                        ; implicit-def: $vgpr82
.LBB36_270:
	ds_read_b32 v82, v76
.LBB36_271:
	s_and_saveexec_b64 s[12:13], s[6:7]
	s_cbranch_execz .LBB36_275
; %bb.272:
	v_mov_b32_e32 v83, 0
	v_add_u32_e32 v83, 36, v83
	v_add_u32_e32 v84, -9, v0
	s_movk_i32 s14, 0xc4
	s_mov_b64 s[6:7], 0
.LBB36_273:                             ; =>This Inner Loop Header: Depth=1
	buffer_load_dword v85, v83, s[0:3], 0 offen
	v_mov_b32_e32 v86, s14
	ds_read_b32 v86, v86
	v_add_u32_e32 v84, -1, v84
	s_add_i32 s14, s14, 4
	v_cmp_eq_u32_e32 vcc, 0, v84
	v_add_u32_e32 v83, 4, v83
	s_or_b64 s[6:7], vcc, s[6:7]
	s_waitcnt vmcnt(0) lgkmcnt(0)
	v_fmac_f32_e32 v82, v85, v86
	s_andn2_b64 exec, exec, s[6:7]
	s_cbranch_execnz .LBB36_273
; %bb.274:
	s_or_b64 exec, exec, s[6:7]
.LBB36_275:
	s_or_b64 exec, exec, s[12:13]
	v_mov_b32_e32 v83, 0
	ds_read_b32 v83, v83 offset:32
	s_waitcnt lgkmcnt(0)
	v_mul_f32_e32 v82, v82, v83
	buffer_store_dword v82, off, s[0:3], 0 offset:32
.LBB36_276:
	s_or_b64 exec, exec, s[8:9]
	buffer_load_dword v82, off, s[0:3], 0 offset:28
	v_cmp_lt_u32_e64 s[6:7], 7, v0
	s_waitcnt vmcnt(0)
	ds_write_b32 v76, v82
	s_waitcnt lgkmcnt(0)
	; wave barrier
	s_waitcnt lgkmcnt(0)
	s_and_saveexec_b64 s[8:9], s[6:7]
	s_cbranch_execz .LBB36_286
; %bb.277:
	s_andn2_b64 vcc, exec, s[10:11]
	s_cbranch_vccnz .LBB36_279
; %bb.278:
	buffer_load_dword v82, v77, s[0:3], 0 offen
	ds_read_b32 v83, v76
	s_waitcnt vmcnt(0) lgkmcnt(0)
	v_mul_f32_e32 v82, v82, v83
	s_cbranch_execz .LBB36_280
	s_branch .LBB36_281
.LBB36_279:
                                        ; implicit-def: $vgpr82
.LBB36_280:
	ds_read_b32 v82, v76
.LBB36_281:
	s_and_saveexec_b64 s[12:13], s[4:5]
	s_cbranch_execz .LBB36_285
; %bb.282:
	v_add_u32_e32 v83, -8, v0
	s_movk_i32 s14, 0xc0
	s_mov_b64 s[4:5], 0
.LBB36_283:                             ; =>This Inner Loop Header: Depth=1
	buffer_load_dword v84, v81, s[0:3], 0 offen
	v_mov_b32_e32 v85, s14
	ds_read_b32 v85, v85
	v_add_u32_e32 v83, -1, v83
	s_add_i32 s14, s14, 4
	v_cmp_eq_u32_e32 vcc, 0, v83
	v_add_u32_e32 v81, 4, v81
	s_or_b64 s[4:5], vcc, s[4:5]
	s_waitcnt vmcnt(0) lgkmcnt(0)
	v_fmac_f32_e32 v82, v84, v85
	s_andn2_b64 exec, exec, s[4:5]
	s_cbranch_execnz .LBB36_283
; %bb.284:
	s_or_b64 exec, exec, s[4:5]
.LBB36_285:
	s_or_b64 exec, exec, s[12:13]
	v_mov_b32_e32 v81, 0
	ds_read_b32 v81, v81 offset:28
	s_waitcnt lgkmcnt(0)
	v_mul_f32_e32 v81, v82, v81
	buffer_store_dword v81, off, s[0:3], 0 offset:28
.LBB36_286:
	s_or_b64 exec, exec, s[8:9]
	buffer_load_dword v81, off, s[0:3], 0 offset:24
	v_cmp_lt_u32_e64 s[4:5], 6, v0
	s_waitcnt vmcnt(0)
	ds_write_b32 v76, v81
	s_waitcnt lgkmcnt(0)
	; wave barrier
	s_waitcnt lgkmcnt(0)
	s_and_saveexec_b64 s[8:9], s[4:5]
	s_cbranch_execz .LBB36_296
; %bb.287:
	s_andn2_b64 vcc, exec, s[10:11]
	s_cbranch_vccnz .LBB36_289
; %bb.288:
	buffer_load_dword v81, v77, s[0:3], 0 offen
	ds_read_b32 v82, v76
	s_waitcnt vmcnt(0) lgkmcnt(0)
	v_mul_f32_e32 v81, v81, v82
	s_cbranch_execz .LBB36_290
	s_branch .LBB36_291
.LBB36_289:
                                        ; implicit-def: $vgpr81
.LBB36_290:
	ds_read_b32 v81, v76
.LBB36_291:
	s_and_saveexec_b64 s[12:13], s[6:7]
	s_cbranch_execz .LBB36_295
; %bb.292:
	v_mov_b32_e32 v82, 0
	v_add_u32_e32 v82, 28, v82
	v_add_u32_e32 v83, -7, v0
	s_movk_i32 s14, 0xbc
	s_mov_b64 s[6:7], 0
.LBB36_293:                             ; =>This Inner Loop Header: Depth=1
	buffer_load_dword v84, v82, s[0:3], 0 offen
	v_mov_b32_e32 v85, s14
	ds_read_b32 v85, v85
	v_add_u32_e32 v83, -1, v83
	s_add_i32 s14, s14, 4
	v_cmp_eq_u32_e32 vcc, 0, v83
	v_add_u32_e32 v82, 4, v82
	s_or_b64 s[6:7], vcc, s[6:7]
	s_waitcnt vmcnt(0) lgkmcnt(0)
	v_fmac_f32_e32 v81, v84, v85
	s_andn2_b64 exec, exec, s[6:7]
	s_cbranch_execnz .LBB36_293
; %bb.294:
	s_or_b64 exec, exec, s[6:7]
.LBB36_295:
	s_or_b64 exec, exec, s[12:13]
	v_mov_b32_e32 v82, 0
	ds_read_b32 v82, v82 offset:24
	s_waitcnt lgkmcnt(0)
	v_mul_f32_e32 v81, v81, v82
	buffer_store_dword v81, off, s[0:3], 0 offset:24
.LBB36_296:
	s_or_b64 exec, exec, s[8:9]
	buffer_load_dword v81, off, s[0:3], 0 offset:20
	v_cmp_lt_u32_e64 s[6:7], 5, v0
	s_waitcnt vmcnt(0)
	ds_write_b32 v76, v81
	s_waitcnt lgkmcnt(0)
	; wave barrier
	s_waitcnt lgkmcnt(0)
	s_and_saveexec_b64 s[8:9], s[6:7]
	s_cbranch_execz .LBB36_306
; %bb.297:
	s_andn2_b64 vcc, exec, s[10:11]
	s_cbranch_vccnz .LBB36_299
; %bb.298:
	buffer_load_dword v81, v77, s[0:3], 0 offen
	ds_read_b32 v82, v76
	s_waitcnt vmcnt(0) lgkmcnt(0)
	v_mul_f32_e32 v81, v81, v82
	s_cbranch_execz .LBB36_300
	s_branch .LBB36_301
.LBB36_299:
                                        ; implicit-def: $vgpr81
.LBB36_300:
	ds_read_b32 v81, v76
.LBB36_301:
	s_and_saveexec_b64 s[12:13], s[4:5]
	s_cbranch_execz .LBB36_305
; %bb.302:
	v_add_u32_e32 v82, -6, v0
	s_movk_i32 s14, 0xb8
	s_mov_b64 s[4:5], 0
.LBB36_303:                             ; =>This Inner Loop Header: Depth=1
	buffer_load_dword v83, v80, s[0:3], 0 offen
	v_mov_b32_e32 v84, s14
	ds_read_b32 v84, v84
	v_add_u32_e32 v82, -1, v82
	s_add_i32 s14, s14, 4
	v_cmp_eq_u32_e32 vcc, 0, v82
	v_add_u32_e32 v80, 4, v80
	s_or_b64 s[4:5], vcc, s[4:5]
	s_waitcnt vmcnt(0) lgkmcnt(0)
	v_fmac_f32_e32 v81, v83, v84
	s_andn2_b64 exec, exec, s[4:5]
	s_cbranch_execnz .LBB36_303
; %bb.304:
	s_or_b64 exec, exec, s[4:5]
.LBB36_305:
	s_or_b64 exec, exec, s[12:13]
	v_mov_b32_e32 v80, 0
	ds_read_b32 v80, v80 offset:20
	s_waitcnt lgkmcnt(0)
	v_mul_f32_e32 v80, v81, v80
	buffer_store_dword v80, off, s[0:3], 0 offset:20
.LBB36_306:
	s_or_b64 exec, exec, s[8:9]
	buffer_load_dword v80, off, s[0:3], 0 offset:16
	v_cmp_lt_u32_e64 s[4:5], 4, v0
	s_waitcnt vmcnt(0)
	ds_write_b32 v76, v80
	s_waitcnt lgkmcnt(0)
	; wave barrier
	s_waitcnt lgkmcnt(0)
	s_and_saveexec_b64 s[8:9], s[4:5]
	s_cbranch_execz .LBB36_316
; %bb.307:
	s_andn2_b64 vcc, exec, s[10:11]
	s_cbranch_vccnz .LBB36_309
; %bb.308:
	buffer_load_dword v80, v77, s[0:3], 0 offen
	ds_read_b32 v81, v76
	s_waitcnt vmcnt(0) lgkmcnt(0)
	v_mul_f32_e32 v80, v80, v81
	s_cbranch_execz .LBB36_310
	s_branch .LBB36_311
.LBB36_309:
                                        ; implicit-def: $vgpr80
.LBB36_310:
	ds_read_b32 v80, v76
.LBB36_311:
	s_and_saveexec_b64 s[12:13], s[6:7]
	s_cbranch_execz .LBB36_315
; %bb.312:
	v_mov_b32_e32 v81, 0
	v_add_u32_e32 v81, 20, v81
	v_add_u32_e32 v82, -5, v0
	s_movk_i32 s14, 0xb4
	s_mov_b64 s[6:7], 0
.LBB36_313:                             ; =>This Inner Loop Header: Depth=1
	buffer_load_dword v83, v81, s[0:3], 0 offen
	v_mov_b32_e32 v84, s14
	ds_read_b32 v84, v84
	v_add_u32_e32 v82, -1, v82
	s_add_i32 s14, s14, 4
	v_cmp_eq_u32_e32 vcc, 0, v82
	v_add_u32_e32 v81, 4, v81
	s_or_b64 s[6:7], vcc, s[6:7]
	s_waitcnt vmcnt(0) lgkmcnt(0)
	v_fmac_f32_e32 v80, v83, v84
	s_andn2_b64 exec, exec, s[6:7]
	s_cbranch_execnz .LBB36_313
; %bb.314:
	s_or_b64 exec, exec, s[6:7]
.LBB36_315:
	s_or_b64 exec, exec, s[12:13]
	v_mov_b32_e32 v81, 0
	ds_read_b32 v81, v81 offset:16
	s_waitcnt lgkmcnt(0)
	v_mul_f32_e32 v80, v80, v81
	buffer_store_dword v80, off, s[0:3], 0 offset:16
.LBB36_316:
	s_or_b64 exec, exec, s[8:9]
	buffer_load_dword v80, off, s[0:3], 0 offset:12
	v_cmp_lt_u32_e64 s[6:7], 3, v0
	s_waitcnt vmcnt(0)
	ds_write_b32 v76, v80
	s_waitcnt lgkmcnt(0)
	; wave barrier
	s_waitcnt lgkmcnt(0)
	s_and_saveexec_b64 s[8:9], s[6:7]
	s_cbranch_execz .LBB36_326
; %bb.317:
	s_andn2_b64 vcc, exec, s[10:11]
	s_cbranch_vccnz .LBB36_319
; %bb.318:
	buffer_load_dword v80, v77, s[0:3], 0 offen
	ds_read_b32 v81, v76
	s_waitcnt vmcnt(0) lgkmcnt(0)
	v_mul_f32_e32 v80, v80, v81
	s_cbranch_execz .LBB36_320
	s_branch .LBB36_321
.LBB36_319:
                                        ; implicit-def: $vgpr80
.LBB36_320:
	ds_read_b32 v80, v76
.LBB36_321:
	s_and_saveexec_b64 s[12:13], s[4:5]
	s_cbranch_execz .LBB36_325
; %bb.322:
	v_add_u32_e32 v81, -4, v0
	s_movk_i32 s14, 0xb0
	s_mov_b64 s[4:5], 0
.LBB36_323:                             ; =>This Inner Loop Header: Depth=1
	buffer_load_dword v82, v79, s[0:3], 0 offen
	v_mov_b32_e32 v83, s14
	ds_read_b32 v83, v83
	v_add_u32_e32 v81, -1, v81
	s_add_i32 s14, s14, 4
	v_cmp_eq_u32_e32 vcc, 0, v81
	v_add_u32_e32 v79, 4, v79
	s_or_b64 s[4:5], vcc, s[4:5]
	s_waitcnt vmcnt(0) lgkmcnt(0)
	v_fmac_f32_e32 v80, v82, v83
	s_andn2_b64 exec, exec, s[4:5]
	s_cbranch_execnz .LBB36_323
; %bb.324:
	s_or_b64 exec, exec, s[4:5]
.LBB36_325:
	s_or_b64 exec, exec, s[12:13]
	v_mov_b32_e32 v79, 0
	ds_read_b32 v79, v79 offset:12
	s_waitcnt lgkmcnt(0)
	v_mul_f32_e32 v79, v80, v79
	buffer_store_dword v79, off, s[0:3], 0 offset:12
.LBB36_326:
	s_or_b64 exec, exec, s[8:9]
	buffer_load_dword v79, off, s[0:3], 0 offset:8
	v_cmp_lt_u32_e64 s[4:5], 2, v0
	s_waitcnt vmcnt(0)
	ds_write_b32 v76, v79
	s_waitcnt lgkmcnt(0)
	; wave barrier
	s_waitcnt lgkmcnt(0)
	s_and_saveexec_b64 s[8:9], s[4:5]
	s_cbranch_execz .LBB36_336
; %bb.327:
	s_andn2_b64 vcc, exec, s[10:11]
	s_cbranch_vccnz .LBB36_329
; %bb.328:
	buffer_load_dword v79, v77, s[0:3], 0 offen
	ds_read_b32 v80, v76
	s_waitcnt vmcnt(0) lgkmcnt(0)
	v_mul_f32_e32 v79, v79, v80
	s_cbranch_execz .LBB36_330
	s_branch .LBB36_331
.LBB36_329:
                                        ; implicit-def: $vgpr79
.LBB36_330:
	ds_read_b32 v79, v76
.LBB36_331:
	s_and_saveexec_b64 s[12:13], s[6:7]
	s_cbranch_execz .LBB36_335
; %bb.332:
	v_mov_b32_e32 v80, 0
	v_or_b32_e32 v80, 12, v80
	v_add_u32_e32 v81, -3, v0
	s_movk_i32 s14, 0xac
	s_mov_b64 s[6:7], 0
.LBB36_333:                             ; =>This Inner Loop Header: Depth=1
	buffer_load_dword v82, v80, s[0:3], 0 offen
	v_mov_b32_e32 v83, s14
	ds_read_b32 v83, v83
	v_add_u32_e32 v81, -1, v81
	s_add_i32 s14, s14, 4
	v_cmp_eq_u32_e32 vcc, 0, v81
	v_add_u32_e32 v80, 4, v80
	s_or_b64 s[6:7], vcc, s[6:7]
	s_waitcnt vmcnt(0) lgkmcnt(0)
	v_fmac_f32_e32 v79, v82, v83
	s_andn2_b64 exec, exec, s[6:7]
	s_cbranch_execnz .LBB36_333
; %bb.334:
	s_or_b64 exec, exec, s[6:7]
.LBB36_335:
	s_or_b64 exec, exec, s[12:13]
	v_mov_b32_e32 v80, 0
	ds_read_b32 v80, v80 offset:8
	s_waitcnt lgkmcnt(0)
	v_mul_f32_e32 v79, v79, v80
	buffer_store_dword v79, off, s[0:3], 0 offset:8
.LBB36_336:
	s_or_b64 exec, exec, s[8:9]
	buffer_load_dword v79, off, s[0:3], 0 offset:4
	v_cmp_lt_u32_e64 s[6:7], 1, v0
	s_waitcnt vmcnt(0)
	ds_write_b32 v76, v79
	s_waitcnt lgkmcnt(0)
	; wave barrier
	s_waitcnt lgkmcnt(0)
	s_and_saveexec_b64 s[8:9], s[6:7]
	s_cbranch_execz .LBB36_346
; %bb.337:
	s_andn2_b64 vcc, exec, s[10:11]
	s_cbranch_vccnz .LBB36_339
; %bb.338:
	buffer_load_dword v79, v77, s[0:3], 0 offen
	ds_read_b32 v80, v76
	s_waitcnt vmcnt(0) lgkmcnt(0)
	v_mul_f32_e32 v79, v79, v80
	s_cbranch_execz .LBB36_340
	s_branch .LBB36_341
.LBB36_339:
                                        ; implicit-def: $vgpr79
.LBB36_340:
	ds_read_b32 v79, v76
.LBB36_341:
	s_and_saveexec_b64 s[12:13], s[4:5]
	s_cbranch_execz .LBB36_345
; %bb.342:
	v_add_u32_e32 v80, -2, v0
	s_movk_i32 s14, 0xa8
	s_mov_b64 s[4:5], 0
.LBB36_343:                             ; =>This Inner Loop Header: Depth=1
	buffer_load_dword v81, v78, s[0:3], 0 offen
	v_mov_b32_e32 v82, s14
	ds_read_b32 v82, v82
	v_add_u32_e32 v80, -1, v80
	s_add_i32 s14, s14, 4
	v_cmp_eq_u32_e32 vcc, 0, v80
	v_add_u32_e32 v78, 4, v78
	s_or_b64 s[4:5], vcc, s[4:5]
	s_waitcnt vmcnt(0) lgkmcnt(0)
	v_fmac_f32_e32 v79, v81, v82
	s_andn2_b64 exec, exec, s[4:5]
	s_cbranch_execnz .LBB36_343
; %bb.344:
	s_or_b64 exec, exec, s[4:5]
.LBB36_345:
	s_or_b64 exec, exec, s[12:13]
	v_mov_b32_e32 v78, 0
	ds_read_b32 v78, v78 offset:4
	s_waitcnt lgkmcnt(0)
	v_mul_f32_e32 v78, v79, v78
	buffer_store_dword v78, off, s[0:3], 0 offset:4
.LBB36_346:
	s_or_b64 exec, exec, s[8:9]
	buffer_load_dword v78, off, s[0:3], 0
	v_cmp_ne_u32_e32 vcc, 0, v0
	s_waitcnt vmcnt(0)
	ds_write_b32 v76, v78
	s_waitcnt lgkmcnt(0)
	; wave barrier
	s_waitcnt lgkmcnt(0)
	s_and_saveexec_b64 s[4:5], vcc
	s_cbranch_execz .LBB36_356
; %bb.347:
	s_andn2_b64 vcc, exec, s[10:11]
	s_cbranch_vccnz .LBB36_349
; %bb.348:
	buffer_load_dword v78, v77, s[0:3], 0 offen
	ds_read_b32 v79, v76
	s_waitcnt vmcnt(0) lgkmcnt(0)
	v_mul_f32_e32 v78, v78, v79
	s_cbranch_execz .LBB36_350
	s_branch .LBB36_351
.LBB36_349:
                                        ; implicit-def: $vgpr78
.LBB36_350:
	ds_read_b32 v78, v76
.LBB36_351:
	s_and_saveexec_b64 s[8:9], s[6:7]
	s_cbranch_execz .LBB36_355
; %bb.352:
	v_mov_b32_e32 v79, 0
	v_or_b32_e32 v79, 4, v79
	v_add_u32_e32 v80, -1, v0
	s_movk_i32 s12, 0xa4
	s_mov_b64 s[6:7], 0
.LBB36_353:                             ; =>This Inner Loop Header: Depth=1
	buffer_load_dword v81, v79, s[0:3], 0 offen
	v_mov_b32_e32 v82, s12
	ds_read_b32 v82, v82
	v_add_u32_e32 v80, -1, v80
	s_add_i32 s12, s12, 4
	v_cmp_eq_u32_e32 vcc, 0, v80
	v_add_u32_e32 v79, 4, v79
	s_or_b64 s[6:7], vcc, s[6:7]
	s_waitcnt vmcnt(0) lgkmcnt(0)
	v_fmac_f32_e32 v78, v81, v82
	s_andn2_b64 exec, exec, s[6:7]
	s_cbranch_execnz .LBB36_353
; %bb.354:
	s_or_b64 exec, exec, s[6:7]
.LBB36_355:
	s_or_b64 exec, exec, s[8:9]
	v_mov_b32_e32 v79, 0
	ds_read_b32 v79, v79
	s_waitcnt lgkmcnt(0)
	v_mul_f32_e32 v78, v78, v79
	buffer_store_dword v78, off, s[0:3], 0
.LBB36_356:
	s_or_b64 exec, exec, s[4:5]
	s_mov_b64 s[4:5], 0
.LBB36_357:
	s_and_b64 vcc, exec, s[4:5]
	s_cbranch_vccz .LBB36_711
; %bb.358:
	buffer_load_dword v78, off, s[0:3], 0 offset:4
	v_cmp_eq_u32_e64 s[6:7], 0, v0
	s_waitcnt vmcnt(0)
	ds_write_b32 v76, v78
	s_waitcnt lgkmcnt(0)
	; wave barrier
	s_waitcnt lgkmcnt(0)
	s_and_saveexec_b64 s[4:5], s[6:7]
	s_cbranch_execz .LBB36_364
; %bb.359:
	s_and_b64 vcc, exec, s[10:11]
	s_cbranch_vccz .LBB36_361
; %bb.360:
	buffer_load_dword v78, v77, s[0:3], 0 offen
	ds_read_b32 v79, v76
	s_waitcnt vmcnt(0) lgkmcnt(0)
	v_mul_f32_e32 v78, v78, v79
	s_cbranch_execz .LBB36_362
	s_branch .LBB36_363
.LBB36_361:
                                        ; implicit-def: $vgpr78
.LBB36_362:
	ds_read_b32 v78, v76
.LBB36_363:
	v_mov_b32_e32 v79, 0
	ds_read_b32 v79, v79 offset:4
	s_waitcnt lgkmcnt(0)
	v_mul_f32_e32 v78, v78, v79
	buffer_store_dword v78, off, s[0:3], 0 offset:4
.LBB36_364:
	s_or_b64 exec, exec, s[4:5]
	buffer_load_dword v78, off, s[0:3], 0 offset:8
	v_cndmask_b32_e64 v79, 0, 1, s[10:11]
	v_cmp_gt_u32_e32 vcc, 2, v0
	v_cmp_ne_u32_e64 s[4:5], 1, v79
	s_waitcnt vmcnt(0)
	ds_write_b32 v76, v78
	s_waitcnt lgkmcnt(0)
	; wave barrier
	s_waitcnt lgkmcnt(0)
	s_and_saveexec_b64 s[8:9], vcc
	s_cbranch_execz .LBB36_372
; %bb.365:
	s_and_b64 vcc, exec, s[4:5]
	s_cbranch_vccnz .LBB36_367
; %bb.366:
	buffer_load_dword v78, v77, s[0:3], 0 offen
	ds_read_b32 v79, v76
	s_waitcnt vmcnt(0) lgkmcnt(0)
	v_mul_f32_e32 v78, v78, v79
	s_cbranch_execz .LBB36_368
	s_branch .LBB36_369
.LBB36_367:
                                        ; implicit-def: $vgpr78
.LBB36_368:
	ds_read_b32 v78, v76
.LBB36_369:
	s_and_saveexec_b64 s[10:11], s[6:7]
	s_cbranch_execz .LBB36_371
; %bb.370:
	buffer_load_dword v79, v77, s[0:3], 0 offen offset:4
	ds_read_b32 v80, v76 offset:4
	s_waitcnt vmcnt(0) lgkmcnt(0)
	v_fmac_f32_e32 v78, v79, v80
.LBB36_371:
	s_or_b64 exec, exec, s[10:11]
	v_mov_b32_e32 v79, 0
	ds_read_b32 v79, v79 offset:8
	s_waitcnt lgkmcnt(0)
	v_mul_f32_e32 v78, v78, v79
	buffer_store_dword v78, off, s[0:3], 0 offset:8
.LBB36_372:
	s_or_b64 exec, exec, s[8:9]
	buffer_load_dword v78, off, s[0:3], 0 offset:12
	v_cmp_gt_u32_e32 vcc, 3, v0
	s_waitcnt vmcnt(0)
	ds_write_b32 v76, v78
	s_waitcnt lgkmcnt(0)
	; wave barrier
	s_waitcnt lgkmcnt(0)
	s_and_saveexec_b64 s[8:9], vcc
	s_cbranch_execz .LBB36_380
; %bb.373:
	s_and_b64 vcc, exec, s[4:5]
	s_cbranch_vccnz .LBB36_375
; %bb.374:
	buffer_load_dword v78, v77, s[0:3], 0 offen
	ds_read_b32 v79, v76
	s_waitcnt vmcnt(0) lgkmcnt(0)
	v_mul_f32_e32 v78, v78, v79
	s_cbranch_execz .LBB36_376
	s_branch .LBB36_377
.LBB36_375:
                                        ; implicit-def: $vgpr78
.LBB36_376:
	ds_read_b32 v78, v76
.LBB36_377:
	v_cmp_ne_u32_e32 vcc, 2, v0
	s_and_saveexec_b64 s[10:11], vcc
	s_cbranch_execz .LBB36_379
; %bb.378:
	buffer_load_dword v79, v77, s[0:3], 0 offen offset:4
	buffer_load_dword v80, off, s[0:3], 0 offset:8
	v_mov_b32_e32 v81, 0
	ds_read_b32 v82, v76 offset:4
	ds_read_b32 v81, v81 offset:168
	s_waitcnt vmcnt(1) lgkmcnt(1)
	v_fmac_f32_e32 v78, v79, v82
	s_waitcnt vmcnt(0) lgkmcnt(0)
	v_fma_f32 v79, v80, v81, v78
	v_cndmask_b32_e64 v78, v78, v79, s[6:7]
.LBB36_379:
	s_or_b64 exec, exec, s[10:11]
	v_mov_b32_e32 v79, 0
	ds_read_b32 v79, v79 offset:12
	s_waitcnt lgkmcnt(0)
	v_mul_f32_e32 v78, v78, v79
	buffer_store_dword v78, off, s[0:3], 0 offset:12
.LBB36_380:
	s_or_b64 exec, exec, s[8:9]
	buffer_load_dword v78, off, s[0:3], 0 offset:16
	v_cmp_gt_u32_e32 vcc, 4, v0
	s_waitcnt vmcnt(0)
	ds_write_b32 v76, v78
	s_waitcnt lgkmcnt(0)
	; wave barrier
	s_waitcnt lgkmcnt(0)
	s_and_saveexec_b64 s[6:7], vcc
	s_cbranch_execz .LBB36_390
; %bb.381:
	s_and_b64 vcc, exec, s[4:5]
	s_cbranch_vccnz .LBB36_383
; %bb.382:
	buffer_load_dword v78, v77, s[0:3], 0 offen
	ds_read_b32 v79, v76
	s_waitcnt vmcnt(0) lgkmcnt(0)
	v_mul_f32_e32 v78, v78, v79
	s_cbranch_execz .LBB36_384
	s_branch .LBB36_385
.LBB36_383:
                                        ; implicit-def: $vgpr78
.LBB36_384:
	ds_read_b32 v78, v76
.LBB36_385:
	v_cmp_ne_u32_e32 vcc, 3, v0
	s_and_saveexec_b64 s[8:9], vcc
	s_cbranch_execz .LBB36_389
; %bb.386:
	v_mov_b32_e32 v80, 0
	v_add_u32_e32 v79, 0xa4, v1
	v_add3_u32 v80, v1, v80, 4
	s_mov_b64 s[10:11], 0
	v_mov_b32_e32 v81, v0
.LBB36_387:                             ; =>This Inner Loop Header: Depth=1
	buffer_load_dword v82, v80, s[0:3], 0 offen
	ds_read_b32 v83, v79
	v_add_u32_e32 v81, 1, v81
	v_cmp_lt_u32_e32 vcc, 2, v81
	v_add_u32_e32 v79, 4, v79
	v_add_u32_e32 v80, 4, v80
	s_or_b64 s[10:11], vcc, s[10:11]
	s_waitcnt vmcnt(0) lgkmcnt(0)
	v_fmac_f32_e32 v78, v82, v83
	s_andn2_b64 exec, exec, s[10:11]
	s_cbranch_execnz .LBB36_387
; %bb.388:
	s_or_b64 exec, exec, s[10:11]
.LBB36_389:
	s_or_b64 exec, exec, s[8:9]
	v_mov_b32_e32 v79, 0
	ds_read_b32 v79, v79 offset:16
	s_waitcnt lgkmcnt(0)
	v_mul_f32_e32 v78, v78, v79
	buffer_store_dword v78, off, s[0:3], 0 offset:16
.LBB36_390:
	s_or_b64 exec, exec, s[6:7]
	buffer_load_dword v78, off, s[0:3], 0 offset:20
	v_cmp_gt_u32_e32 vcc, 5, v0
	s_waitcnt vmcnt(0)
	ds_write_b32 v76, v78
	s_waitcnt lgkmcnt(0)
	; wave barrier
	s_waitcnt lgkmcnt(0)
	s_and_saveexec_b64 s[6:7], vcc
	s_cbranch_execz .LBB36_400
; %bb.391:
	s_and_b64 vcc, exec, s[4:5]
	s_cbranch_vccnz .LBB36_393
; %bb.392:
	buffer_load_dword v78, v77, s[0:3], 0 offen
	ds_read_b32 v79, v76
	s_waitcnt vmcnt(0) lgkmcnt(0)
	v_mul_f32_e32 v78, v78, v79
	s_cbranch_execz .LBB36_394
	s_branch .LBB36_395
.LBB36_393:
                                        ; implicit-def: $vgpr78
.LBB36_394:
	ds_read_b32 v78, v76
.LBB36_395:
	v_cmp_ne_u32_e32 vcc, 4, v0
	s_and_saveexec_b64 s[8:9], vcc
	s_cbranch_execz .LBB36_399
; %bb.396:
	v_mov_b32_e32 v80, 0
	v_add_u32_e32 v79, 0xa4, v1
	v_add3_u32 v80, v1, v80, 4
	s_mov_b64 s[10:11], 0
	v_mov_b32_e32 v81, v0
.LBB36_397:                             ; =>This Inner Loop Header: Depth=1
	buffer_load_dword v82, v80, s[0:3], 0 offen
	ds_read_b32 v83, v79
	v_add_u32_e32 v81, 1, v81
	v_cmp_lt_u32_e32 vcc, 3, v81
	v_add_u32_e32 v79, 4, v79
	v_add_u32_e32 v80, 4, v80
	s_or_b64 s[10:11], vcc, s[10:11]
	s_waitcnt vmcnt(0) lgkmcnt(0)
	v_fmac_f32_e32 v78, v82, v83
	s_andn2_b64 exec, exec, s[10:11]
	s_cbranch_execnz .LBB36_397
; %bb.398:
	s_or_b64 exec, exec, s[10:11]
.LBB36_399:
	s_or_b64 exec, exec, s[8:9]
	v_mov_b32_e32 v79, 0
	ds_read_b32 v79, v79 offset:20
	s_waitcnt lgkmcnt(0)
	v_mul_f32_e32 v78, v78, v79
	buffer_store_dword v78, off, s[0:3], 0 offset:20
.LBB36_400:
	;; [unrolled: 56-line block ×31, first 2 shown]
	s_or_b64 exec, exec, s[6:7]
	buffer_load_dword v78, off, s[0:3], 0 offset:140
	v_cmp_gt_u32_e64 s[6:7], 35, v0
	s_waitcnt vmcnt(0)
	ds_write_b32 v76, v78
	s_waitcnt lgkmcnt(0)
	; wave barrier
	s_waitcnt lgkmcnt(0)
	s_and_saveexec_b64 s[8:9], s[6:7]
	s_cbranch_execz .LBB36_700
; %bb.691:
	s_and_b64 vcc, exec, s[4:5]
	s_cbranch_vccnz .LBB36_693
; %bb.692:
	buffer_load_dword v78, v77, s[0:3], 0 offen
	ds_read_b32 v79, v76
	s_waitcnt vmcnt(0) lgkmcnt(0)
	v_mul_f32_e32 v78, v78, v79
	s_cbranch_execz .LBB36_694
	s_branch .LBB36_695
.LBB36_693:
                                        ; implicit-def: $vgpr78
.LBB36_694:
	ds_read_b32 v78, v76
.LBB36_695:
	v_cmp_ne_u32_e32 vcc, 34, v0
	s_and_saveexec_b64 s[10:11], vcc
	s_cbranch_execz .LBB36_699
; %bb.696:
	v_mov_b32_e32 v80, 0
	v_add_u32_e32 v79, 0xa4, v1
	v_add3_u32 v80, v1, v80, 4
	s_mov_b64 s[12:13], 0
	v_mov_b32_e32 v81, v0
.LBB36_697:                             ; =>This Inner Loop Header: Depth=1
	buffer_load_dword v82, v80, s[0:3], 0 offen
	ds_read_b32 v83, v79
	v_add_u32_e32 v81, 1, v81
	v_cmp_lt_u32_e32 vcc, 33, v81
	v_add_u32_e32 v79, 4, v79
	v_add_u32_e32 v80, 4, v80
	s_or_b64 s[12:13], vcc, s[12:13]
	s_waitcnt vmcnt(0) lgkmcnt(0)
	v_fmac_f32_e32 v78, v82, v83
	s_andn2_b64 exec, exec, s[12:13]
	s_cbranch_execnz .LBB36_697
; %bb.698:
	s_or_b64 exec, exec, s[12:13]
.LBB36_699:
	s_or_b64 exec, exec, s[10:11]
	v_mov_b32_e32 v79, 0
	ds_read_b32 v79, v79 offset:140
	s_waitcnt lgkmcnt(0)
	v_mul_f32_e32 v78, v78, v79
	buffer_store_dword v78, off, s[0:3], 0 offset:140
.LBB36_700:
	s_or_b64 exec, exec, s[8:9]
	buffer_load_dword v78, off, s[0:3], 0 offset:144
	v_cmp_ne_u32_e32 vcc, 36, v0
	s_waitcnt vmcnt(0)
	ds_write_b32 v76, v78
	s_waitcnt lgkmcnt(0)
	; wave barrier
	s_waitcnt lgkmcnt(0)
	s_and_saveexec_b64 s[8:9], vcc
	s_cbranch_execz .LBB36_710
; %bb.701:
	s_and_b64 vcc, exec, s[4:5]
	s_cbranch_vccnz .LBB36_703
; %bb.702:
	buffer_load_dword v77, v77, s[0:3], 0 offen
	ds_read_b32 v78, v76
	s_waitcnt vmcnt(0) lgkmcnt(0)
	v_mul_f32_e32 v77, v77, v78
	s_cbranch_execz .LBB36_704
	s_branch .LBB36_705
.LBB36_703:
                                        ; implicit-def: $vgpr77
.LBB36_704:
	ds_read_b32 v77, v76
.LBB36_705:
	s_and_saveexec_b64 s[4:5], s[6:7]
	s_cbranch_execz .LBB36_709
; %bb.706:
	v_mov_b32_e32 v78, 0
	v_add_u32_e32 v76, 0xa4, v1
	v_add3_u32 v1, v1, v78, 4
	s_mov_b64 s[6:7], 0
.LBB36_707:                             ; =>This Inner Loop Header: Depth=1
	buffer_load_dword v78, v1, s[0:3], 0 offen
	ds_read_b32 v79, v76
	v_add_u32_e32 v0, 1, v0
	v_cmp_lt_u32_e32 vcc, 34, v0
	v_add_u32_e32 v76, 4, v76
	v_add_u32_e32 v1, 4, v1
	s_or_b64 s[6:7], vcc, s[6:7]
	s_waitcnt vmcnt(0) lgkmcnt(0)
	v_fmac_f32_e32 v77, v78, v79
	s_andn2_b64 exec, exec, s[6:7]
	s_cbranch_execnz .LBB36_707
; %bb.708:
	s_or_b64 exec, exec, s[6:7]
.LBB36_709:
	s_or_b64 exec, exec, s[4:5]
	v_mov_b32_e32 v0, 0
	ds_read_b32 v0, v0 offset:144
	s_waitcnt lgkmcnt(0)
	v_mul_f32_e32 v0, v77, v0
	buffer_store_dword v0, off, s[0:3], 0 offset:144
.LBB36_710:
	s_or_b64 exec, exec, s[8:9]
.LBB36_711:
	buffer_load_dword v0, off, s[0:3], 0
	buffer_load_dword v1, off, s[0:3], 0 offset:4
	buffer_load_dword v76, off, s[0:3], 0 offset:8
	;; [unrolled: 1-line block ×36, first 2 shown]
	s_waitcnt vmcnt(36)
	global_store_dword v[2:3], v0, off
	s_waitcnt vmcnt(36)
	global_store_dword v[4:5], v1, off
	s_waitcnt vmcnt(36)
	global_store_dword v[6:7], v76, off
	s_waitcnt vmcnt(36)
	global_store_dword v[8:9], v77, off
	s_waitcnt vmcnt(36)
	global_store_dword v[10:11], v78, off
	s_waitcnt vmcnt(36)
	global_store_dword v[12:13], v79, off
	s_waitcnt vmcnt(36)
	global_store_dword v[14:15], v80, off
	s_waitcnt vmcnt(36)
	global_store_dword v[16:17], v81, off
	s_waitcnt vmcnt(36)
	global_store_dword v[18:19], v82, off
	s_waitcnt vmcnt(36)
	global_store_dword v[20:21], v83, off
	s_waitcnt vmcnt(36)
	global_store_dword v[22:23], v84, off
	s_waitcnt vmcnt(36)
	global_store_dword v[24:25], v85, off
	s_waitcnt vmcnt(36)
	global_store_dword v[26:27], v86, off
	s_waitcnt vmcnt(36)
	global_store_dword v[28:29], v87, off
	s_waitcnt vmcnt(36)
	global_store_dword v[30:31], v88, off
	s_waitcnt vmcnt(36)
	global_store_dword v[32:33], v89, off
	s_waitcnt vmcnt(36)
	global_store_dword v[34:35], v90, off
	s_waitcnt vmcnt(36)
	global_store_dword v[36:37], v91, off
	s_waitcnt vmcnt(36)
	global_store_dword v[38:39], v92, off
	s_waitcnt vmcnt(36)
	global_store_dword v[40:41], v93, off
	s_waitcnt vmcnt(36)
	global_store_dword v[42:43], v94, off
	s_waitcnt vmcnt(36)
	global_store_dword v[44:45], v95, off
	s_waitcnt vmcnt(36)
	global_store_dword v[46:47], v96, off
	s_waitcnt vmcnt(36)
	global_store_dword v[48:49], v97, off
	s_waitcnt vmcnt(36)
	global_store_dword v[50:51], v98, off
	s_waitcnt vmcnt(36)
	global_store_dword v[52:53], v99, off
	s_waitcnt vmcnt(36)
	global_store_dword v[54:55], v100, off
	s_waitcnt vmcnt(36)
	global_store_dword v[56:57], v101, off
	s_waitcnt vmcnt(36)
	global_store_dword v[58:59], v102, off
	s_waitcnt vmcnt(36)
	global_store_dword v[60:61], v103, off
	s_waitcnt vmcnt(36)
	global_store_dword v[62:63], v104, off
	s_waitcnt vmcnt(36)
	global_store_dword v[64:65], v105, off
	s_waitcnt vmcnt(36)
	global_store_dword v[66:67], v106, off
	s_waitcnt vmcnt(36)
	global_store_dword v[68:69], v107, off
	s_waitcnt vmcnt(36)
	global_store_dword v[70:71], v108, off
	s_waitcnt vmcnt(36)
	global_store_dword v[72:73], v109, off
	s_waitcnt vmcnt(36)
	global_store_dword v[74:75], v110, off
.LBB36_712:
	s_endpgm
	.section	.rodata,"a",@progbits
	.p2align	6, 0x0
	.amdhsa_kernel _ZN9rocsolver6v33100L18trti2_kernel_smallILi37EfPfEEv13rocblas_fill_17rocblas_diagonal_T1_iil
		.amdhsa_group_segment_fixed_size 308
		.amdhsa_private_segment_fixed_size 160
		.amdhsa_kernarg_size 32
		.amdhsa_user_sgpr_count 8
		.amdhsa_user_sgpr_private_segment_buffer 1
		.amdhsa_user_sgpr_dispatch_ptr 0
		.amdhsa_user_sgpr_queue_ptr 0
		.amdhsa_user_sgpr_kernarg_segment_ptr 1
		.amdhsa_user_sgpr_dispatch_id 0
		.amdhsa_user_sgpr_flat_scratch_init 1
		.amdhsa_user_sgpr_kernarg_preload_length 0
		.amdhsa_user_sgpr_kernarg_preload_offset 0
		.amdhsa_user_sgpr_private_segment_size 0
		.amdhsa_uses_dynamic_stack 0
		.amdhsa_system_sgpr_private_segment_wavefront_offset 1
		.amdhsa_system_sgpr_workgroup_id_x 1
		.amdhsa_system_sgpr_workgroup_id_y 0
		.amdhsa_system_sgpr_workgroup_id_z 0
		.amdhsa_system_sgpr_workgroup_info 0
		.amdhsa_system_vgpr_workitem_id 0
		.amdhsa_next_free_vgpr 114
		.amdhsa_next_free_sgpr 20
		.amdhsa_accum_offset 116
		.amdhsa_reserve_vcc 1
		.amdhsa_reserve_flat_scratch 0
		.amdhsa_float_round_mode_32 0
		.amdhsa_float_round_mode_16_64 0
		.amdhsa_float_denorm_mode_32 3
		.amdhsa_float_denorm_mode_16_64 3
		.amdhsa_dx10_clamp 1
		.amdhsa_ieee_mode 1
		.amdhsa_fp16_overflow 0
		.amdhsa_tg_split 0
		.amdhsa_exception_fp_ieee_invalid_op 0
		.amdhsa_exception_fp_denorm_src 0
		.amdhsa_exception_fp_ieee_div_zero 0
		.amdhsa_exception_fp_ieee_overflow 0
		.amdhsa_exception_fp_ieee_underflow 0
		.amdhsa_exception_fp_ieee_inexact 0
		.amdhsa_exception_int_div_zero 0
	.end_amdhsa_kernel
	.section	.text._ZN9rocsolver6v33100L18trti2_kernel_smallILi37EfPfEEv13rocblas_fill_17rocblas_diagonal_T1_iil,"axG",@progbits,_ZN9rocsolver6v33100L18trti2_kernel_smallILi37EfPfEEv13rocblas_fill_17rocblas_diagonal_T1_iil,comdat
.Lfunc_end36:
	.size	_ZN9rocsolver6v33100L18trti2_kernel_smallILi37EfPfEEv13rocblas_fill_17rocblas_diagonal_T1_iil, .Lfunc_end36-_ZN9rocsolver6v33100L18trti2_kernel_smallILi37EfPfEEv13rocblas_fill_17rocblas_diagonal_T1_iil
                                        ; -- End function
	.section	.AMDGPU.csdata,"",@progbits
; Kernel info:
; codeLenInByte = 18104
; NumSgprs: 24
; NumVgprs: 114
; NumAgprs: 0
; TotalNumVgprs: 114
; ScratchSize: 160
; MemoryBound: 0
; FloatMode: 240
; IeeeMode: 1
; LDSByteSize: 308 bytes/workgroup (compile time only)
; SGPRBlocks: 2
; VGPRBlocks: 14
; NumSGPRsForWavesPerEU: 24
; NumVGPRsForWavesPerEU: 114
; AccumOffset: 116
; Occupancy: 4
; WaveLimiterHint : 0
; COMPUTE_PGM_RSRC2:SCRATCH_EN: 1
; COMPUTE_PGM_RSRC2:USER_SGPR: 8
; COMPUTE_PGM_RSRC2:TRAP_HANDLER: 0
; COMPUTE_PGM_RSRC2:TGID_X_EN: 1
; COMPUTE_PGM_RSRC2:TGID_Y_EN: 0
; COMPUTE_PGM_RSRC2:TGID_Z_EN: 0
; COMPUTE_PGM_RSRC2:TIDIG_COMP_CNT: 0
; COMPUTE_PGM_RSRC3_GFX90A:ACCUM_OFFSET: 28
; COMPUTE_PGM_RSRC3_GFX90A:TG_SPLIT: 0
	.section	.text._ZN9rocsolver6v33100L18trti2_kernel_smallILi38EfPfEEv13rocblas_fill_17rocblas_diagonal_T1_iil,"axG",@progbits,_ZN9rocsolver6v33100L18trti2_kernel_smallILi38EfPfEEv13rocblas_fill_17rocblas_diagonal_T1_iil,comdat
	.globl	_ZN9rocsolver6v33100L18trti2_kernel_smallILi38EfPfEEv13rocblas_fill_17rocblas_diagonal_T1_iil ; -- Begin function _ZN9rocsolver6v33100L18trti2_kernel_smallILi38EfPfEEv13rocblas_fill_17rocblas_diagonal_T1_iil
	.p2align	8
	.type	_ZN9rocsolver6v33100L18trti2_kernel_smallILi38EfPfEEv13rocblas_fill_17rocblas_diagonal_T1_iil,@function
_ZN9rocsolver6v33100L18trti2_kernel_smallILi38EfPfEEv13rocblas_fill_17rocblas_diagonal_T1_iil: ; @_ZN9rocsolver6v33100L18trti2_kernel_smallILi38EfPfEEv13rocblas_fill_17rocblas_diagonal_T1_iil
; %bb.0:
	s_add_u32 s0, s0, s9
	s_addc_u32 s1, s1, 0
	v_cmp_gt_u32_e32 vcc, 38, v0
	s_and_saveexec_b64 s[6:7], vcc
	s_cbranch_execz .LBB37_732
; %bb.1:
	s_load_dwordx8 s[12:19], s[4:5], 0x0
	s_ashr_i32 s6, s8, 31
	s_waitcnt lgkmcnt(0)
	s_mul_i32 s7, s8, s19
	s_mul_hi_u32 s9, s8, s18
	s_add_i32 s7, s9, s7
	s_mul_i32 s6, s6, s18
	s_add_i32 s7, s7, s6
	s_mul_i32 s6, s8, s18
	s_ashr_i32 s5, s16, 31
	s_lshl_b64 s[6:7], s[6:7], 2
	s_mov_b32 s4, s16
	s_add_u32 s6, s14, s6
	s_addc_u32 s7, s15, s7
	s_lshl_b64 s[4:5], s[4:5], 2
	s_add_u32 s4, s6, s4
	s_addc_u32 s5, s7, s5
	s_add_i32 s6, s17, s17
	v_add_u32_e32 v4, s6, v0
	v_ashrrev_i32_e32 v5, 31, v4
	v_lshlrev_b64 v[2:3], 2, v[4:5]
	v_add_u32_e32 v6, s17, v4
	v_mov_b32_e32 v1, s5
	v_add_co_u32_e32 v2, vcc, s4, v2
	v_ashrrev_i32_e32 v7, 31, v6
	v_addc_co_u32_e32 v3, vcc, v1, v3, vcc
	v_lshlrev_b64 v[4:5], 2, v[6:7]
	v_add_u32_e32 v8, s17, v6
	v_add_co_u32_e32 v4, vcc, s4, v4
	v_ashrrev_i32_e32 v9, 31, v8
	v_addc_co_u32_e32 v5, vcc, v1, v5, vcc
	v_lshlrev_b64 v[6:7], 2, v[8:9]
	v_add_u32_e32 v10, s17, v8
	v_add_co_u32_e32 v6, vcc, s4, v6
	v_ashrrev_i32_e32 v11, 31, v10
	v_addc_co_u32_e32 v7, vcc, v1, v7, vcc
	v_lshlrev_b64 v[8:9], 2, v[10:11]
	v_add_u32_e32 v12, s17, v10
	v_add_co_u32_e32 v8, vcc, s4, v8
	v_ashrrev_i32_e32 v13, 31, v12
	v_addc_co_u32_e32 v9, vcc, v1, v9, vcc
	v_lshlrev_b64 v[10:11], 2, v[12:13]
	v_add_u32_e32 v14, s17, v12
	v_add_co_u32_e32 v10, vcc, s4, v10
	v_ashrrev_i32_e32 v15, 31, v14
	v_addc_co_u32_e32 v11, vcc, v1, v11, vcc
	v_lshlrev_b64 v[12:13], 2, v[14:15]
	v_add_u32_e32 v16, s17, v14
	v_add_co_u32_e32 v12, vcc, s4, v12
	v_ashrrev_i32_e32 v17, 31, v16
	v_addc_co_u32_e32 v13, vcc, v1, v13, vcc
	v_lshlrev_b64 v[14:15], 2, v[16:17]
	v_add_u32_e32 v18, s17, v16
	v_add_co_u32_e32 v14, vcc, s4, v14
	v_ashrrev_i32_e32 v19, 31, v18
	v_addc_co_u32_e32 v15, vcc, v1, v15, vcc
	v_lshlrev_b64 v[16:17], 2, v[18:19]
	v_add_u32_e32 v20, s17, v18
	v_add_co_u32_e32 v16, vcc, s4, v16
	v_ashrrev_i32_e32 v21, 31, v20
	v_addc_co_u32_e32 v17, vcc, v1, v17, vcc
	v_lshlrev_b64 v[18:19], 2, v[20:21]
	v_add_u32_e32 v22, s17, v20
	v_add_co_u32_e32 v18, vcc, s4, v18
	v_ashrrev_i32_e32 v23, 31, v22
	v_addc_co_u32_e32 v19, vcc, v1, v19, vcc
	v_lshlrev_b64 v[20:21], 2, v[22:23]
	v_add_u32_e32 v24, s17, v22
	v_add_co_u32_e32 v20, vcc, s4, v20
	v_ashrrev_i32_e32 v25, 31, v24
	v_addc_co_u32_e32 v21, vcc, v1, v21, vcc
	v_lshlrev_b64 v[22:23], 2, v[24:25]
	v_add_u32_e32 v26, s17, v24
	v_add_co_u32_e32 v22, vcc, s4, v22
	v_ashrrev_i32_e32 v27, 31, v26
	v_addc_co_u32_e32 v23, vcc, v1, v23, vcc
	v_lshlrev_b64 v[24:25], 2, v[26:27]
	v_add_u32_e32 v28, s17, v26
	v_add_co_u32_e32 v24, vcc, s4, v24
	v_ashrrev_i32_e32 v29, 31, v28
	v_addc_co_u32_e32 v25, vcc, v1, v25, vcc
	v_lshlrev_b64 v[26:27], 2, v[28:29]
	v_add_u32_e32 v30, s17, v28
	v_add_co_u32_e32 v26, vcc, s4, v26
	v_ashrrev_i32_e32 v31, 31, v30
	v_addc_co_u32_e32 v27, vcc, v1, v27, vcc
	v_lshlrev_b64 v[28:29], 2, v[30:31]
	v_add_u32_e32 v32, s17, v30
	v_add_co_u32_e32 v28, vcc, s4, v28
	v_ashrrev_i32_e32 v33, 31, v32
	v_addc_co_u32_e32 v29, vcc, v1, v29, vcc
	v_lshlrev_b64 v[30:31], 2, v[32:33]
	v_add_u32_e32 v34, s17, v32
	v_add_co_u32_e32 v30, vcc, s4, v30
	v_ashrrev_i32_e32 v35, 31, v34
	v_addc_co_u32_e32 v31, vcc, v1, v31, vcc
	v_lshlrev_b64 v[32:33], 2, v[34:35]
	v_add_u32_e32 v36, s17, v34
	v_add_co_u32_e32 v32, vcc, s4, v32
	v_ashrrev_i32_e32 v37, 31, v36
	v_addc_co_u32_e32 v33, vcc, v1, v33, vcc
	v_lshlrev_b64 v[34:35], 2, v[36:37]
	v_add_u32_e32 v38, s17, v36
	v_add_co_u32_e32 v34, vcc, s4, v34
	v_ashrrev_i32_e32 v39, 31, v38
	v_addc_co_u32_e32 v35, vcc, v1, v35, vcc
	v_lshlrev_b64 v[36:37], 2, v[38:39]
	v_add_u32_e32 v40, s17, v38
	v_add_co_u32_e32 v36, vcc, s4, v36
	v_ashrrev_i32_e32 v41, 31, v40
	v_addc_co_u32_e32 v37, vcc, v1, v37, vcc
	v_lshlrev_b64 v[38:39], 2, v[40:41]
	v_add_u32_e32 v42, s17, v40
	v_add_co_u32_e32 v38, vcc, s4, v38
	v_ashrrev_i32_e32 v43, 31, v42
	v_addc_co_u32_e32 v39, vcc, v1, v39, vcc
	v_lshlrev_b64 v[40:41], 2, v[42:43]
	v_add_u32_e32 v44, s17, v42
	v_add_co_u32_e32 v40, vcc, s4, v40
	v_ashrrev_i32_e32 v45, 31, v44
	v_addc_co_u32_e32 v41, vcc, v1, v41, vcc
	v_lshlrev_b64 v[42:43], 2, v[44:45]
	v_add_u32_e32 v46, s17, v44
	v_add_co_u32_e32 v42, vcc, s4, v42
	v_ashrrev_i32_e32 v47, 31, v46
	v_addc_co_u32_e32 v43, vcc, v1, v43, vcc
	v_lshlrev_b64 v[44:45], 2, v[46:47]
	v_add_u32_e32 v48, s17, v46
	v_add_co_u32_e32 v44, vcc, s4, v44
	v_ashrrev_i32_e32 v49, 31, v48
	v_addc_co_u32_e32 v45, vcc, v1, v45, vcc
	v_lshlrev_b64 v[46:47], 2, v[48:49]
	v_add_u32_e32 v50, s17, v48
	v_add_co_u32_e32 v46, vcc, s4, v46
	v_ashrrev_i32_e32 v51, 31, v50
	v_addc_co_u32_e32 v47, vcc, v1, v47, vcc
	v_lshlrev_b64 v[48:49], 2, v[50:51]
	v_add_u32_e32 v52, s17, v50
	v_add_co_u32_e32 v48, vcc, s4, v48
	v_ashrrev_i32_e32 v53, 31, v52
	v_addc_co_u32_e32 v49, vcc, v1, v49, vcc
	v_lshlrev_b64 v[50:51], 2, v[52:53]
	v_add_u32_e32 v54, s17, v52
	v_add_co_u32_e32 v50, vcc, s4, v50
	v_ashrrev_i32_e32 v55, 31, v54
	v_addc_co_u32_e32 v51, vcc, v1, v51, vcc
	v_lshlrev_b64 v[52:53], 2, v[54:55]
	v_add_u32_e32 v56, s17, v54
	v_add_co_u32_e32 v52, vcc, s4, v52
	v_ashrrev_i32_e32 v57, 31, v56
	v_addc_co_u32_e32 v53, vcc, v1, v53, vcc
	v_lshlrev_b64 v[54:55], 2, v[56:57]
	v_add_u32_e32 v58, s17, v56
	v_add_co_u32_e32 v54, vcc, s4, v54
	v_ashrrev_i32_e32 v59, 31, v58
	v_addc_co_u32_e32 v55, vcc, v1, v55, vcc
	v_lshlrev_b64 v[56:57], 2, v[58:59]
	v_add_u32_e32 v60, s17, v58
	v_add_co_u32_e32 v56, vcc, s4, v56
	v_ashrrev_i32_e32 v61, 31, v60
	v_addc_co_u32_e32 v57, vcc, v1, v57, vcc
	v_lshlrev_b64 v[58:59], 2, v[60:61]
	v_add_u32_e32 v62, s17, v60
	v_add_co_u32_e32 v58, vcc, s4, v58
	v_ashrrev_i32_e32 v63, 31, v62
	v_addc_co_u32_e32 v59, vcc, v1, v59, vcc
	v_lshlrev_b64 v[60:61], 2, v[62:63]
	v_add_u32_e32 v64, s17, v62
	v_add_co_u32_e32 v60, vcc, s4, v60
	v_ashrrev_i32_e32 v65, 31, v64
	v_addc_co_u32_e32 v61, vcc, v1, v61, vcc
	v_lshlrev_b64 v[62:63], 2, v[64:65]
	v_add_u32_e32 v66, s17, v64
	v_add_co_u32_e32 v62, vcc, s4, v62
	v_ashrrev_i32_e32 v67, 31, v66
	v_addc_co_u32_e32 v63, vcc, v1, v63, vcc
	v_lshlrev_b64 v[64:65], 2, v[66:67]
	v_add_u32_e32 v68, s17, v66
	v_add_co_u32_e32 v64, vcc, s4, v64
	v_ashrrev_i32_e32 v69, 31, v68
	v_addc_co_u32_e32 v65, vcc, v1, v65, vcc
	v_lshlrev_b64 v[66:67], 2, v[68:69]
	v_add_u32_e32 v70, s17, v68
	v_add_co_u32_e32 v66, vcc, s4, v66
	v_ashrrev_i32_e32 v71, 31, v70
	v_addc_co_u32_e32 v67, vcc, v1, v67, vcc
	v_lshlrev_b64 v[68:69], 2, v[70:71]
	v_add_u32_e32 v72, s17, v70
	v_add_co_u32_e32 v68, vcc, s4, v68
	v_ashrrev_i32_e32 v73, 31, v72
	v_addc_co_u32_e32 v69, vcc, v1, v69, vcc
	v_lshlrev_b64 v[70:71], 2, v[72:73]
	v_add_co_u32_e32 v70, vcc, s4, v70
	v_add_u32_e32 v72, s17, v72
	v_addc_co_u32_e32 v71, vcc, v1, v71, vcc
	v_ashrrev_i32_e32 v73, 31, v72
	v_lshlrev_b32_e32 v1, 2, v0
	v_lshlrev_b64 v[76:77], 2, v[72:73]
	v_mov_b32_e32 v73, s5
	v_add_co_u32_e32 v72, vcc, s4, v1
	s_ashr_i32 s7, s17, 31
	s_mov_b32 s6, s17
	v_addc_co_u32_e32 v73, vcc, 0, v73, vcc
	s_lshl_b64 s[6:7], s[6:7], 2
	v_mov_b32_e32 v75, s7
	v_add_co_u32_e32 v74, vcc, s6, v72
	v_addc_co_u32_e32 v75, vcc, v73, v75, vcc
	v_mov_b32_e32 v78, s5
	v_add_co_u32_e32 v76, vcc, s4, v76
	global_load_dword v79, v1, s[4:5]
	global_load_dword v80, v[74:75], off
	global_load_dword v81, v[6:7], off
	;; [unrolled: 1-line block ×14, first 2 shown]
                                        ; kill: killed $sgpr5
	global_load_dword v94, v[20:21], off
	global_load_dword v95, v[18:19], off
	;; [unrolled: 1-line block ×18, first 2 shown]
	v_addc_co_u32_e32 v77, vcc, v78, v77, vcc
	global_load_dword v78, v[64:65], off
	global_load_dword v112, v[70:71], off
	global_load_dword v113, v[68:69], off
	global_load_dword v114, v[66:67], off
	global_load_dword v115, v[76:77], off
	s_cmpk_lg_i32 s13, 0x84
	s_waitcnt vmcnt(37)
	buffer_store_dword v79, off, s[0:3], 0
	s_waitcnt vmcnt(37)
	buffer_store_dword v80, off, s[0:3], 0 offset:4
	s_waitcnt vmcnt(32)
	buffer_store_dword v86, off, s[0:3], 0 offset:12
	;; [unrolled: 2-line block ×3, first 2 shown]
	buffer_store_dword v81, off, s[0:3], 0 offset:16
	buffer_store_dword v82, off, s[0:3], 0 offset:20
	;; [unrolled: 1-line block ×5, first 2 shown]
	s_waitcnt vmcnt(37)
	buffer_store_dword v88, off, s[0:3], 0 offset:36
	s_waitcnt vmcnt(32)
	buffer_store_dword v94, off, s[0:3], 0 offset:44
	;; [unrolled: 2-line block ×3, first 2 shown]
	buffer_store_dword v89, off, s[0:3], 0 offset:48
	buffer_store_dword v90, off, s[0:3], 0 offset:52
	;; [unrolled: 1-line block ×5, first 2 shown]
	s_waitcnt vmcnt(37)
	buffer_store_dword v96, off, s[0:3], 0 offset:68
	s_waitcnt vmcnt(37)
	buffer_store_dword v97, off, s[0:3], 0 offset:72
	;; [unrolled: 2-line block ×5, first 2 shown]
	buffer_store_dword v100, off, s[0:3], 0 offset:92
	buffer_store_dword v101, off, s[0:3], 0 offset:88
	s_waitcnt vmcnt(36)
	buffer_store_dword v104, off, s[0:3], 0 offset:100
	buffer_store_dword v99, off, s[0:3], 0 offset:96
	s_waitcnt vmcnt(32)
	buffer_store_dword v110, off, s[0:3], 0 offset:108
	s_waitcnt vmcnt(32)
	buffer_store_dword v111, off, s[0:3], 0 offset:104
	buffer_store_dword v108, off, s[0:3], 0 offset:116
	;; [unrolled: 1-line block ×5, first 2 shown]
	s_waitcnt vmcnt(36)
	buffer_store_dword v78, off, s[0:3], 0 offset:132
	buffer_store_dword v105, off, s[0:3], 0 offset:128
	s_waitcnt vmcnt(36)
	buffer_store_dword v113, off, s[0:3], 0 offset:140
	s_waitcnt vmcnt(36)
	;; [unrolled: 2-line block ×3, first 2 shown]
	buffer_store_dword v115, off, s[0:3], 0 offset:148
	buffer_store_dword v112, off, s[0:3], 0 offset:144
	s_cselect_b64 s[8:9], -1, 0
	s_cmpk_eq_i32 s13, 0x84
	v_mov_b32_e32 v96, 0
	v_mov_b32_e32 v78, -1.0
	s_cbranch_scc1 .LBB37_3
; %bb.2:
	v_lshl_add_u32 v78, v0, 2, v96
	buffer_load_dword v79, v78, s[0:3], 0 offen
	s_waitcnt vmcnt(0)
	v_div_scale_f32 v80, s[4:5], v79, v79, 1.0
	v_rcp_f32_e32 v81, v80
	v_div_scale_f32 v82, vcc, 1.0, v79, 1.0
	v_fma_f32 v83, -v80, v81, 1.0
	v_fmac_f32_e32 v81, v83, v81
	v_mul_f32_e32 v83, v82, v81
	v_fma_f32 v84, -v80, v83, v82
	v_fmac_f32_e32 v83, v84, v81
	v_fma_f32 v80, -v80, v83, v82
	v_div_fmas_f32 v80, v80, v81, v83
	v_div_fixup_f32 v79, v80, v79, 1.0
	buffer_store_dword v79, v78, s[0:3], 0 offen
	v_xor_b32_e32 v78, 0x80000000, v79
.LBB37_3:
	ds_write_b32 v1, v78
	s_cmpk_eq_i32 s12, 0x79
	v_add_u32_e32 v78, 0xa0, v1
	v_add_u32_e32 v79, 0, v1
	s_mov_b64 s[4:5], -1
	s_cbranch_scc1 .LBB37_367
; %bb.4:
	buffer_load_dword v80, off, s[0:3], 0 offset:144
	v_cmp_eq_u32_e64 s[4:5], 37, v0
	s_waitcnt vmcnt(0)
	ds_write_b32 v78, v80
	s_waitcnt lgkmcnt(0)
	; wave barrier
	s_waitcnt lgkmcnt(0)
	s_and_saveexec_b64 s[6:7], s[4:5]
	s_cbranch_execz .LBB37_10
; %bb.5:
	s_and_b64 vcc, exec, s[8:9]
	s_cbranch_vccz .LBB37_7
; %bb.6:
	buffer_load_dword v80, v79, s[0:3], 0 offen
	ds_read_b32 v81, v78
	s_waitcnt vmcnt(0) lgkmcnt(0)
	v_mul_f32_e32 v80, v80, v81
	s_cbranch_execz .LBB37_8
	s_branch .LBB37_9
.LBB37_7:
                                        ; implicit-def: $vgpr80
.LBB37_8:
	ds_read_b32 v80, v78
.LBB37_9:
	v_mov_b32_e32 v81, 0
	ds_read_b32 v81, v81 offset:144
	s_waitcnt lgkmcnt(0)
	v_mul_f32_e32 v80, v80, v81
	buffer_store_dword v80, off, s[0:3], 0 offset:144
.LBB37_10:
	s_or_b64 exec, exec, s[6:7]
	buffer_load_dword v97, off, s[0:3], 0 offset:140
	v_or_b32_e32 v80, 8, v96
	v_add_u32_e32 v81, 16, v96
	v_add_u32_e32 v82, 24, v96
	v_add_u32_e32 v83, 32, v96
	v_add_u32_e32 v84, 40, v96
	v_add_u32_e32 v85, 48, v96
	v_add_u32_e32 v86, 56, v96
	v_add_u32_e32 v87, 64, v96
	v_add_u32_e32 v88, 0x48, v96
	v_add_u32_e32 v89, 0x50, v96
	v_add_u32_e32 v90, 0x58, v96
	v_add_u32_e32 v91, 0x60, v96
	v_add_u32_e32 v92, 0x68, v96
	v_add_u32_e32 v93, 0x70, v96
	v_add_u32_e32 v94, 0x78, v96
	v_add_u32_e32 v95, 0x80, v96
	v_add_u32_e32 v96, 0x88, v96
	v_cmp_lt_u32_e64 s[6:7], 35, v0
	s_waitcnt vmcnt(0)
	ds_write_b32 v78, v97
	s_waitcnt lgkmcnt(0)
	; wave barrier
	s_waitcnt lgkmcnt(0)
	s_and_saveexec_b64 s[10:11], s[6:7]
	s_cbranch_execz .LBB37_16
; %bb.11:
	s_andn2_b64 vcc, exec, s[8:9]
	s_cbranch_vccnz .LBB37_13
; %bb.12:
	buffer_load_dword v97, v79, s[0:3], 0 offen
	ds_read_b32 v98, v78
	s_waitcnt vmcnt(0) lgkmcnt(0)
	v_mul_f32_e32 v97, v97, v98
	s_cbranch_execz .LBB37_14
	s_branch .LBB37_15
.LBB37_13:
                                        ; implicit-def: $vgpr97
.LBB37_14:
	ds_read_b32 v97, v78
.LBB37_15:
	buffer_load_dword v100, off, s[0:3], 0 offset:144
	v_mov_b32_e32 v98, 0
	ds_read2_b32 v[98:99], v98 offset0:35 offset1:76
	s_waitcnt vmcnt(0) lgkmcnt(0)
	v_fma_f32 v99, v100, v99, v97
	v_cndmask_b32_e64 v97, v97, v99, s[4:5]
	v_mul_f32_e32 v97, v97, v98
	buffer_store_dword v97, off, s[0:3], 0 offset:140
.LBB37_16:
	s_or_b64 exec, exec, s[10:11]
	buffer_load_dword v97, off, s[0:3], 0 offset:136
	v_cmp_lt_u32_e64 s[4:5], 34, v0
	s_waitcnt vmcnt(0)
	ds_write_b32 v78, v97
	s_waitcnt lgkmcnt(0)
	; wave barrier
	s_waitcnt lgkmcnt(0)
	s_and_saveexec_b64 s[10:11], s[4:5]
	s_cbranch_execz .LBB37_26
; %bb.17:
	s_andn2_b64 vcc, exec, s[8:9]
	s_cbranch_vccnz .LBB37_19
; %bb.18:
	buffer_load_dword v97, v79, s[0:3], 0 offen
	ds_read_b32 v98, v78
	s_waitcnt vmcnt(0) lgkmcnt(0)
	v_mul_f32_e32 v97, v97, v98
	s_cbranch_execz .LBB37_20
	s_branch .LBB37_21
.LBB37_19:
                                        ; implicit-def: $vgpr97
.LBB37_20:
	ds_read_b32 v97, v78
.LBB37_21:
	s_and_saveexec_b64 s[12:13], s[6:7]
	s_cbranch_execz .LBB37_25
; %bb.22:
	v_mov_b32_e32 v98, 0
	v_add_u32_e32 v98, 0x8c, v98
	v_subrev_u32_e32 v99, 35, v0
	s_movk_i32 s14, 0x12c
	s_mov_b64 s[6:7], 0
.LBB37_23:                              ; =>This Inner Loop Header: Depth=1
	buffer_load_dword v100, v98, s[0:3], 0 offen
	v_mov_b32_e32 v101, s14
	ds_read_b32 v101, v101
	v_add_u32_e32 v99, -1, v99
	s_add_i32 s14, s14, 4
	v_cmp_eq_u32_e32 vcc, 0, v99
	v_add_u32_e32 v98, 4, v98
	s_or_b64 s[6:7], vcc, s[6:7]
	s_waitcnt vmcnt(0) lgkmcnt(0)
	v_fmac_f32_e32 v97, v100, v101
	s_andn2_b64 exec, exec, s[6:7]
	s_cbranch_execnz .LBB37_23
; %bb.24:
	s_or_b64 exec, exec, s[6:7]
.LBB37_25:
	s_or_b64 exec, exec, s[12:13]
	v_mov_b32_e32 v98, 0
	ds_read_b32 v98, v98 offset:136
	s_waitcnt lgkmcnt(0)
	v_mul_f32_e32 v97, v97, v98
	buffer_store_dword v97, off, s[0:3], 0 offset:136
.LBB37_26:
	s_or_b64 exec, exec, s[10:11]
	buffer_load_dword v97, off, s[0:3], 0 offset:132
	v_cmp_lt_u32_e64 s[6:7], 33, v0
	s_waitcnt vmcnt(0)
	ds_write_b32 v78, v97
	s_waitcnt lgkmcnt(0)
	; wave barrier
	s_waitcnt lgkmcnt(0)
	s_and_saveexec_b64 s[10:11], s[6:7]
	s_cbranch_execz .LBB37_36
; %bb.27:
	s_andn2_b64 vcc, exec, s[8:9]
	s_cbranch_vccnz .LBB37_29
; %bb.28:
	buffer_load_dword v97, v79, s[0:3], 0 offen
	ds_read_b32 v98, v78
	s_waitcnt vmcnt(0) lgkmcnt(0)
	v_mul_f32_e32 v97, v97, v98
	s_cbranch_execz .LBB37_30
	s_branch .LBB37_31
.LBB37_29:
                                        ; implicit-def: $vgpr97
.LBB37_30:
	ds_read_b32 v97, v78
.LBB37_31:
	s_and_saveexec_b64 s[12:13], s[4:5]
	s_cbranch_execz .LBB37_35
; %bb.32:
	v_subrev_u32_e32 v98, 34, v0
	s_movk_i32 s14, 0x128
	s_mov_b64 s[4:5], 0
.LBB37_33:                              ; =>This Inner Loop Header: Depth=1
	buffer_load_dword v99, v96, s[0:3], 0 offen
	v_mov_b32_e32 v100, s14
	ds_read_b32 v100, v100
	v_add_u32_e32 v98, -1, v98
	s_add_i32 s14, s14, 4
	v_cmp_eq_u32_e32 vcc, 0, v98
	v_add_u32_e32 v96, 4, v96
	s_or_b64 s[4:5], vcc, s[4:5]
	s_waitcnt vmcnt(0) lgkmcnt(0)
	v_fmac_f32_e32 v97, v99, v100
	s_andn2_b64 exec, exec, s[4:5]
	s_cbranch_execnz .LBB37_33
; %bb.34:
	s_or_b64 exec, exec, s[4:5]
.LBB37_35:
	s_or_b64 exec, exec, s[12:13]
	v_mov_b32_e32 v96, 0
	ds_read_b32 v96, v96 offset:132
	s_waitcnt lgkmcnt(0)
	v_mul_f32_e32 v96, v97, v96
	buffer_store_dword v96, off, s[0:3], 0 offset:132
.LBB37_36:
	s_or_b64 exec, exec, s[10:11]
	buffer_load_dword v96, off, s[0:3], 0 offset:128
	v_cmp_lt_u32_e64 s[4:5], 32, v0
	s_waitcnt vmcnt(0)
	ds_write_b32 v78, v96
	s_waitcnt lgkmcnt(0)
	; wave barrier
	s_waitcnt lgkmcnt(0)
	s_and_saveexec_b64 s[10:11], s[4:5]
	s_cbranch_execz .LBB37_46
; %bb.37:
	s_andn2_b64 vcc, exec, s[8:9]
	s_cbranch_vccnz .LBB37_39
; %bb.38:
	buffer_load_dword v96, v79, s[0:3], 0 offen
	ds_read_b32 v97, v78
	s_waitcnt vmcnt(0) lgkmcnt(0)
	v_mul_f32_e32 v96, v96, v97
	s_cbranch_execz .LBB37_40
	s_branch .LBB37_41
.LBB37_39:
                                        ; implicit-def: $vgpr96
.LBB37_40:
	ds_read_b32 v96, v78
.LBB37_41:
	s_and_saveexec_b64 s[12:13], s[6:7]
	s_cbranch_execz .LBB37_45
; %bb.42:
	v_mov_b32_e32 v97, 0
	v_add_u32_e32 v97, 0x84, v97
	v_subrev_u32_e32 v98, 33, v0
	s_movk_i32 s14, 0x124
	s_mov_b64 s[6:7], 0
.LBB37_43:                              ; =>This Inner Loop Header: Depth=1
	buffer_load_dword v99, v97, s[0:3], 0 offen
	v_mov_b32_e32 v100, s14
	ds_read_b32 v100, v100
	v_add_u32_e32 v98, -1, v98
	s_add_i32 s14, s14, 4
	v_cmp_eq_u32_e32 vcc, 0, v98
	v_add_u32_e32 v97, 4, v97
	s_or_b64 s[6:7], vcc, s[6:7]
	s_waitcnt vmcnt(0) lgkmcnt(0)
	v_fmac_f32_e32 v96, v99, v100
	s_andn2_b64 exec, exec, s[6:7]
	s_cbranch_execnz .LBB37_43
; %bb.44:
	s_or_b64 exec, exec, s[6:7]
.LBB37_45:
	s_or_b64 exec, exec, s[12:13]
	v_mov_b32_e32 v97, 0
	ds_read_b32 v97, v97 offset:128
	s_waitcnt lgkmcnt(0)
	v_mul_f32_e32 v96, v96, v97
	buffer_store_dword v96, off, s[0:3], 0 offset:128
.LBB37_46:
	s_or_b64 exec, exec, s[10:11]
	buffer_load_dword v96, off, s[0:3], 0 offset:124
	v_cmp_lt_u32_e64 s[6:7], 31, v0
	s_waitcnt vmcnt(0)
	ds_write_b32 v78, v96
	s_waitcnt lgkmcnt(0)
	; wave barrier
	s_waitcnt lgkmcnt(0)
	s_and_saveexec_b64 s[10:11], s[6:7]
	s_cbranch_execz .LBB37_56
; %bb.47:
	s_andn2_b64 vcc, exec, s[8:9]
	s_cbranch_vccnz .LBB37_49
; %bb.48:
	buffer_load_dword v96, v79, s[0:3], 0 offen
	ds_read_b32 v97, v78
	s_waitcnt vmcnt(0) lgkmcnt(0)
	v_mul_f32_e32 v96, v96, v97
	s_cbranch_execz .LBB37_50
	s_branch .LBB37_51
.LBB37_49:
                                        ; implicit-def: $vgpr96
.LBB37_50:
	ds_read_b32 v96, v78
.LBB37_51:
	s_and_saveexec_b64 s[12:13], s[4:5]
	s_cbranch_execz .LBB37_55
; %bb.52:
	v_subrev_u32_e32 v97, 32, v0
	s_movk_i32 s14, 0x120
	s_mov_b64 s[4:5], 0
.LBB37_53:                              ; =>This Inner Loop Header: Depth=1
	buffer_load_dword v98, v95, s[0:3], 0 offen
	v_mov_b32_e32 v99, s14
	ds_read_b32 v99, v99
	v_add_u32_e32 v97, -1, v97
	s_add_i32 s14, s14, 4
	v_cmp_eq_u32_e32 vcc, 0, v97
	v_add_u32_e32 v95, 4, v95
	s_or_b64 s[4:5], vcc, s[4:5]
	s_waitcnt vmcnt(0) lgkmcnt(0)
	v_fmac_f32_e32 v96, v98, v99
	s_andn2_b64 exec, exec, s[4:5]
	s_cbranch_execnz .LBB37_53
; %bb.54:
	s_or_b64 exec, exec, s[4:5]
.LBB37_55:
	s_or_b64 exec, exec, s[12:13]
	v_mov_b32_e32 v95, 0
	ds_read_b32 v95, v95 offset:124
	s_waitcnt lgkmcnt(0)
	v_mul_f32_e32 v95, v96, v95
	buffer_store_dword v95, off, s[0:3], 0 offset:124
.LBB37_56:
	s_or_b64 exec, exec, s[10:11]
	buffer_load_dword v95, off, s[0:3], 0 offset:120
	v_cmp_lt_u32_e64 s[4:5], 30, v0
	s_waitcnt vmcnt(0)
	ds_write_b32 v78, v95
	s_waitcnt lgkmcnt(0)
	; wave barrier
	s_waitcnt lgkmcnt(0)
	s_and_saveexec_b64 s[10:11], s[4:5]
	s_cbranch_execz .LBB37_66
; %bb.57:
	s_andn2_b64 vcc, exec, s[8:9]
	s_cbranch_vccnz .LBB37_59
; %bb.58:
	buffer_load_dword v95, v79, s[0:3], 0 offen
	ds_read_b32 v96, v78
	s_waitcnt vmcnt(0) lgkmcnt(0)
	v_mul_f32_e32 v95, v95, v96
	s_cbranch_execz .LBB37_60
	s_branch .LBB37_61
.LBB37_59:
                                        ; implicit-def: $vgpr95
.LBB37_60:
	ds_read_b32 v95, v78
.LBB37_61:
	s_and_saveexec_b64 s[12:13], s[6:7]
	s_cbranch_execz .LBB37_65
; %bb.62:
	v_mov_b32_e32 v96, 0
	v_add_u32_e32 v96, 0x7c, v96
	v_subrev_u32_e32 v97, 31, v0
	s_movk_i32 s14, 0x11c
	s_mov_b64 s[6:7], 0
.LBB37_63:                              ; =>This Inner Loop Header: Depth=1
	buffer_load_dword v98, v96, s[0:3], 0 offen
	v_mov_b32_e32 v99, s14
	ds_read_b32 v99, v99
	v_add_u32_e32 v97, -1, v97
	s_add_i32 s14, s14, 4
	v_cmp_eq_u32_e32 vcc, 0, v97
	v_add_u32_e32 v96, 4, v96
	s_or_b64 s[6:7], vcc, s[6:7]
	s_waitcnt vmcnt(0) lgkmcnt(0)
	v_fmac_f32_e32 v95, v98, v99
	s_andn2_b64 exec, exec, s[6:7]
	s_cbranch_execnz .LBB37_63
; %bb.64:
	s_or_b64 exec, exec, s[6:7]
.LBB37_65:
	s_or_b64 exec, exec, s[12:13]
	v_mov_b32_e32 v96, 0
	ds_read_b32 v96, v96 offset:120
	s_waitcnt lgkmcnt(0)
	v_mul_f32_e32 v95, v95, v96
	buffer_store_dword v95, off, s[0:3], 0 offset:120
.LBB37_66:
	s_or_b64 exec, exec, s[10:11]
	buffer_load_dword v95, off, s[0:3], 0 offset:116
	v_cmp_lt_u32_e64 s[6:7], 29, v0
	s_waitcnt vmcnt(0)
	ds_write_b32 v78, v95
	s_waitcnt lgkmcnt(0)
	; wave barrier
	s_waitcnt lgkmcnt(0)
	s_and_saveexec_b64 s[10:11], s[6:7]
	s_cbranch_execz .LBB37_76
; %bb.67:
	s_andn2_b64 vcc, exec, s[8:9]
	s_cbranch_vccnz .LBB37_69
; %bb.68:
	buffer_load_dword v95, v79, s[0:3], 0 offen
	ds_read_b32 v96, v78
	s_waitcnt vmcnt(0) lgkmcnt(0)
	v_mul_f32_e32 v95, v95, v96
	s_cbranch_execz .LBB37_70
	s_branch .LBB37_71
.LBB37_69:
                                        ; implicit-def: $vgpr95
.LBB37_70:
	ds_read_b32 v95, v78
.LBB37_71:
	s_and_saveexec_b64 s[12:13], s[4:5]
	s_cbranch_execz .LBB37_75
; %bb.72:
	v_subrev_u32_e32 v96, 30, v0
	s_movk_i32 s14, 0x118
	s_mov_b64 s[4:5], 0
.LBB37_73:                              ; =>This Inner Loop Header: Depth=1
	buffer_load_dword v97, v94, s[0:3], 0 offen
	v_mov_b32_e32 v98, s14
	ds_read_b32 v98, v98
	v_add_u32_e32 v96, -1, v96
	s_add_i32 s14, s14, 4
	v_cmp_eq_u32_e32 vcc, 0, v96
	v_add_u32_e32 v94, 4, v94
	s_or_b64 s[4:5], vcc, s[4:5]
	s_waitcnt vmcnt(0) lgkmcnt(0)
	v_fmac_f32_e32 v95, v97, v98
	s_andn2_b64 exec, exec, s[4:5]
	s_cbranch_execnz .LBB37_73
; %bb.74:
	s_or_b64 exec, exec, s[4:5]
.LBB37_75:
	s_or_b64 exec, exec, s[12:13]
	v_mov_b32_e32 v94, 0
	ds_read_b32 v94, v94 offset:116
	s_waitcnt lgkmcnt(0)
	v_mul_f32_e32 v94, v95, v94
	buffer_store_dword v94, off, s[0:3], 0 offset:116
.LBB37_76:
	s_or_b64 exec, exec, s[10:11]
	buffer_load_dword v94, off, s[0:3], 0 offset:112
	v_cmp_lt_u32_e64 s[4:5], 28, v0
	s_waitcnt vmcnt(0)
	ds_write_b32 v78, v94
	s_waitcnt lgkmcnt(0)
	; wave barrier
	s_waitcnt lgkmcnt(0)
	s_and_saveexec_b64 s[10:11], s[4:5]
	s_cbranch_execz .LBB37_86
; %bb.77:
	s_andn2_b64 vcc, exec, s[8:9]
	s_cbranch_vccnz .LBB37_79
; %bb.78:
	buffer_load_dword v94, v79, s[0:3], 0 offen
	ds_read_b32 v95, v78
	s_waitcnt vmcnt(0) lgkmcnt(0)
	v_mul_f32_e32 v94, v94, v95
	s_cbranch_execz .LBB37_80
	s_branch .LBB37_81
.LBB37_79:
                                        ; implicit-def: $vgpr94
.LBB37_80:
	ds_read_b32 v94, v78
.LBB37_81:
	s_and_saveexec_b64 s[12:13], s[6:7]
	s_cbranch_execz .LBB37_85
; %bb.82:
	v_mov_b32_e32 v95, 0
	v_add_u32_e32 v95, 0x74, v95
	v_subrev_u32_e32 v96, 29, v0
	s_movk_i32 s14, 0x114
	s_mov_b64 s[6:7], 0
.LBB37_83:                              ; =>This Inner Loop Header: Depth=1
	buffer_load_dword v97, v95, s[0:3], 0 offen
	v_mov_b32_e32 v98, s14
	ds_read_b32 v98, v98
	v_add_u32_e32 v96, -1, v96
	s_add_i32 s14, s14, 4
	v_cmp_eq_u32_e32 vcc, 0, v96
	v_add_u32_e32 v95, 4, v95
	s_or_b64 s[6:7], vcc, s[6:7]
	s_waitcnt vmcnt(0) lgkmcnt(0)
	v_fmac_f32_e32 v94, v97, v98
	s_andn2_b64 exec, exec, s[6:7]
	s_cbranch_execnz .LBB37_83
; %bb.84:
	s_or_b64 exec, exec, s[6:7]
.LBB37_85:
	s_or_b64 exec, exec, s[12:13]
	v_mov_b32_e32 v95, 0
	ds_read_b32 v95, v95 offset:112
	s_waitcnt lgkmcnt(0)
	v_mul_f32_e32 v94, v94, v95
	buffer_store_dword v94, off, s[0:3], 0 offset:112
.LBB37_86:
	s_or_b64 exec, exec, s[10:11]
	buffer_load_dword v94, off, s[0:3], 0 offset:108
	v_cmp_lt_u32_e64 s[6:7], 27, v0
	s_waitcnt vmcnt(0)
	ds_write_b32 v78, v94
	s_waitcnt lgkmcnt(0)
	; wave barrier
	s_waitcnt lgkmcnt(0)
	s_and_saveexec_b64 s[10:11], s[6:7]
	s_cbranch_execz .LBB37_96
; %bb.87:
	s_andn2_b64 vcc, exec, s[8:9]
	s_cbranch_vccnz .LBB37_89
; %bb.88:
	buffer_load_dword v94, v79, s[0:3], 0 offen
	ds_read_b32 v95, v78
	s_waitcnt vmcnt(0) lgkmcnt(0)
	v_mul_f32_e32 v94, v94, v95
	s_cbranch_execz .LBB37_90
	s_branch .LBB37_91
.LBB37_89:
                                        ; implicit-def: $vgpr94
.LBB37_90:
	ds_read_b32 v94, v78
.LBB37_91:
	s_and_saveexec_b64 s[12:13], s[4:5]
	s_cbranch_execz .LBB37_95
; %bb.92:
	v_subrev_u32_e32 v95, 28, v0
	s_movk_i32 s14, 0x110
	s_mov_b64 s[4:5], 0
.LBB37_93:                              ; =>This Inner Loop Header: Depth=1
	buffer_load_dword v96, v93, s[0:3], 0 offen
	v_mov_b32_e32 v97, s14
	ds_read_b32 v97, v97
	v_add_u32_e32 v95, -1, v95
	s_add_i32 s14, s14, 4
	v_cmp_eq_u32_e32 vcc, 0, v95
	v_add_u32_e32 v93, 4, v93
	s_or_b64 s[4:5], vcc, s[4:5]
	s_waitcnt vmcnt(0) lgkmcnt(0)
	v_fmac_f32_e32 v94, v96, v97
	s_andn2_b64 exec, exec, s[4:5]
	s_cbranch_execnz .LBB37_93
; %bb.94:
	s_or_b64 exec, exec, s[4:5]
.LBB37_95:
	s_or_b64 exec, exec, s[12:13]
	v_mov_b32_e32 v93, 0
	ds_read_b32 v93, v93 offset:108
	s_waitcnt lgkmcnt(0)
	v_mul_f32_e32 v93, v94, v93
	buffer_store_dword v93, off, s[0:3], 0 offset:108
.LBB37_96:
	s_or_b64 exec, exec, s[10:11]
	buffer_load_dword v93, off, s[0:3], 0 offset:104
	v_cmp_lt_u32_e64 s[4:5], 26, v0
	s_waitcnt vmcnt(0)
	ds_write_b32 v78, v93
	s_waitcnt lgkmcnt(0)
	; wave barrier
	s_waitcnt lgkmcnt(0)
	s_and_saveexec_b64 s[10:11], s[4:5]
	s_cbranch_execz .LBB37_106
; %bb.97:
	s_andn2_b64 vcc, exec, s[8:9]
	s_cbranch_vccnz .LBB37_99
; %bb.98:
	buffer_load_dword v93, v79, s[0:3], 0 offen
	ds_read_b32 v94, v78
	s_waitcnt vmcnt(0) lgkmcnt(0)
	v_mul_f32_e32 v93, v93, v94
	s_cbranch_execz .LBB37_100
	s_branch .LBB37_101
.LBB37_99:
                                        ; implicit-def: $vgpr93
.LBB37_100:
	ds_read_b32 v93, v78
.LBB37_101:
	s_and_saveexec_b64 s[12:13], s[6:7]
	s_cbranch_execz .LBB37_105
; %bb.102:
	v_mov_b32_e32 v94, 0
	v_add_u32_e32 v94, 0x6c, v94
	v_subrev_u32_e32 v95, 27, v0
	s_movk_i32 s14, 0x10c
	s_mov_b64 s[6:7], 0
.LBB37_103:                             ; =>This Inner Loop Header: Depth=1
	buffer_load_dword v96, v94, s[0:3], 0 offen
	v_mov_b32_e32 v97, s14
	ds_read_b32 v97, v97
	v_add_u32_e32 v95, -1, v95
	s_add_i32 s14, s14, 4
	v_cmp_eq_u32_e32 vcc, 0, v95
	v_add_u32_e32 v94, 4, v94
	s_or_b64 s[6:7], vcc, s[6:7]
	s_waitcnt vmcnt(0) lgkmcnt(0)
	v_fmac_f32_e32 v93, v96, v97
	s_andn2_b64 exec, exec, s[6:7]
	s_cbranch_execnz .LBB37_103
; %bb.104:
	s_or_b64 exec, exec, s[6:7]
.LBB37_105:
	s_or_b64 exec, exec, s[12:13]
	v_mov_b32_e32 v94, 0
	ds_read_b32 v94, v94 offset:104
	s_waitcnt lgkmcnt(0)
	v_mul_f32_e32 v93, v93, v94
	buffer_store_dword v93, off, s[0:3], 0 offset:104
.LBB37_106:
	s_or_b64 exec, exec, s[10:11]
	buffer_load_dword v93, off, s[0:3], 0 offset:100
	v_cmp_lt_u32_e64 s[6:7], 25, v0
	s_waitcnt vmcnt(0)
	ds_write_b32 v78, v93
	s_waitcnt lgkmcnt(0)
	; wave barrier
	s_waitcnt lgkmcnt(0)
	s_and_saveexec_b64 s[10:11], s[6:7]
	s_cbranch_execz .LBB37_116
; %bb.107:
	s_andn2_b64 vcc, exec, s[8:9]
	s_cbranch_vccnz .LBB37_109
; %bb.108:
	buffer_load_dword v93, v79, s[0:3], 0 offen
	ds_read_b32 v94, v78
	s_waitcnt vmcnt(0) lgkmcnt(0)
	v_mul_f32_e32 v93, v93, v94
	s_cbranch_execz .LBB37_110
	s_branch .LBB37_111
.LBB37_109:
                                        ; implicit-def: $vgpr93
.LBB37_110:
	ds_read_b32 v93, v78
.LBB37_111:
	s_and_saveexec_b64 s[12:13], s[4:5]
	s_cbranch_execz .LBB37_115
; %bb.112:
	v_subrev_u32_e32 v94, 26, v0
	s_movk_i32 s14, 0x108
	s_mov_b64 s[4:5], 0
.LBB37_113:                             ; =>This Inner Loop Header: Depth=1
	buffer_load_dword v95, v92, s[0:3], 0 offen
	v_mov_b32_e32 v96, s14
	ds_read_b32 v96, v96
	v_add_u32_e32 v94, -1, v94
	s_add_i32 s14, s14, 4
	v_cmp_eq_u32_e32 vcc, 0, v94
	v_add_u32_e32 v92, 4, v92
	s_or_b64 s[4:5], vcc, s[4:5]
	s_waitcnt vmcnt(0) lgkmcnt(0)
	v_fmac_f32_e32 v93, v95, v96
	s_andn2_b64 exec, exec, s[4:5]
	s_cbranch_execnz .LBB37_113
; %bb.114:
	s_or_b64 exec, exec, s[4:5]
.LBB37_115:
	s_or_b64 exec, exec, s[12:13]
	v_mov_b32_e32 v92, 0
	ds_read_b32 v92, v92 offset:100
	s_waitcnt lgkmcnt(0)
	v_mul_f32_e32 v92, v93, v92
	buffer_store_dword v92, off, s[0:3], 0 offset:100
.LBB37_116:
	s_or_b64 exec, exec, s[10:11]
	buffer_load_dword v92, off, s[0:3], 0 offset:96
	v_cmp_lt_u32_e64 s[4:5], 24, v0
	s_waitcnt vmcnt(0)
	ds_write_b32 v78, v92
	s_waitcnt lgkmcnt(0)
	; wave barrier
	s_waitcnt lgkmcnt(0)
	s_and_saveexec_b64 s[10:11], s[4:5]
	s_cbranch_execz .LBB37_126
; %bb.117:
	s_andn2_b64 vcc, exec, s[8:9]
	s_cbranch_vccnz .LBB37_119
; %bb.118:
	buffer_load_dword v92, v79, s[0:3], 0 offen
	ds_read_b32 v93, v78
	s_waitcnt vmcnt(0) lgkmcnt(0)
	v_mul_f32_e32 v92, v92, v93
	s_cbranch_execz .LBB37_120
	s_branch .LBB37_121
.LBB37_119:
                                        ; implicit-def: $vgpr92
.LBB37_120:
	ds_read_b32 v92, v78
.LBB37_121:
	s_and_saveexec_b64 s[12:13], s[6:7]
	s_cbranch_execz .LBB37_125
; %bb.122:
	v_mov_b32_e32 v93, 0
	v_add_u32_e32 v93, 0x64, v93
	v_subrev_u32_e32 v94, 25, v0
	s_movk_i32 s14, 0x104
	s_mov_b64 s[6:7], 0
.LBB37_123:                             ; =>This Inner Loop Header: Depth=1
	buffer_load_dword v95, v93, s[0:3], 0 offen
	v_mov_b32_e32 v96, s14
	ds_read_b32 v96, v96
	v_add_u32_e32 v94, -1, v94
	s_add_i32 s14, s14, 4
	v_cmp_eq_u32_e32 vcc, 0, v94
	v_add_u32_e32 v93, 4, v93
	s_or_b64 s[6:7], vcc, s[6:7]
	s_waitcnt vmcnt(0) lgkmcnt(0)
	v_fmac_f32_e32 v92, v95, v96
	s_andn2_b64 exec, exec, s[6:7]
	s_cbranch_execnz .LBB37_123
; %bb.124:
	s_or_b64 exec, exec, s[6:7]
.LBB37_125:
	s_or_b64 exec, exec, s[12:13]
	v_mov_b32_e32 v93, 0
	ds_read_b32 v93, v93 offset:96
	s_waitcnt lgkmcnt(0)
	v_mul_f32_e32 v92, v92, v93
	buffer_store_dword v92, off, s[0:3], 0 offset:96
.LBB37_126:
	s_or_b64 exec, exec, s[10:11]
	buffer_load_dword v92, off, s[0:3], 0 offset:92
	v_cmp_lt_u32_e64 s[6:7], 23, v0
	s_waitcnt vmcnt(0)
	ds_write_b32 v78, v92
	s_waitcnt lgkmcnt(0)
	; wave barrier
	s_waitcnt lgkmcnt(0)
	s_and_saveexec_b64 s[10:11], s[6:7]
	s_cbranch_execz .LBB37_136
; %bb.127:
	s_andn2_b64 vcc, exec, s[8:9]
	s_cbranch_vccnz .LBB37_129
; %bb.128:
	buffer_load_dword v92, v79, s[0:3], 0 offen
	ds_read_b32 v93, v78
	s_waitcnt vmcnt(0) lgkmcnt(0)
	v_mul_f32_e32 v92, v92, v93
	s_cbranch_execz .LBB37_130
	s_branch .LBB37_131
.LBB37_129:
                                        ; implicit-def: $vgpr92
.LBB37_130:
	ds_read_b32 v92, v78
.LBB37_131:
	s_and_saveexec_b64 s[12:13], s[4:5]
	s_cbranch_execz .LBB37_135
; %bb.132:
	v_subrev_u32_e32 v93, 24, v0
	s_movk_i32 s14, 0x100
	s_mov_b64 s[4:5], 0
.LBB37_133:                             ; =>This Inner Loop Header: Depth=1
	buffer_load_dword v94, v91, s[0:3], 0 offen
	v_mov_b32_e32 v95, s14
	ds_read_b32 v95, v95
	v_add_u32_e32 v93, -1, v93
	s_add_i32 s14, s14, 4
	v_cmp_eq_u32_e32 vcc, 0, v93
	v_add_u32_e32 v91, 4, v91
	s_or_b64 s[4:5], vcc, s[4:5]
	s_waitcnt vmcnt(0) lgkmcnt(0)
	v_fmac_f32_e32 v92, v94, v95
	s_andn2_b64 exec, exec, s[4:5]
	s_cbranch_execnz .LBB37_133
; %bb.134:
	s_or_b64 exec, exec, s[4:5]
.LBB37_135:
	s_or_b64 exec, exec, s[12:13]
	v_mov_b32_e32 v91, 0
	ds_read_b32 v91, v91 offset:92
	s_waitcnt lgkmcnt(0)
	v_mul_f32_e32 v91, v92, v91
	buffer_store_dword v91, off, s[0:3], 0 offset:92
.LBB37_136:
	s_or_b64 exec, exec, s[10:11]
	buffer_load_dword v91, off, s[0:3], 0 offset:88
	v_cmp_lt_u32_e64 s[4:5], 22, v0
	s_waitcnt vmcnt(0)
	ds_write_b32 v78, v91
	s_waitcnt lgkmcnt(0)
	; wave barrier
	s_waitcnt lgkmcnt(0)
	s_and_saveexec_b64 s[10:11], s[4:5]
	s_cbranch_execz .LBB37_146
; %bb.137:
	s_andn2_b64 vcc, exec, s[8:9]
	s_cbranch_vccnz .LBB37_139
; %bb.138:
	buffer_load_dword v91, v79, s[0:3], 0 offen
	ds_read_b32 v92, v78
	s_waitcnt vmcnt(0) lgkmcnt(0)
	v_mul_f32_e32 v91, v91, v92
	s_cbranch_execz .LBB37_140
	s_branch .LBB37_141
.LBB37_139:
                                        ; implicit-def: $vgpr91
.LBB37_140:
	ds_read_b32 v91, v78
.LBB37_141:
	s_and_saveexec_b64 s[12:13], s[6:7]
	s_cbranch_execz .LBB37_145
; %bb.142:
	v_mov_b32_e32 v92, 0
	v_add_u32_e32 v92, 0x5c, v92
	v_subrev_u32_e32 v93, 23, v0
	s_movk_i32 s14, 0xfc
	s_mov_b64 s[6:7], 0
.LBB37_143:                             ; =>This Inner Loop Header: Depth=1
	buffer_load_dword v94, v92, s[0:3], 0 offen
	v_mov_b32_e32 v95, s14
	ds_read_b32 v95, v95
	v_add_u32_e32 v93, -1, v93
	s_add_i32 s14, s14, 4
	v_cmp_eq_u32_e32 vcc, 0, v93
	v_add_u32_e32 v92, 4, v92
	s_or_b64 s[6:7], vcc, s[6:7]
	s_waitcnt vmcnt(0) lgkmcnt(0)
	v_fmac_f32_e32 v91, v94, v95
	s_andn2_b64 exec, exec, s[6:7]
	s_cbranch_execnz .LBB37_143
; %bb.144:
	s_or_b64 exec, exec, s[6:7]
.LBB37_145:
	s_or_b64 exec, exec, s[12:13]
	v_mov_b32_e32 v92, 0
	ds_read_b32 v92, v92 offset:88
	s_waitcnt lgkmcnt(0)
	v_mul_f32_e32 v91, v91, v92
	buffer_store_dword v91, off, s[0:3], 0 offset:88
.LBB37_146:
	s_or_b64 exec, exec, s[10:11]
	buffer_load_dword v91, off, s[0:3], 0 offset:84
	v_cmp_lt_u32_e64 s[6:7], 21, v0
	s_waitcnt vmcnt(0)
	ds_write_b32 v78, v91
	s_waitcnt lgkmcnt(0)
	; wave barrier
	s_waitcnt lgkmcnt(0)
	s_and_saveexec_b64 s[10:11], s[6:7]
	s_cbranch_execz .LBB37_156
; %bb.147:
	s_andn2_b64 vcc, exec, s[8:9]
	s_cbranch_vccnz .LBB37_149
; %bb.148:
	buffer_load_dword v91, v79, s[0:3], 0 offen
	ds_read_b32 v92, v78
	s_waitcnt vmcnt(0) lgkmcnt(0)
	v_mul_f32_e32 v91, v91, v92
	s_cbranch_execz .LBB37_150
	s_branch .LBB37_151
.LBB37_149:
                                        ; implicit-def: $vgpr91
.LBB37_150:
	ds_read_b32 v91, v78
.LBB37_151:
	s_and_saveexec_b64 s[12:13], s[4:5]
	s_cbranch_execz .LBB37_155
; %bb.152:
	v_subrev_u32_e32 v92, 22, v0
	s_movk_i32 s14, 0xf8
	s_mov_b64 s[4:5], 0
.LBB37_153:                             ; =>This Inner Loop Header: Depth=1
	buffer_load_dword v93, v90, s[0:3], 0 offen
	v_mov_b32_e32 v94, s14
	ds_read_b32 v94, v94
	v_add_u32_e32 v92, -1, v92
	s_add_i32 s14, s14, 4
	v_cmp_eq_u32_e32 vcc, 0, v92
	v_add_u32_e32 v90, 4, v90
	s_or_b64 s[4:5], vcc, s[4:5]
	s_waitcnt vmcnt(0) lgkmcnt(0)
	v_fmac_f32_e32 v91, v93, v94
	s_andn2_b64 exec, exec, s[4:5]
	s_cbranch_execnz .LBB37_153
; %bb.154:
	s_or_b64 exec, exec, s[4:5]
.LBB37_155:
	s_or_b64 exec, exec, s[12:13]
	v_mov_b32_e32 v90, 0
	ds_read_b32 v90, v90 offset:84
	s_waitcnt lgkmcnt(0)
	v_mul_f32_e32 v90, v91, v90
	buffer_store_dword v90, off, s[0:3], 0 offset:84
.LBB37_156:
	s_or_b64 exec, exec, s[10:11]
	buffer_load_dword v90, off, s[0:3], 0 offset:80
	v_cmp_lt_u32_e64 s[4:5], 20, v0
	s_waitcnt vmcnt(0)
	ds_write_b32 v78, v90
	s_waitcnt lgkmcnt(0)
	; wave barrier
	s_waitcnt lgkmcnt(0)
	s_and_saveexec_b64 s[10:11], s[4:5]
	s_cbranch_execz .LBB37_166
; %bb.157:
	s_andn2_b64 vcc, exec, s[8:9]
	s_cbranch_vccnz .LBB37_159
; %bb.158:
	buffer_load_dword v90, v79, s[0:3], 0 offen
	ds_read_b32 v91, v78
	s_waitcnt vmcnt(0) lgkmcnt(0)
	v_mul_f32_e32 v90, v90, v91
	s_cbranch_execz .LBB37_160
	s_branch .LBB37_161
.LBB37_159:
                                        ; implicit-def: $vgpr90
.LBB37_160:
	ds_read_b32 v90, v78
.LBB37_161:
	s_and_saveexec_b64 s[12:13], s[6:7]
	s_cbranch_execz .LBB37_165
; %bb.162:
	v_mov_b32_e32 v91, 0
	v_add_u32_e32 v91, 0x54, v91
	v_subrev_u32_e32 v92, 21, v0
	s_movk_i32 s14, 0xf4
	s_mov_b64 s[6:7], 0
.LBB37_163:                             ; =>This Inner Loop Header: Depth=1
	buffer_load_dword v93, v91, s[0:3], 0 offen
	v_mov_b32_e32 v94, s14
	ds_read_b32 v94, v94
	v_add_u32_e32 v92, -1, v92
	s_add_i32 s14, s14, 4
	v_cmp_eq_u32_e32 vcc, 0, v92
	v_add_u32_e32 v91, 4, v91
	s_or_b64 s[6:7], vcc, s[6:7]
	s_waitcnt vmcnt(0) lgkmcnt(0)
	v_fmac_f32_e32 v90, v93, v94
	s_andn2_b64 exec, exec, s[6:7]
	s_cbranch_execnz .LBB37_163
; %bb.164:
	s_or_b64 exec, exec, s[6:7]
.LBB37_165:
	s_or_b64 exec, exec, s[12:13]
	v_mov_b32_e32 v91, 0
	ds_read_b32 v91, v91 offset:80
	s_waitcnt lgkmcnt(0)
	v_mul_f32_e32 v90, v90, v91
	buffer_store_dword v90, off, s[0:3], 0 offset:80
.LBB37_166:
	s_or_b64 exec, exec, s[10:11]
	buffer_load_dword v90, off, s[0:3], 0 offset:76
	v_cmp_lt_u32_e64 s[6:7], 19, v0
	s_waitcnt vmcnt(0)
	ds_write_b32 v78, v90
	s_waitcnt lgkmcnt(0)
	; wave barrier
	s_waitcnt lgkmcnt(0)
	s_and_saveexec_b64 s[10:11], s[6:7]
	s_cbranch_execz .LBB37_176
; %bb.167:
	s_andn2_b64 vcc, exec, s[8:9]
	s_cbranch_vccnz .LBB37_169
; %bb.168:
	buffer_load_dword v90, v79, s[0:3], 0 offen
	ds_read_b32 v91, v78
	s_waitcnt vmcnt(0) lgkmcnt(0)
	v_mul_f32_e32 v90, v90, v91
	s_cbranch_execz .LBB37_170
	s_branch .LBB37_171
.LBB37_169:
                                        ; implicit-def: $vgpr90
.LBB37_170:
	ds_read_b32 v90, v78
.LBB37_171:
	s_and_saveexec_b64 s[12:13], s[4:5]
	s_cbranch_execz .LBB37_175
; %bb.172:
	v_subrev_u32_e32 v91, 20, v0
	s_movk_i32 s14, 0xf0
	s_mov_b64 s[4:5], 0
.LBB37_173:                             ; =>This Inner Loop Header: Depth=1
	buffer_load_dword v92, v89, s[0:3], 0 offen
	v_mov_b32_e32 v93, s14
	ds_read_b32 v93, v93
	v_add_u32_e32 v91, -1, v91
	s_add_i32 s14, s14, 4
	v_cmp_eq_u32_e32 vcc, 0, v91
	v_add_u32_e32 v89, 4, v89
	s_or_b64 s[4:5], vcc, s[4:5]
	s_waitcnt vmcnt(0) lgkmcnt(0)
	v_fmac_f32_e32 v90, v92, v93
	s_andn2_b64 exec, exec, s[4:5]
	s_cbranch_execnz .LBB37_173
; %bb.174:
	s_or_b64 exec, exec, s[4:5]
.LBB37_175:
	s_or_b64 exec, exec, s[12:13]
	v_mov_b32_e32 v89, 0
	ds_read_b32 v89, v89 offset:76
	s_waitcnt lgkmcnt(0)
	v_mul_f32_e32 v89, v90, v89
	buffer_store_dword v89, off, s[0:3], 0 offset:76
.LBB37_176:
	s_or_b64 exec, exec, s[10:11]
	buffer_load_dword v89, off, s[0:3], 0 offset:72
	v_cmp_lt_u32_e64 s[4:5], 18, v0
	s_waitcnt vmcnt(0)
	ds_write_b32 v78, v89
	s_waitcnt lgkmcnt(0)
	; wave barrier
	s_waitcnt lgkmcnt(0)
	s_and_saveexec_b64 s[10:11], s[4:5]
	s_cbranch_execz .LBB37_186
; %bb.177:
	s_andn2_b64 vcc, exec, s[8:9]
	s_cbranch_vccnz .LBB37_179
; %bb.178:
	buffer_load_dword v89, v79, s[0:3], 0 offen
	ds_read_b32 v90, v78
	s_waitcnt vmcnt(0) lgkmcnt(0)
	v_mul_f32_e32 v89, v89, v90
	s_cbranch_execz .LBB37_180
	s_branch .LBB37_181
.LBB37_179:
                                        ; implicit-def: $vgpr89
.LBB37_180:
	ds_read_b32 v89, v78
.LBB37_181:
	s_and_saveexec_b64 s[12:13], s[6:7]
	s_cbranch_execz .LBB37_185
; %bb.182:
	v_mov_b32_e32 v90, 0
	v_add_u32_e32 v90, 0x4c, v90
	v_subrev_u32_e32 v91, 19, v0
	s_movk_i32 s14, 0xec
	s_mov_b64 s[6:7], 0
.LBB37_183:                             ; =>This Inner Loop Header: Depth=1
	buffer_load_dword v92, v90, s[0:3], 0 offen
	v_mov_b32_e32 v93, s14
	ds_read_b32 v93, v93
	v_add_u32_e32 v91, -1, v91
	s_add_i32 s14, s14, 4
	v_cmp_eq_u32_e32 vcc, 0, v91
	v_add_u32_e32 v90, 4, v90
	s_or_b64 s[6:7], vcc, s[6:7]
	s_waitcnt vmcnt(0) lgkmcnt(0)
	v_fmac_f32_e32 v89, v92, v93
	s_andn2_b64 exec, exec, s[6:7]
	s_cbranch_execnz .LBB37_183
; %bb.184:
	s_or_b64 exec, exec, s[6:7]
.LBB37_185:
	s_or_b64 exec, exec, s[12:13]
	v_mov_b32_e32 v90, 0
	ds_read_b32 v90, v90 offset:72
	s_waitcnt lgkmcnt(0)
	v_mul_f32_e32 v89, v89, v90
	buffer_store_dword v89, off, s[0:3], 0 offset:72
.LBB37_186:
	s_or_b64 exec, exec, s[10:11]
	buffer_load_dword v89, off, s[0:3], 0 offset:68
	v_cmp_lt_u32_e64 s[6:7], 17, v0
	s_waitcnt vmcnt(0)
	ds_write_b32 v78, v89
	s_waitcnt lgkmcnt(0)
	; wave barrier
	s_waitcnt lgkmcnt(0)
	s_and_saveexec_b64 s[10:11], s[6:7]
	s_cbranch_execz .LBB37_196
; %bb.187:
	s_andn2_b64 vcc, exec, s[8:9]
	s_cbranch_vccnz .LBB37_189
; %bb.188:
	buffer_load_dword v89, v79, s[0:3], 0 offen
	ds_read_b32 v90, v78
	s_waitcnt vmcnt(0) lgkmcnt(0)
	v_mul_f32_e32 v89, v89, v90
	s_cbranch_execz .LBB37_190
	s_branch .LBB37_191
.LBB37_189:
                                        ; implicit-def: $vgpr89
.LBB37_190:
	ds_read_b32 v89, v78
.LBB37_191:
	s_and_saveexec_b64 s[12:13], s[4:5]
	s_cbranch_execz .LBB37_195
; %bb.192:
	v_subrev_u32_e32 v90, 18, v0
	s_movk_i32 s14, 0xe8
	s_mov_b64 s[4:5], 0
.LBB37_193:                             ; =>This Inner Loop Header: Depth=1
	buffer_load_dword v91, v88, s[0:3], 0 offen
	v_mov_b32_e32 v92, s14
	ds_read_b32 v92, v92
	v_add_u32_e32 v90, -1, v90
	s_add_i32 s14, s14, 4
	v_cmp_eq_u32_e32 vcc, 0, v90
	v_add_u32_e32 v88, 4, v88
	s_or_b64 s[4:5], vcc, s[4:5]
	s_waitcnt vmcnt(0) lgkmcnt(0)
	v_fmac_f32_e32 v89, v91, v92
	s_andn2_b64 exec, exec, s[4:5]
	s_cbranch_execnz .LBB37_193
; %bb.194:
	s_or_b64 exec, exec, s[4:5]
.LBB37_195:
	s_or_b64 exec, exec, s[12:13]
	v_mov_b32_e32 v88, 0
	ds_read_b32 v88, v88 offset:68
	s_waitcnt lgkmcnt(0)
	v_mul_f32_e32 v88, v89, v88
	buffer_store_dword v88, off, s[0:3], 0 offset:68
.LBB37_196:
	s_or_b64 exec, exec, s[10:11]
	buffer_load_dword v88, off, s[0:3], 0 offset:64
	v_cmp_lt_u32_e64 s[4:5], 16, v0
	s_waitcnt vmcnt(0)
	ds_write_b32 v78, v88
	s_waitcnt lgkmcnt(0)
	; wave barrier
	s_waitcnt lgkmcnt(0)
	s_and_saveexec_b64 s[10:11], s[4:5]
	s_cbranch_execz .LBB37_206
; %bb.197:
	s_andn2_b64 vcc, exec, s[8:9]
	s_cbranch_vccnz .LBB37_199
; %bb.198:
	buffer_load_dword v88, v79, s[0:3], 0 offen
	ds_read_b32 v89, v78
	s_waitcnt vmcnt(0) lgkmcnt(0)
	v_mul_f32_e32 v88, v88, v89
	s_cbranch_execz .LBB37_200
	s_branch .LBB37_201
.LBB37_199:
                                        ; implicit-def: $vgpr88
.LBB37_200:
	ds_read_b32 v88, v78
.LBB37_201:
	s_and_saveexec_b64 s[12:13], s[6:7]
	s_cbranch_execz .LBB37_205
; %bb.202:
	v_mov_b32_e32 v89, 0
	v_add_u32_e32 v89, 0x44, v89
	v_subrev_u32_e32 v90, 17, v0
	s_movk_i32 s14, 0xe4
	s_mov_b64 s[6:7], 0
.LBB37_203:                             ; =>This Inner Loop Header: Depth=1
	buffer_load_dword v91, v89, s[0:3], 0 offen
	v_mov_b32_e32 v92, s14
	ds_read_b32 v92, v92
	v_add_u32_e32 v90, -1, v90
	s_add_i32 s14, s14, 4
	v_cmp_eq_u32_e32 vcc, 0, v90
	v_add_u32_e32 v89, 4, v89
	s_or_b64 s[6:7], vcc, s[6:7]
	s_waitcnt vmcnt(0) lgkmcnt(0)
	v_fmac_f32_e32 v88, v91, v92
	s_andn2_b64 exec, exec, s[6:7]
	s_cbranch_execnz .LBB37_203
; %bb.204:
	s_or_b64 exec, exec, s[6:7]
.LBB37_205:
	s_or_b64 exec, exec, s[12:13]
	v_mov_b32_e32 v89, 0
	ds_read_b32 v89, v89 offset:64
	s_waitcnt lgkmcnt(0)
	v_mul_f32_e32 v88, v88, v89
	buffer_store_dword v88, off, s[0:3], 0 offset:64
.LBB37_206:
	s_or_b64 exec, exec, s[10:11]
	buffer_load_dword v88, off, s[0:3], 0 offset:60
	v_cmp_lt_u32_e64 s[6:7], 15, v0
	s_waitcnt vmcnt(0)
	ds_write_b32 v78, v88
	s_waitcnt lgkmcnt(0)
	; wave barrier
	s_waitcnt lgkmcnt(0)
	s_and_saveexec_b64 s[10:11], s[6:7]
	s_cbranch_execz .LBB37_216
; %bb.207:
	s_andn2_b64 vcc, exec, s[8:9]
	s_cbranch_vccnz .LBB37_209
; %bb.208:
	buffer_load_dword v88, v79, s[0:3], 0 offen
	ds_read_b32 v89, v78
	s_waitcnt vmcnt(0) lgkmcnt(0)
	v_mul_f32_e32 v88, v88, v89
	s_cbranch_execz .LBB37_210
	s_branch .LBB37_211
.LBB37_209:
                                        ; implicit-def: $vgpr88
.LBB37_210:
	ds_read_b32 v88, v78
.LBB37_211:
	s_and_saveexec_b64 s[12:13], s[4:5]
	s_cbranch_execz .LBB37_215
; %bb.212:
	v_add_u32_e32 v89, -16, v0
	s_movk_i32 s14, 0xe0
	s_mov_b64 s[4:5], 0
.LBB37_213:                             ; =>This Inner Loop Header: Depth=1
	buffer_load_dword v90, v87, s[0:3], 0 offen
	v_mov_b32_e32 v91, s14
	ds_read_b32 v91, v91
	v_add_u32_e32 v89, -1, v89
	s_add_i32 s14, s14, 4
	v_cmp_eq_u32_e32 vcc, 0, v89
	v_add_u32_e32 v87, 4, v87
	s_or_b64 s[4:5], vcc, s[4:5]
	s_waitcnt vmcnt(0) lgkmcnt(0)
	v_fmac_f32_e32 v88, v90, v91
	s_andn2_b64 exec, exec, s[4:5]
	s_cbranch_execnz .LBB37_213
; %bb.214:
	s_or_b64 exec, exec, s[4:5]
.LBB37_215:
	s_or_b64 exec, exec, s[12:13]
	v_mov_b32_e32 v87, 0
	ds_read_b32 v87, v87 offset:60
	s_waitcnt lgkmcnt(0)
	v_mul_f32_e32 v87, v88, v87
	buffer_store_dword v87, off, s[0:3], 0 offset:60
.LBB37_216:
	s_or_b64 exec, exec, s[10:11]
	buffer_load_dword v87, off, s[0:3], 0 offset:56
	v_cmp_lt_u32_e64 s[4:5], 14, v0
	s_waitcnt vmcnt(0)
	ds_write_b32 v78, v87
	s_waitcnt lgkmcnt(0)
	; wave barrier
	s_waitcnt lgkmcnt(0)
	s_and_saveexec_b64 s[10:11], s[4:5]
	s_cbranch_execz .LBB37_226
; %bb.217:
	s_andn2_b64 vcc, exec, s[8:9]
	s_cbranch_vccnz .LBB37_219
; %bb.218:
	buffer_load_dword v87, v79, s[0:3], 0 offen
	ds_read_b32 v88, v78
	s_waitcnt vmcnt(0) lgkmcnt(0)
	v_mul_f32_e32 v87, v87, v88
	s_cbranch_execz .LBB37_220
	s_branch .LBB37_221
.LBB37_219:
                                        ; implicit-def: $vgpr87
.LBB37_220:
	ds_read_b32 v87, v78
.LBB37_221:
	s_and_saveexec_b64 s[12:13], s[6:7]
	s_cbranch_execz .LBB37_225
; %bb.222:
	v_mov_b32_e32 v88, 0
	v_add_u32_e32 v88, 60, v88
	v_add_u32_e32 v89, -15, v0
	s_movk_i32 s14, 0xdc
	s_mov_b64 s[6:7], 0
.LBB37_223:                             ; =>This Inner Loop Header: Depth=1
	buffer_load_dword v90, v88, s[0:3], 0 offen
	v_mov_b32_e32 v91, s14
	ds_read_b32 v91, v91
	v_add_u32_e32 v89, -1, v89
	s_add_i32 s14, s14, 4
	v_cmp_eq_u32_e32 vcc, 0, v89
	v_add_u32_e32 v88, 4, v88
	s_or_b64 s[6:7], vcc, s[6:7]
	s_waitcnt vmcnt(0) lgkmcnt(0)
	v_fmac_f32_e32 v87, v90, v91
	s_andn2_b64 exec, exec, s[6:7]
	s_cbranch_execnz .LBB37_223
; %bb.224:
	s_or_b64 exec, exec, s[6:7]
.LBB37_225:
	s_or_b64 exec, exec, s[12:13]
	v_mov_b32_e32 v88, 0
	ds_read_b32 v88, v88 offset:56
	s_waitcnt lgkmcnt(0)
	v_mul_f32_e32 v87, v87, v88
	buffer_store_dword v87, off, s[0:3], 0 offset:56
.LBB37_226:
	s_or_b64 exec, exec, s[10:11]
	buffer_load_dword v87, off, s[0:3], 0 offset:52
	v_cmp_lt_u32_e64 s[6:7], 13, v0
	s_waitcnt vmcnt(0)
	ds_write_b32 v78, v87
	s_waitcnt lgkmcnt(0)
	; wave barrier
	s_waitcnt lgkmcnt(0)
	s_and_saveexec_b64 s[10:11], s[6:7]
	s_cbranch_execz .LBB37_236
; %bb.227:
	s_andn2_b64 vcc, exec, s[8:9]
	s_cbranch_vccnz .LBB37_229
; %bb.228:
	buffer_load_dword v87, v79, s[0:3], 0 offen
	ds_read_b32 v88, v78
	s_waitcnt vmcnt(0) lgkmcnt(0)
	v_mul_f32_e32 v87, v87, v88
	s_cbranch_execz .LBB37_230
	s_branch .LBB37_231
.LBB37_229:
                                        ; implicit-def: $vgpr87
.LBB37_230:
	ds_read_b32 v87, v78
.LBB37_231:
	s_and_saveexec_b64 s[12:13], s[4:5]
	s_cbranch_execz .LBB37_235
; %bb.232:
	v_add_u32_e32 v88, -14, v0
	s_movk_i32 s14, 0xd8
	s_mov_b64 s[4:5], 0
.LBB37_233:                             ; =>This Inner Loop Header: Depth=1
	buffer_load_dword v89, v86, s[0:3], 0 offen
	v_mov_b32_e32 v90, s14
	ds_read_b32 v90, v90
	v_add_u32_e32 v88, -1, v88
	s_add_i32 s14, s14, 4
	v_cmp_eq_u32_e32 vcc, 0, v88
	v_add_u32_e32 v86, 4, v86
	s_or_b64 s[4:5], vcc, s[4:5]
	s_waitcnt vmcnt(0) lgkmcnt(0)
	v_fmac_f32_e32 v87, v89, v90
	s_andn2_b64 exec, exec, s[4:5]
	s_cbranch_execnz .LBB37_233
; %bb.234:
	s_or_b64 exec, exec, s[4:5]
.LBB37_235:
	s_or_b64 exec, exec, s[12:13]
	v_mov_b32_e32 v86, 0
	ds_read_b32 v86, v86 offset:52
	s_waitcnt lgkmcnt(0)
	v_mul_f32_e32 v86, v87, v86
	buffer_store_dword v86, off, s[0:3], 0 offset:52
.LBB37_236:
	s_or_b64 exec, exec, s[10:11]
	buffer_load_dword v86, off, s[0:3], 0 offset:48
	v_cmp_lt_u32_e64 s[4:5], 12, v0
	s_waitcnt vmcnt(0)
	ds_write_b32 v78, v86
	s_waitcnt lgkmcnt(0)
	; wave barrier
	s_waitcnt lgkmcnt(0)
	s_and_saveexec_b64 s[10:11], s[4:5]
	s_cbranch_execz .LBB37_246
; %bb.237:
	s_andn2_b64 vcc, exec, s[8:9]
	s_cbranch_vccnz .LBB37_239
; %bb.238:
	buffer_load_dword v86, v79, s[0:3], 0 offen
	ds_read_b32 v87, v78
	s_waitcnt vmcnt(0) lgkmcnt(0)
	v_mul_f32_e32 v86, v86, v87
	s_cbranch_execz .LBB37_240
	s_branch .LBB37_241
.LBB37_239:
                                        ; implicit-def: $vgpr86
.LBB37_240:
	ds_read_b32 v86, v78
.LBB37_241:
	s_and_saveexec_b64 s[12:13], s[6:7]
	s_cbranch_execz .LBB37_245
; %bb.242:
	v_mov_b32_e32 v87, 0
	v_add_u32_e32 v87, 52, v87
	v_add_u32_e32 v88, -13, v0
	s_movk_i32 s14, 0xd4
	s_mov_b64 s[6:7], 0
.LBB37_243:                             ; =>This Inner Loop Header: Depth=1
	buffer_load_dword v89, v87, s[0:3], 0 offen
	v_mov_b32_e32 v90, s14
	ds_read_b32 v90, v90
	v_add_u32_e32 v88, -1, v88
	s_add_i32 s14, s14, 4
	v_cmp_eq_u32_e32 vcc, 0, v88
	v_add_u32_e32 v87, 4, v87
	s_or_b64 s[6:7], vcc, s[6:7]
	s_waitcnt vmcnt(0) lgkmcnt(0)
	v_fmac_f32_e32 v86, v89, v90
	s_andn2_b64 exec, exec, s[6:7]
	s_cbranch_execnz .LBB37_243
; %bb.244:
	s_or_b64 exec, exec, s[6:7]
.LBB37_245:
	s_or_b64 exec, exec, s[12:13]
	v_mov_b32_e32 v87, 0
	ds_read_b32 v87, v87 offset:48
	s_waitcnt lgkmcnt(0)
	v_mul_f32_e32 v86, v86, v87
	buffer_store_dword v86, off, s[0:3], 0 offset:48
.LBB37_246:
	s_or_b64 exec, exec, s[10:11]
	buffer_load_dword v86, off, s[0:3], 0 offset:44
	v_cmp_lt_u32_e64 s[6:7], 11, v0
	s_waitcnt vmcnt(0)
	ds_write_b32 v78, v86
	s_waitcnt lgkmcnt(0)
	; wave barrier
	s_waitcnt lgkmcnt(0)
	s_and_saveexec_b64 s[10:11], s[6:7]
	s_cbranch_execz .LBB37_256
; %bb.247:
	s_andn2_b64 vcc, exec, s[8:9]
	s_cbranch_vccnz .LBB37_249
; %bb.248:
	buffer_load_dword v86, v79, s[0:3], 0 offen
	ds_read_b32 v87, v78
	s_waitcnt vmcnt(0) lgkmcnt(0)
	v_mul_f32_e32 v86, v86, v87
	s_cbranch_execz .LBB37_250
	s_branch .LBB37_251
.LBB37_249:
                                        ; implicit-def: $vgpr86
.LBB37_250:
	ds_read_b32 v86, v78
.LBB37_251:
	s_and_saveexec_b64 s[12:13], s[4:5]
	s_cbranch_execz .LBB37_255
; %bb.252:
	v_add_u32_e32 v87, -12, v0
	s_movk_i32 s14, 0xd0
	s_mov_b64 s[4:5], 0
.LBB37_253:                             ; =>This Inner Loop Header: Depth=1
	buffer_load_dword v88, v85, s[0:3], 0 offen
	v_mov_b32_e32 v89, s14
	ds_read_b32 v89, v89
	v_add_u32_e32 v87, -1, v87
	s_add_i32 s14, s14, 4
	v_cmp_eq_u32_e32 vcc, 0, v87
	v_add_u32_e32 v85, 4, v85
	s_or_b64 s[4:5], vcc, s[4:5]
	s_waitcnt vmcnt(0) lgkmcnt(0)
	v_fmac_f32_e32 v86, v88, v89
	s_andn2_b64 exec, exec, s[4:5]
	s_cbranch_execnz .LBB37_253
; %bb.254:
	s_or_b64 exec, exec, s[4:5]
.LBB37_255:
	s_or_b64 exec, exec, s[12:13]
	v_mov_b32_e32 v85, 0
	ds_read_b32 v85, v85 offset:44
	s_waitcnt lgkmcnt(0)
	v_mul_f32_e32 v85, v86, v85
	buffer_store_dword v85, off, s[0:3], 0 offset:44
.LBB37_256:
	s_or_b64 exec, exec, s[10:11]
	buffer_load_dword v85, off, s[0:3], 0 offset:40
	v_cmp_lt_u32_e64 s[4:5], 10, v0
	s_waitcnt vmcnt(0)
	ds_write_b32 v78, v85
	s_waitcnt lgkmcnt(0)
	; wave barrier
	s_waitcnt lgkmcnt(0)
	s_and_saveexec_b64 s[10:11], s[4:5]
	s_cbranch_execz .LBB37_266
; %bb.257:
	s_andn2_b64 vcc, exec, s[8:9]
	s_cbranch_vccnz .LBB37_259
; %bb.258:
	buffer_load_dword v85, v79, s[0:3], 0 offen
	ds_read_b32 v86, v78
	s_waitcnt vmcnt(0) lgkmcnt(0)
	v_mul_f32_e32 v85, v85, v86
	s_cbranch_execz .LBB37_260
	s_branch .LBB37_261
.LBB37_259:
                                        ; implicit-def: $vgpr85
.LBB37_260:
	ds_read_b32 v85, v78
.LBB37_261:
	s_and_saveexec_b64 s[12:13], s[6:7]
	s_cbranch_execz .LBB37_265
; %bb.262:
	v_mov_b32_e32 v86, 0
	v_add_u32_e32 v86, 44, v86
	v_add_u32_e32 v87, -11, v0
	s_movk_i32 s14, 0xcc
	s_mov_b64 s[6:7], 0
.LBB37_263:                             ; =>This Inner Loop Header: Depth=1
	buffer_load_dword v88, v86, s[0:3], 0 offen
	v_mov_b32_e32 v89, s14
	ds_read_b32 v89, v89
	v_add_u32_e32 v87, -1, v87
	s_add_i32 s14, s14, 4
	v_cmp_eq_u32_e32 vcc, 0, v87
	v_add_u32_e32 v86, 4, v86
	s_or_b64 s[6:7], vcc, s[6:7]
	s_waitcnt vmcnt(0) lgkmcnt(0)
	v_fmac_f32_e32 v85, v88, v89
	s_andn2_b64 exec, exec, s[6:7]
	s_cbranch_execnz .LBB37_263
; %bb.264:
	s_or_b64 exec, exec, s[6:7]
.LBB37_265:
	s_or_b64 exec, exec, s[12:13]
	v_mov_b32_e32 v86, 0
	ds_read_b32 v86, v86 offset:40
	s_waitcnt lgkmcnt(0)
	v_mul_f32_e32 v85, v85, v86
	buffer_store_dword v85, off, s[0:3], 0 offset:40
.LBB37_266:
	s_or_b64 exec, exec, s[10:11]
	buffer_load_dword v85, off, s[0:3], 0 offset:36
	v_cmp_lt_u32_e64 s[6:7], 9, v0
	s_waitcnt vmcnt(0)
	ds_write_b32 v78, v85
	s_waitcnt lgkmcnt(0)
	; wave barrier
	s_waitcnt lgkmcnt(0)
	s_and_saveexec_b64 s[10:11], s[6:7]
	s_cbranch_execz .LBB37_276
; %bb.267:
	s_andn2_b64 vcc, exec, s[8:9]
	s_cbranch_vccnz .LBB37_269
; %bb.268:
	buffer_load_dword v85, v79, s[0:3], 0 offen
	ds_read_b32 v86, v78
	s_waitcnt vmcnt(0) lgkmcnt(0)
	v_mul_f32_e32 v85, v85, v86
	s_cbranch_execz .LBB37_270
	s_branch .LBB37_271
.LBB37_269:
                                        ; implicit-def: $vgpr85
.LBB37_270:
	ds_read_b32 v85, v78
.LBB37_271:
	s_and_saveexec_b64 s[12:13], s[4:5]
	s_cbranch_execz .LBB37_275
; %bb.272:
	v_add_u32_e32 v86, -10, v0
	s_movk_i32 s14, 0xc8
	s_mov_b64 s[4:5], 0
.LBB37_273:                             ; =>This Inner Loop Header: Depth=1
	buffer_load_dword v87, v84, s[0:3], 0 offen
	v_mov_b32_e32 v88, s14
	ds_read_b32 v88, v88
	v_add_u32_e32 v86, -1, v86
	s_add_i32 s14, s14, 4
	v_cmp_eq_u32_e32 vcc, 0, v86
	v_add_u32_e32 v84, 4, v84
	s_or_b64 s[4:5], vcc, s[4:5]
	s_waitcnt vmcnt(0) lgkmcnt(0)
	v_fmac_f32_e32 v85, v87, v88
	s_andn2_b64 exec, exec, s[4:5]
	s_cbranch_execnz .LBB37_273
; %bb.274:
	s_or_b64 exec, exec, s[4:5]
.LBB37_275:
	s_or_b64 exec, exec, s[12:13]
	v_mov_b32_e32 v84, 0
	ds_read_b32 v84, v84 offset:36
	s_waitcnt lgkmcnt(0)
	v_mul_f32_e32 v84, v85, v84
	buffer_store_dword v84, off, s[0:3], 0 offset:36
.LBB37_276:
	s_or_b64 exec, exec, s[10:11]
	buffer_load_dword v84, off, s[0:3], 0 offset:32
	v_cmp_lt_u32_e64 s[4:5], 8, v0
	s_waitcnt vmcnt(0)
	ds_write_b32 v78, v84
	s_waitcnt lgkmcnt(0)
	; wave barrier
	s_waitcnt lgkmcnt(0)
	s_and_saveexec_b64 s[10:11], s[4:5]
	s_cbranch_execz .LBB37_286
; %bb.277:
	s_andn2_b64 vcc, exec, s[8:9]
	s_cbranch_vccnz .LBB37_279
; %bb.278:
	buffer_load_dword v84, v79, s[0:3], 0 offen
	ds_read_b32 v85, v78
	s_waitcnt vmcnt(0) lgkmcnt(0)
	v_mul_f32_e32 v84, v84, v85
	s_cbranch_execz .LBB37_280
	s_branch .LBB37_281
.LBB37_279:
                                        ; implicit-def: $vgpr84
.LBB37_280:
	ds_read_b32 v84, v78
.LBB37_281:
	s_and_saveexec_b64 s[12:13], s[6:7]
	s_cbranch_execz .LBB37_285
; %bb.282:
	v_mov_b32_e32 v85, 0
	v_add_u32_e32 v85, 36, v85
	v_add_u32_e32 v86, -9, v0
	s_movk_i32 s14, 0xc4
	s_mov_b64 s[6:7], 0
.LBB37_283:                             ; =>This Inner Loop Header: Depth=1
	buffer_load_dword v87, v85, s[0:3], 0 offen
	v_mov_b32_e32 v88, s14
	ds_read_b32 v88, v88
	v_add_u32_e32 v86, -1, v86
	s_add_i32 s14, s14, 4
	v_cmp_eq_u32_e32 vcc, 0, v86
	v_add_u32_e32 v85, 4, v85
	s_or_b64 s[6:7], vcc, s[6:7]
	s_waitcnt vmcnt(0) lgkmcnt(0)
	v_fmac_f32_e32 v84, v87, v88
	s_andn2_b64 exec, exec, s[6:7]
	s_cbranch_execnz .LBB37_283
; %bb.284:
	s_or_b64 exec, exec, s[6:7]
.LBB37_285:
	s_or_b64 exec, exec, s[12:13]
	v_mov_b32_e32 v85, 0
	ds_read_b32 v85, v85 offset:32
	s_waitcnt lgkmcnt(0)
	v_mul_f32_e32 v84, v84, v85
	buffer_store_dword v84, off, s[0:3], 0 offset:32
.LBB37_286:
	s_or_b64 exec, exec, s[10:11]
	buffer_load_dword v84, off, s[0:3], 0 offset:28
	v_cmp_lt_u32_e64 s[6:7], 7, v0
	s_waitcnt vmcnt(0)
	ds_write_b32 v78, v84
	s_waitcnt lgkmcnt(0)
	; wave barrier
	s_waitcnt lgkmcnt(0)
	s_and_saveexec_b64 s[10:11], s[6:7]
	s_cbranch_execz .LBB37_296
; %bb.287:
	s_andn2_b64 vcc, exec, s[8:9]
	s_cbranch_vccnz .LBB37_289
; %bb.288:
	buffer_load_dword v84, v79, s[0:3], 0 offen
	ds_read_b32 v85, v78
	s_waitcnt vmcnt(0) lgkmcnt(0)
	v_mul_f32_e32 v84, v84, v85
	s_cbranch_execz .LBB37_290
	s_branch .LBB37_291
.LBB37_289:
                                        ; implicit-def: $vgpr84
.LBB37_290:
	ds_read_b32 v84, v78
.LBB37_291:
	s_and_saveexec_b64 s[12:13], s[4:5]
	s_cbranch_execz .LBB37_295
; %bb.292:
	v_add_u32_e32 v85, -8, v0
	s_movk_i32 s14, 0xc0
	s_mov_b64 s[4:5], 0
.LBB37_293:                             ; =>This Inner Loop Header: Depth=1
	buffer_load_dword v86, v83, s[0:3], 0 offen
	v_mov_b32_e32 v87, s14
	ds_read_b32 v87, v87
	v_add_u32_e32 v85, -1, v85
	s_add_i32 s14, s14, 4
	v_cmp_eq_u32_e32 vcc, 0, v85
	v_add_u32_e32 v83, 4, v83
	s_or_b64 s[4:5], vcc, s[4:5]
	s_waitcnt vmcnt(0) lgkmcnt(0)
	v_fmac_f32_e32 v84, v86, v87
	s_andn2_b64 exec, exec, s[4:5]
	s_cbranch_execnz .LBB37_293
; %bb.294:
	s_or_b64 exec, exec, s[4:5]
.LBB37_295:
	s_or_b64 exec, exec, s[12:13]
	v_mov_b32_e32 v83, 0
	ds_read_b32 v83, v83 offset:28
	s_waitcnt lgkmcnt(0)
	v_mul_f32_e32 v83, v84, v83
	buffer_store_dword v83, off, s[0:3], 0 offset:28
.LBB37_296:
	s_or_b64 exec, exec, s[10:11]
	buffer_load_dword v83, off, s[0:3], 0 offset:24
	v_cmp_lt_u32_e64 s[4:5], 6, v0
	s_waitcnt vmcnt(0)
	ds_write_b32 v78, v83
	s_waitcnt lgkmcnt(0)
	; wave barrier
	s_waitcnt lgkmcnt(0)
	s_and_saveexec_b64 s[10:11], s[4:5]
	s_cbranch_execz .LBB37_306
; %bb.297:
	s_andn2_b64 vcc, exec, s[8:9]
	s_cbranch_vccnz .LBB37_299
; %bb.298:
	buffer_load_dword v83, v79, s[0:3], 0 offen
	ds_read_b32 v84, v78
	s_waitcnt vmcnt(0) lgkmcnt(0)
	v_mul_f32_e32 v83, v83, v84
	s_cbranch_execz .LBB37_300
	s_branch .LBB37_301
.LBB37_299:
                                        ; implicit-def: $vgpr83
.LBB37_300:
	ds_read_b32 v83, v78
.LBB37_301:
	s_and_saveexec_b64 s[12:13], s[6:7]
	s_cbranch_execz .LBB37_305
; %bb.302:
	v_mov_b32_e32 v84, 0
	v_add_u32_e32 v84, 28, v84
	v_add_u32_e32 v85, -7, v0
	s_movk_i32 s14, 0xbc
	s_mov_b64 s[6:7], 0
.LBB37_303:                             ; =>This Inner Loop Header: Depth=1
	buffer_load_dword v86, v84, s[0:3], 0 offen
	v_mov_b32_e32 v87, s14
	ds_read_b32 v87, v87
	v_add_u32_e32 v85, -1, v85
	s_add_i32 s14, s14, 4
	v_cmp_eq_u32_e32 vcc, 0, v85
	v_add_u32_e32 v84, 4, v84
	s_or_b64 s[6:7], vcc, s[6:7]
	s_waitcnt vmcnt(0) lgkmcnt(0)
	v_fmac_f32_e32 v83, v86, v87
	s_andn2_b64 exec, exec, s[6:7]
	s_cbranch_execnz .LBB37_303
; %bb.304:
	s_or_b64 exec, exec, s[6:7]
.LBB37_305:
	s_or_b64 exec, exec, s[12:13]
	v_mov_b32_e32 v84, 0
	ds_read_b32 v84, v84 offset:24
	s_waitcnt lgkmcnt(0)
	v_mul_f32_e32 v83, v83, v84
	buffer_store_dword v83, off, s[0:3], 0 offset:24
.LBB37_306:
	s_or_b64 exec, exec, s[10:11]
	buffer_load_dword v83, off, s[0:3], 0 offset:20
	v_cmp_lt_u32_e64 s[6:7], 5, v0
	s_waitcnt vmcnt(0)
	ds_write_b32 v78, v83
	s_waitcnt lgkmcnt(0)
	; wave barrier
	s_waitcnt lgkmcnt(0)
	s_and_saveexec_b64 s[10:11], s[6:7]
	s_cbranch_execz .LBB37_316
; %bb.307:
	s_andn2_b64 vcc, exec, s[8:9]
	s_cbranch_vccnz .LBB37_309
; %bb.308:
	buffer_load_dword v83, v79, s[0:3], 0 offen
	ds_read_b32 v84, v78
	s_waitcnt vmcnt(0) lgkmcnt(0)
	v_mul_f32_e32 v83, v83, v84
	s_cbranch_execz .LBB37_310
	s_branch .LBB37_311
.LBB37_309:
                                        ; implicit-def: $vgpr83
.LBB37_310:
	ds_read_b32 v83, v78
.LBB37_311:
	s_and_saveexec_b64 s[12:13], s[4:5]
	s_cbranch_execz .LBB37_315
; %bb.312:
	v_add_u32_e32 v84, -6, v0
	s_movk_i32 s14, 0xb8
	s_mov_b64 s[4:5], 0
.LBB37_313:                             ; =>This Inner Loop Header: Depth=1
	buffer_load_dword v85, v82, s[0:3], 0 offen
	v_mov_b32_e32 v86, s14
	ds_read_b32 v86, v86
	v_add_u32_e32 v84, -1, v84
	s_add_i32 s14, s14, 4
	v_cmp_eq_u32_e32 vcc, 0, v84
	v_add_u32_e32 v82, 4, v82
	s_or_b64 s[4:5], vcc, s[4:5]
	s_waitcnt vmcnt(0) lgkmcnt(0)
	v_fmac_f32_e32 v83, v85, v86
	s_andn2_b64 exec, exec, s[4:5]
	s_cbranch_execnz .LBB37_313
; %bb.314:
	s_or_b64 exec, exec, s[4:5]
.LBB37_315:
	s_or_b64 exec, exec, s[12:13]
	v_mov_b32_e32 v82, 0
	ds_read_b32 v82, v82 offset:20
	s_waitcnt lgkmcnt(0)
	v_mul_f32_e32 v82, v83, v82
	buffer_store_dword v82, off, s[0:3], 0 offset:20
.LBB37_316:
	s_or_b64 exec, exec, s[10:11]
	buffer_load_dword v82, off, s[0:3], 0 offset:16
	v_cmp_lt_u32_e64 s[4:5], 4, v0
	s_waitcnt vmcnt(0)
	ds_write_b32 v78, v82
	s_waitcnt lgkmcnt(0)
	; wave barrier
	s_waitcnt lgkmcnt(0)
	s_and_saveexec_b64 s[10:11], s[4:5]
	s_cbranch_execz .LBB37_326
; %bb.317:
	s_andn2_b64 vcc, exec, s[8:9]
	s_cbranch_vccnz .LBB37_319
; %bb.318:
	buffer_load_dword v82, v79, s[0:3], 0 offen
	ds_read_b32 v83, v78
	s_waitcnt vmcnt(0) lgkmcnt(0)
	v_mul_f32_e32 v82, v82, v83
	s_cbranch_execz .LBB37_320
	s_branch .LBB37_321
.LBB37_319:
                                        ; implicit-def: $vgpr82
.LBB37_320:
	ds_read_b32 v82, v78
.LBB37_321:
	s_and_saveexec_b64 s[12:13], s[6:7]
	s_cbranch_execz .LBB37_325
; %bb.322:
	v_mov_b32_e32 v83, 0
	v_add_u32_e32 v83, 20, v83
	v_add_u32_e32 v84, -5, v0
	s_movk_i32 s14, 0xb4
	s_mov_b64 s[6:7], 0
.LBB37_323:                             ; =>This Inner Loop Header: Depth=1
	buffer_load_dword v85, v83, s[0:3], 0 offen
	v_mov_b32_e32 v86, s14
	ds_read_b32 v86, v86
	v_add_u32_e32 v84, -1, v84
	s_add_i32 s14, s14, 4
	v_cmp_eq_u32_e32 vcc, 0, v84
	v_add_u32_e32 v83, 4, v83
	s_or_b64 s[6:7], vcc, s[6:7]
	s_waitcnt vmcnt(0) lgkmcnt(0)
	v_fmac_f32_e32 v82, v85, v86
	s_andn2_b64 exec, exec, s[6:7]
	s_cbranch_execnz .LBB37_323
; %bb.324:
	s_or_b64 exec, exec, s[6:7]
.LBB37_325:
	s_or_b64 exec, exec, s[12:13]
	v_mov_b32_e32 v83, 0
	ds_read_b32 v83, v83 offset:16
	s_waitcnt lgkmcnt(0)
	v_mul_f32_e32 v82, v82, v83
	buffer_store_dword v82, off, s[0:3], 0 offset:16
.LBB37_326:
	s_or_b64 exec, exec, s[10:11]
	buffer_load_dword v82, off, s[0:3], 0 offset:12
	v_cmp_lt_u32_e64 s[6:7], 3, v0
	s_waitcnt vmcnt(0)
	ds_write_b32 v78, v82
	s_waitcnt lgkmcnt(0)
	; wave barrier
	s_waitcnt lgkmcnt(0)
	s_and_saveexec_b64 s[10:11], s[6:7]
	s_cbranch_execz .LBB37_336
; %bb.327:
	s_andn2_b64 vcc, exec, s[8:9]
	s_cbranch_vccnz .LBB37_329
; %bb.328:
	buffer_load_dword v82, v79, s[0:3], 0 offen
	ds_read_b32 v83, v78
	s_waitcnt vmcnt(0) lgkmcnt(0)
	v_mul_f32_e32 v82, v82, v83
	s_cbranch_execz .LBB37_330
	s_branch .LBB37_331
.LBB37_329:
                                        ; implicit-def: $vgpr82
.LBB37_330:
	ds_read_b32 v82, v78
.LBB37_331:
	s_and_saveexec_b64 s[12:13], s[4:5]
	s_cbranch_execz .LBB37_335
; %bb.332:
	v_add_u32_e32 v83, -4, v0
	s_movk_i32 s14, 0xb0
	s_mov_b64 s[4:5], 0
.LBB37_333:                             ; =>This Inner Loop Header: Depth=1
	buffer_load_dword v84, v81, s[0:3], 0 offen
	v_mov_b32_e32 v85, s14
	ds_read_b32 v85, v85
	v_add_u32_e32 v83, -1, v83
	s_add_i32 s14, s14, 4
	v_cmp_eq_u32_e32 vcc, 0, v83
	v_add_u32_e32 v81, 4, v81
	s_or_b64 s[4:5], vcc, s[4:5]
	s_waitcnt vmcnt(0) lgkmcnt(0)
	v_fmac_f32_e32 v82, v84, v85
	s_andn2_b64 exec, exec, s[4:5]
	s_cbranch_execnz .LBB37_333
; %bb.334:
	s_or_b64 exec, exec, s[4:5]
.LBB37_335:
	s_or_b64 exec, exec, s[12:13]
	v_mov_b32_e32 v81, 0
	ds_read_b32 v81, v81 offset:12
	s_waitcnt lgkmcnt(0)
	v_mul_f32_e32 v81, v82, v81
	buffer_store_dword v81, off, s[0:3], 0 offset:12
.LBB37_336:
	s_or_b64 exec, exec, s[10:11]
	buffer_load_dword v81, off, s[0:3], 0 offset:8
	v_cmp_lt_u32_e64 s[4:5], 2, v0
	s_waitcnt vmcnt(0)
	ds_write_b32 v78, v81
	s_waitcnt lgkmcnt(0)
	; wave barrier
	s_waitcnt lgkmcnt(0)
	s_and_saveexec_b64 s[10:11], s[4:5]
	s_cbranch_execz .LBB37_346
; %bb.337:
	s_andn2_b64 vcc, exec, s[8:9]
	s_cbranch_vccnz .LBB37_339
; %bb.338:
	buffer_load_dword v81, v79, s[0:3], 0 offen
	ds_read_b32 v82, v78
	s_waitcnt vmcnt(0) lgkmcnt(0)
	v_mul_f32_e32 v81, v81, v82
	s_cbranch_execz .LBB37_340
	s_branch .LBB37_341
.LBB37_339:
                                        ; implicit-def: $vgpr81
.LBB37_340:
	ds_read_b32 v81, v78
.LBB37_341:
	s_and_saveexec_b64 s[12:13], s[6:7]
	s_cbranch_execz .LBB37_345
; %bb.342:
	v_mov_b32_e32 v82, 0
	v_or_b32_e32 v82, 12, v82
	v_add_u32_e32 v83, -3, v0
	s_movk_i32 s14, 0xac
	s_mov_b64 s[6:7], 0
.LBB37_343:                             ; =>This Inner Loop Header: Depth=1
	buffer_load_dword v84, v82, s[0:3], 0 offen
	v_mov_b32_e32 v85, s14
	ds_read_b32 v85, v85
	v_add_u32_e32 v83, -1, v83
	s_add_i32 s14, s14, 4
	v_cmp_eq_u32_e32 vcc, 0, v83
	v_add_u32_e32 v82, 4, v82
	s_or_b64 s[6:7], vcc, s[6:7]
	s_waitcnt vmcnt(0) lgkmcnt(0)
	v_fmac_f32_e32 v81, v84, v85
	s_andn2_b64 exec, exec, s[6:7]
	s_cbranch_execnz .LBB37_343
; %bb.344:
	s_or_b64 exec, exec, s[6:7]
.LBB37_345:
	s_or_b64 exec, exec, s[12:13]
	v_mov_b32_e32 v82, 0
	ds_read_b32 v82, v82 offset:8
	s_waitcnt lgkmcnt(0)
	v_mul_f32_e32 v81, v81, v82
	buffer_store_dword v81, off, s[0:3], 0 offset:8
.LBB37_346:
	s_or_b64 exec, exec, s[10:11]
	buffer_load_dword v81, off, s[0:3], 0 offset:4
	v_cmp_lt_u32_e64 s[6:7], 1, v0
	s_waitcnt vmcnt(0)
	ds_write_b32 v78, v81
	s_waitcnt lgkmcnt(0)
	; wave barrier
	s_waitcnt lgkmcnt(0)
	s_and_saveexec_b64 s[10:11], s[6:7]
	s_cbranch_execz .LBB37_356
; %bb.347:
	s_andn2_b64 vcc, exec, s[8:9]
	s_cbranch_vccnz .LBB37_349
; %bb.348:
	buffer_load_dword v81, v79, s[0:3], 0 offen
	ds_read_b32 v82, v78
	s_waitcnt vmcnt(0) lgkmcnt(0)
	v_mul_f32_e32 v81, v81, v82
	s_cbranch_execz .LBB37_350
	s_branch .LBB37_351
.LBB37_349:
                                        ; implicit-def: $vgpr81
.LBB37_350:
	ds_read_b32 v81, v78
.LBB37_351:
	s_and_saveexec_b64 s[12:13], s[4:5]
	s_cbranch_execz .LBB37_355
; %bb.352:
	v_add_u32_e32 v82, -2, v0
	s_movk_i32 s14, 0xa8
	s_mov_b64 s[4:5], 0
.LBB37_353:                             ; =>This Inner Loop Header: Depth=1
	buffer_load_dword v83, v80, s[0:3], 0 offen
	v_mov_b32_e32 v84, s14
	ds_read_b32 v84, v84
	v_add_u32_e32 v82, -1, v82
	s_add_i32 s14, s14, 4
	v_cmp_eq_u32_e32 vcc, 0, v82
	v_add_u32_e32 v80, 4, v80
	s_or_b64 s[4:5], vcc, s[4:5]
	s_waitcnt vmcnt(0) lgkmcnt(0)
	v_fmac_f32_e32 v81, v83, v84
	s_andn2_b64 exec, exec, s[4:5]
	s_cbranch_execnz .LBB37_353
; %bb.354:
	s_or_b64 exec, exec, s[4:5]
.LBB37_355:
	s_or_b64 exec, exec, s[12:13]
	v_mov_b32_e32 v80, 0
	ds_read_b32 v80, v80 offset:4
	s_waitcnt lgkmcnt(0)
	v_mul_f32_e32 v80, v81, v80
	buffer_store_dword v80, off, s[0:3], 0 offset:4
.LBB37_356:
	s_or_b64 exec, exec, s[10:11]
	buffer_load_dword v80, off, s[0:3], 0
	v_cmp_ne_u32_e32 vcc, 0, v0
	s_waitcnt vmcnt(0)
	ds_write_b32 v78, v80
	s_waitcnt lgkmcnt(0)
	; wave barrier
	s_waitcnt lgkmcnt(0)
	s_and_saveexec_b64 s[4:5], vcc
	s_cbranch_execz .LBB37_366
; %bb.357:
	s_andn2_b64 vcc, exec, s[8:9]
	s_cbranch_vccnz .LBB37_359
; %bb.358:
	buffer_load_dword v80, v79, s[0:3], 0 offen
	ds_read_b32 v81, v78
	s_waitcnt vmcnt(0) lgkmcnt(0)
	v_mul_f32_e32 v80, v80, v81
	s_cbranch_execz .LBB37_360
	s_branch .LBB37_361
.LBB37_359:
                                        ; implicit-def: $vgpr80
.LBB37_360:
	ds_read_b32 v80, v78
.LBB37_361:
	s_and_saveexec_b64 s[10:11], s[6:7]
	s_cbranch_execz .LBB37_365
; %bb.362:
	v_mov_b32_e32 v81, 0
	v_or_b32_e32 v81, 4, v81
	v_add_u32_e32 v82, -1, v0
	s_movk_i32 s12, 0xa4
	s_mov_b64 s[6:7], 0
.LBB37_363:                             ; =>This Inner Loop Header: Depth=1
	buffer_load_dword v83, v81, s[0:3], 0 offen
	v_mov_b32_e32 v84, s12
	ds_read_b32 v84, v84
	v_add_u32_e32 v82, -1, v82
	s_add_i32 s12, s12, 4
	v_cmp_eq_u32_e32 vcc, 0, v82
	v_add_u32_e32 v81, 4, v81
	s_or_b64 s[6:7], vcc, s[6:7]
	s_waitcnt vmcnt(0) lgkmcnt(0)
	v_fmac_f32_e32 v80, v83, v84
	s_andn2_b64 exec, exec, s[6:7]
	s_cbranch_execnz .LBB37_363
; %bb.364:
	s_or_b64 exec, exec, s[6:7]
.LBB37_365:
	s_or_b64 exec, exec, s[10:11]
	v_mov_b32_e32 v81, 0
	ds_read_b32 v81, v81
	s_waitcnt lgkmcnt(0)
	v_mul_f32_e32 v80, v80, v81
	buffer_store_dword v80, off, s[0:3], 0
.LBB37_366:
	s_or_b64 exec, exec, s[4:5]
	s_mov_b64 s[4:5], 0
.LBB37_367:
	s_and_b64 vcc, exec, s[4:5]
	s_cbranch_vccz .LBB37_731
; %bb.368:
	buffer_load_dword v80, off, s[0:3], 0 offset:4
	v_cmp_eq_u32_e64 s[6:7], 0, v0
	s_waitcnt vmcnt(0)
	ds_write_b32 v78, v80
	s_waitcnt lgkmcnt(0)
	; wave barrier
	s_waitcnt lgkmcnt(0)
	s_and_saveexec_b64 s[4:5], s[6:7]
	s_cbranch_execz .LBB37_374
; %bb.369:
	s_and_b64 vcc, exec, s[8:9]
	s_cbranch_vccz .LBB37_371
; %bb.370:
	buffer_load_dword v80, v79, s[0:3], 0 offen
	ds_read_b32 v81, v78
	s_waitcnt vmcnt(0) lgkmcnt(0)
	v_mul_f32_e32 v80, v80, v81
	s_cbranch_execz .LBB37_372
	s_branch .LBB37_373
.LBB37_371:
                                        ; implicit-def: $vgpr80
.LBB37_372:
	ds_read_b32 v80, v78
.LBB37_373:
	v_mov_b32_e32 v81, 0
	ds_read_b32 v81, v81 offset:4
	s_waitcnt lgkmcnt(0)
	v_mul_f32_e32 v80, v80, v81
	buffer_store_dword v80, off, s[0:3], 0 offset:4
.LBB37_374:
	s_or_b64 exec, exec, s[4:5]
	buffer_load_dword v80, off, s[0:3], 0 offset:8
	v_cndmask_b32_e64 v81, 0, 1, s[8:9]
	v_cmp_gt_u32_e32 vcc, 2, v0
	v_cmp_ne_u32_e64 s[4:5], 1, v81
	s_waitcnt vmcnt(0)
	ds_write_b32 v78, v80
	s_waitcnt lgkmcnt(0)
	; wave barrier
	s_waitcnt lgkmcnt(0)
	s_and_saveexec_b64 s[8:9], vcc
	s_cbranch_execz .LBB37_382
; %bb.375:
	s_and_b64 vcc, exec, s[4:5]
	s_cbranch_vccnz .LBB37_377
; %bb.376:
	buffer_load_dword v80, v79, s[0:3], 0 offen
	ds_read_b32 v81, v78
	s_waitcnt vmcnt(0) lgkmcnt(0)
	v_mul_f32_e32 v80, v80, v81
	s_cbranch_execz .LBB37_378
	s_branch .LBB37_379
.LBB37_377:
                                        ; implicit-def: $vgpr80
.LBB37_378:
	ds_read_b32 v80, v78
.LBB37_379:
	s_and_saveexec_b64 s[10:11], s[6:7]
	s_cbranch_execz .LBB37_381
; %bb.380:
	buffer_load_dword v81, v79, s[0:3], 0 offen offset:4
	ds_read_b32 v82, v78 offset:4
	s_waitcnt vmcnt(0) lgkmcnt(0)
	v_fmac_f32_e32 v80, v81, v82
.LBB37_381:
	s_or_b64 exec, exec, s[10:11]
	v_mov_b32_e32 v81, 0
	ds_read_b32 v81, v81 offset:8
	s_waitcnt lgkmcnt(0)
	v_mul_f32_e32 v80, v80, v81
	buffer_store_dword v80, off, s[0:3], 0 offset:8
.LBB37_382:
	s_or_b64 exec, exec, s[8:9]
	buffer_load_dword v80, off, s[0:3], 0 offset:12
	v_cmp_gt_u32_e32 vcc, 3, v0
	s_waitcnt vmcnt(0)
	ds_write_b32 v78, v80
	s_waitcnt lgkmcnt(0)
	; wave barrier
	s_waitcnt lgkmcnt(0)
	s_and_saveexec_b64 s[8:9], vcc
	s_cbranch_execz .LBB37_390
; %bb.383:
	s_and_b64 vcc, exec, s[4:5]
	s_cbranch_vccnz .LBB37_385
; %bb.384:
	buffer_load_dword v80, v79, s[0:3], 0 offen
	ds_read_b32 v81, v78
	s_waitcnt vmcnt(0) lgkmcnt(0)
	v_mul_f32_e32 v80, v80, v81
	s_cbranch_execz .LBB37_386
	s_branch .LBB37_387
.LBB37_385:
                                        ; implicit-def: $vgpr80
.LBB37_386:
	ds_read_b32 v80, v78
.LBB37_387:
	v_cmp_ne_u32_e32 vcc, 2, v0
	s_and_saveexec_b64 s[10:11], vcc
	s_cbranch_execz .LBB37_389
; %bb.388:
	buffer_load_dword v81, v79, s[0:3], 0 offen offset:4
	buffer_load_dword v82, off, s[0:3], 0 offset:8
	v_mov_b32_e32 v83, 0
	ds_read_b32 v84, v78 offset:4
	ds_read_b32 v83, v83 offset:168
	s_waitcnt vmcnt(1) lgkmcnt(1)
	v_fmac_f32_e32 v80, v81, v84
	s_waitcnt vmcnt(0) lgkmcnt(0)
	v_fma_f32 v81, v82, v83, v80
	v_cndmask_b32_e64 v80, v80, v81, s[6:7]
.LBB37_389:
	s_or_b64 exec, exec, s[10:11]
	v_mov_b32_e32 v81, 0
	ds_read_b32 v81, v81 offset:12
	s_waitcnt lgkmcnt(0)
	v_mul_f32_e32 v80, v80, v81
	buffer_store_dword v80, off, s[0:3], 0 offset:12
.LBB37_390:
	s_or_b64 exec, exec, s[8:9]
	buffer_load_dword v80, off, s[0:3], 0 offset:16
	v_cmp_gt_u32_e32 vcc, 4, v0
	s_waitcnt vmcnt(0)
	ds_write_b32 v78, v80
	s_waitcnt lgkmcnt(0)
	; wave barrier
	s_waitcnt lgkmcnt(0)
	s_and_saveexec_b64 s[6:7], vcc
	s_cbranch_execz .LBB37_400
; %bb.391:
	s_and_b64 vcc, exec, s[4:5]
	s_cbranch_vccnz .LBB37_393
; %bb.392:
	buffer_load_dword v80, v79, s[0:3], 0 offen
	ds_read_b32 v81, v78
	s_waitcnt vmcnt(0) lgkmcnt(0)
	v_mul_f32_e32 v80, v80, v81
	s_cbranch_execz .LBB37_394
	s_branch .LBB37_395
.LBB37_393:
                                        ; implicit-def: $vgpr80
.LBB37_394:
	ds_read_b32 v80, v78
.LBB37_395:
	v_cmp_ne_u32_e32 vcc, 3, v0
	s_and_saveexec_b64 s[8:9], vcc
	s_cbranch_execz .LBB37_399
; %bb.396:
	v_mov_b32_e32 v82, 0
	v_add_u32_e32 v81, 0xa4, v1
	v_add3_u32 v82, v1, v82, 4
	s_mov_b64 s[10:11], 0
	v_mov_b32_e32 v83, v0
.LBB37_397:                             ; =>This Inner Loop Header: Depth=1
	buffer_load_dword v84, v82, s[0:3], 0 offen
	ds_read_b32 v85, v81
	v_add_u32_e32 v83, 1, v83
	v_cmp_lt_u32_e32 vcc, 2, v83
	v_add_u32_e32 v81, 4, v81
	v_add_u32_e32 v82, 4, v82
	s_or_b64 s[10:11], vcc, s[10:11]
	s_waitcnt vmcnt(0) lgkmcnt(0)
	v_fmac_f32_e32 v80, v84, v85
	s_andn2_b64 exec, exec, s[10:11]
	s_cbranch_execnz .LBB37_397
; %bb.398:
	s_or_b64 exec, exec, s[10:11]
.LBB37_399:
	s_or_b64 exec, exec, s[8:9]
	v_mov_b32_e32 v81, 0
	ds_read_b32 v81, v81 offset:16
	s_waitcnt lgkmcnt(0)
	v_mul_f32_e32 v80, v80, v81
	buffer_store_dword v80, off, s[0:3], 0 offset:16
.LBB37_400:
	s_or_b64 exec, exec, s[6:7]
	buffer_load_dword v80, off, s[0:3], 0 offset:20
	v_cmp_gt_u32_e32 vcc, 5, v0
	s_waitcnt vmcnt(0)
	ds_write_b32 v78, v80
	s_waitcnt lgkmcnt(0)
	; wave barrier
	s_waitcnt lgkmcnt(0)
	s_and_saveexec_b64 s[6:7], vcc
	s_cbranch_execz .LBB37_410
; %bb.401:
	s_and_b64 vcc, exec, s[4:5]
	s_cbranch_vccnz .LBB37_403
; %bb.402:
	buffer_load_dword v80, v79, s[0:3], 0 offen
	ds_read_b32 v81, v78
	s_waitcnt vmcnt(0) lgkmcnt(0)
	v_mul_f32_e32 v80, v80, v81
	s_cbranch_execz .LBB37_404
	s_branch .LBB37_405
.LBB37_403:
                                        ; implicit-def: $vgpr80
.LBB37_404:
	ds_read_b32 v80, v78
.LBB37_405:
	v_cmp_ne_u32_e32 vcc, 4, v0
	s_and_saveexec_b64 s[8:9], vcc
	s_cbranch_execz .LBB37_409
; %bb.406:
	v_mov_b32_e32 v82, 0
	v_add_u32_e32 v81, 0xa4, v1
	v_add3_u32 v82, v1, v82, 4
	s_mov_b64 s[10:11], 0
	v_mov_b32_e32 v83, v0
.LBB37_407:                             ; =>This Inner Loop Header: Depth=1
	buffer_load_dword v84, v82, s[0:3], 0 offen
	ds_read_b32 v85, v81
	v_add_u32_e32 v83, 1, v83
	v_cmp_lt_u32_e32 vcc, 3, v83
	v_add_u32_e32 v81, 4, v81
	v_add_u32_e32 v82, 4, v82
	s_or_b64 s[10:11], vcc, s[10:11]
	s_waitcnt vmcnt(0) lgkmcnt(0)
	v_fmac_f32_e32 v80, v84, v85
	s_andn2_b64 exec, exec, s[10:11]
	s_cbranch_execnz .LBB37_407
; %bb.408:
	s_or_b64 exec, exec, s[10:11]
.LBB37_409:
	s_or_b64 exec, exec, s[8:9]
	v_mov_b32_e32 v81, 0
	ds_read_b32 v81, v81 offset:20
	s_waitcnt lgkmcnt(0)
	v_mul_f32_e32 v80, v80, v81
	buffer_store_dword v80, off, s[0:3], 0 offset:20
.LBB37_410:
	;; [unrolled: 56-line block ×32, first 2 shown]
	s_or_b64 exec, exec, s[6:7]
	buffer_load_dword v80, off, s[0:3], 0 offset:144
	v_cmp_gt_u32_e64 s[6:7], 36, v0
	s_waitcnt vmcnt(0)
	ds_write_b32 v78, v80
	s_waitcnt lgkmcnt(0)
	; wave barrier
	s_waitcnt lgkmcnt(0)
	s_and_saveexec_b64 s[8:9], s[6:7]
	s_cbranch_execz .LBB37_720
; %bb.711:
	s_and_b64 vcc, exec, s[4:5]
	s_cbranch_vccnz .LBB37_713
; %bb.712:
	buffer_load_dword v80, v79, s[0:3], 0 offen
	ds_read_b32 v81, v78
	s_waitcnt vmcnt(0) lgkmcnt(0)
	v_mul_f32_e32 v80, v80, v81
	s_cbranch_execz .LBB37_714
	s_branch .LBB37_715
.LBB37_713:
                                        ; implicit-def: $vgpr80
.LBB37_714:
	ds_read_b32 v80, v78
.LBB37_715:
	v_cmp_ne_u32_e32 vcc, 35, v0
	s_and_saveexec_b64 s[10:11], vcc
	s_cbranch_execz .LBB37_719
; %bb.716:
	v_mov_b32_e32 v82, 0
	v_add_u32_e32 v81, 0xa4, v1
	v_add3_u32 v82, v1, v82, 4
	s_mov_b64 s[12:13], 0
	v_mov_b32_e32 v83, v0
.LBB37_717:                             ; =>This Inner Loop Header: Depth=1
	buffer_load_dword v84, v82, s[0:3], 0 offen
	ds_read_b32 v85, v81
	v_add_u32_e32 v83, 1, v83
	v_cmp_lt_u32_e32 vcc, 34, v83
	v_add_u32_e32 v81, 4, v81
	v_add_u32_e32 v82, 4, v82
	s_or_b64 s[12:13], vcc, s[12:13]
	s_waitcnt vmcnt(0) lgkmcnt(0)
	v_fmac_f32_e32 v80, v84, v85
	s_andn2_b64 exec, exec, s[12:13]
	s_cbranch_execnz .LBB37_717
; %bb.718:
	s_or_b64 exec, exec, s[12:13]
.LBB37_719:
	s_or_b64 exec, exec, s[10:11]
	v_mov_b32_e32 v81, 0
	ds_read_b32 v81, v81 offset:144
	s_waitcnt lgkmcnt(0)
	v_mul_f32_e32 v80, v80, v81
	buffer_store_dword v80, off, s[0:3], 0 offset:144
.LBB37_720:
	s_or_b64 exec, exec, s[8:9]
	buffer_load_dword v80, off, s[0:3], 0 offset:148
	v_cmp_ne_u32_e32 vcc, 37, v0
	s_waitcnt vmcnt(0)
	ds_write_b32 v78, v80
	s_waitcnt lgkmcnt(0)
	; wave barrier
	s_waitcnt lgkmcnt(0)
	s_and_saveexec_b64 s[8:9], vcc
	s_cbranch_execz .LBB37_730
; %bb.721:
	s_and_b64 vcc, exec, s[4:5]
	s_cbranch_vccnz .LBB37_723
; %bb.722:
	buffer_load_dword v79, v79, s[0:3], 0 offen
	ds_read_b32 v80, v78
	s_waitcnt vmcnt(0) lgkmcnt(0)
	v_mul_f32_e32 v79, v79, v80
	s_cbranch_execz .LBB37_724
	s_branch .LBB37_725
.LBB37_723:
                                        ; implicit-def: $vgpr79
.LBB37_724:
	ds_read_b32 v79, v78
.LBB37_725:
	s_and_saveexec_b64 s[4:5], s[6:7]
	s_cbranch_execz .LBB37_729
; %bb.726:
	v_mov_b32_e32 v80, 0
	v_add_u32_e32 v78, 0xa4, v1
	v_add3_u32 v1, v1, v80, 4
	s_mov_b64 s[6:7], 0
.LBB37_727:                             ; =>This Inner Loop Header: Depth=1
	buffer_load_dword v80, v1, s[0:3], 0 offen
	ds_read_b32 v81, v78
	v_add_u32_e32 v0, 1, v0
	v_cmp_lt_u32_e32 vcc, 35, v0
	v_add_u32_e32 v78, 4, v78
	v_add_u32_e32 v1, 4, v1
	s_or_b64 s[6:7], vcc, s[6:7]
	s_waitcnt vmcnt(0) lgkmcnt(0)
	v_fmac_f32_e32 v79, v80, v81
	s_andn2_b64 exec, exec, s[6:7]
	s_cbranch_execnz .LBB37_727
; %bb.728:
	s_or_b64 exec, exec, s[6:7]
.LBB37_729:
	s_or_b64 exec, exec, s[4:5]
	v_mov_b32_e32 v0, 0
	ds_read_b32 v0, v0 offset:148
	s_waitcnt lgkmcnt(0)
	v_mul_f32_e32 v0, v79, v0
	buffer_store_dword v0, off, s[0:3], 0 offset:148
.LBB37_730:
	s_or_b64 exec, exec, s[8:9]
.LBB37_731:
	buffer_load_dword v0, off, s[0:3], 0
	buffer_load_dword v1, off, s[0:3], 0 offset:4
	buffer_load_dword v78, off, s[0:3], 0 offset:8
	;; [unrolled: 1-line block ×37, first 2 shown]
	s_waitcnt vmcnt(37)
	global_store_dword v[72:73], v0, off
	s_waitcnt vmcnt(37)
	global_store_dword v[74:75], v1, off
	s_waitcnt vmcnt(37)
	global_store_dword v[2:3], v78, off
	s_waitcnt vmcnt(37)
	global_store_dword v[4:5], v79, off
	s_waitcnt vmcnt(37)
	global_store_dword v[6:7], v80, off
	s_waitcnt vmcnt(37)
	global_store_dword v[8:9], v81, off
	s_waitcnt vmcnt(37)
	global_store_dword v[10:11], v82, off
	s_waitcnt vmcnt(37)
	global_store_dword v[12:13], v83, off
	s_waitcnt vmcnt(37)
	global_store_dword v[14:15], v84, off
	s_waitcnt vmcnt(37)
	global_store_dword v[16:17], v85, off
	s_waitcnt vmcnt(37)
	global_store_dword v[18:19], v86, off
	s_waitcnt vmcnt(37)
	global_store_dword v[20:21], v87, off
	s_waitcnt vmcnt(37)
	global_store_dword v[22:23], v88, off
	s_waitcnt vmcnt(37)
	global_store_dword v[24:25], v89, off
	s_waitcnt vmcnt(37)
	global_store_dword v[26:27], v90, off
	s_waitcnt vmcnt(37)
	global_store_dword v[28:29], v91, off
	s_waitcnt vmcnt(37)
	global_store_dword v[30:31], v92, off
	s_waitcnt vmcnt(37)
	global_store_dword v[32:33], v93, off
	s_waitcnt vmcnt(37)
	global_store_dword v[34:35], v94, off
	s_waitcnt vmcnt(37)
	global_store_dword v[36:37], v95, off
	s_waitcnt vmcnt(37)
	global_store_dword v[38:39], v96, off
	s_waitcnt vmcnt(37)
	global_store_dword v[40:41], v97, off
	s_waitcnt vmcnt(37)
	global_store_dword v[42:43], v98, off
	s_waitcnt vmcnt(37)
	global_store_dword v[44:45], v99, off
	s_waitcnt vmcnt(37)
	global_store_dword v[46:47], v100, off
	s_waitcnt vmcnt(37)
	global_store_dword v[48:49], v101, off
	s_waitcnt vmcnt(37)
	global_store_dword v[50:51], v102, off
	s_waitcnt vmcnt(37)
	global_store_dword v[52:53], v103, off
	s_waitcnt vmcnt(37)
	global_store_dword v[54:55], v104, off
	s_waitcnt vmcnt(37)
	global_store_dword v[56:57], v105, off
	s_waitcnt vmcnt(37)
	global_store_dword v[58:59], v106, off
	s_waitcnt vmcnt(37)
	global_store_dword v[60:61], v107, off
	s_waitcnt vmcnt(37)
	global_store_dword v[62:63], v108, off
	s_waitcnt vmcnt(37)
	global_store_dword v[64:65], v109, off
	s_waitcnt vmcnt(37)
	global_store_dword v[66:67], v110, off
	s_waitcnt vmcnt(37)
	global_store_dword v[68:69], v111, off
	s_waitcnt vmcnt(37)
	global_store_dword v[70:71], v112, off
	s_waitcnt vmcnt(37)
	global_store_dword v[76:77], v113, off
.LBB37_732:
	s_endpgm
	.section	.rodata,"a",@progbits
	.p2align	6, 0x0
	.amdhsa_kernel _ZN9rocsolver6v33100L18trti2_kernel_smallILi38EfPfEEv13rocblas_fill_17rocblas_diagonal_T1_iil
		.amdhsa_group_segment_fixed_size 312
		.amdhsa_private_segment_fixed_size 160
		.amdhsa_kernarg_size 32
		.amdhsa_user_sgpr_count 8
		.amdhsa_user_sgpr_private_segment_buffer 1
		.amdhsa_user_sgpr_dispatch_ptr 0
		.amdhsa_user_sgpr_queue_ptr 0
		.amdhsa_user_sgpr_kernarg_segment_ptr 1
		.amdhsa_user_sgpr_dispatch_id 0
		.amdhsa_user_sgpr_flat_scratch_init 1
		.amdhsa_user_sgpr_kernarg_preload_length 0
		.amdhsa_user_sgpr_kernarg_preload_offset 0
		.amdhsa_user_sgpr_private_segment_size 0
		.amdhsa_uses_dynamic_stack 0
		.amdhsa_system_sgpr_private_segment_wavefront_offset 1
		.amdhsa_system_sgpr_workgroup_id_x 1
		.amdhsa_system_sgpr_workgroup_id_y 0
		.amdhsa_system_sgpr_workgroup_id_z 0
		.amdhsa_system_sgpr_workgroup_info 0
		.amdhsa_system_vgpr_workitem_id 0
		.amdhsa_next_free_vgpr 116
		.amdhsa_next_free_sgpr 20
		.amdhsa_accum_offset 116
		.amdhsa_reserve_vcc 1
		.amdhsa_reserve_flat_scratch 0
		.amdhsa_float_round_mode_32 0
		.amdhsa_float_round_mode_16_64 0
		.amdhsa_float_denorm_mode_32 3
		.amdhsa_float_denorm_mode_16_64 3
		.amdhsa_dx10_clamp 1
		.amdhsa_ieee_mode 1
		.amdhsa_fp16_overflow 0
		.amdhsa_tg_split 0
		.amdhsa_exception_fp_ieee_invalid_op 0
		.amdhsa_exception_fp_denorm_src 0
		.amdhsa_exception_fp_ieee_div_zero 0
		.amdhsa_exception_fp_ieee_overflow 0
		.amdhsa_exception_fp_ieee_underflow 0
		.amdhsa_exception_fp_ieee_inexact 0
		.amdhsa_exception_int_div_zero 0
	.end_amdhsa_kernel
	.section	.text._ZN9rocsolver6v33100L18trti2_kernel_smallILi38EfPfEEv13rocblas_fill_17rocblas_diagonal_T1_iil,"axG",@progbits,_ZN9rocsolver6v33100L18trti2_kernel_smallILi38EfPfEEv13rocblas_fill_17rocblas_diagonal_T1_iil,comdat
.Lfunc_end37:
	.size	_ZN9rocsolver6v33100L18trti2_kernel_smallILi38EfPfEEv13rocblas_fill_17rocblas_diagonal_T1_iil, .Lfunc_end37-_ZN9rocsolver6v33100L18trti2_kernel_smallILi38EfPfEEv13rocblas_fill_17rocblas_diagonal_T1_iil
                                        ; -- End function
	.section	.AMDGPU.csdata,"",@progbits
; Kernel info:
; codeLenInByte = 18440
; NumSgprs: 24
; NumVgprs: 116
; NumAgprs: 0
; TotalNumVgprs: 116
; ScratchSize: 160
; MemoryBound: 0
; FloatMode: 240
; IeeeMode: 1
; LDSByteSize: 312 bytes/workgroup (compile time only)
; SGPRBlocks: 2
; VGPRBlocks: 14
; NumSGPRsForWavesPerEU: 24
; NumVGPRsForWavesPerEU: 116
; AccumOffset: 116
; Occupancy: 4
; WaveLimiterHint : 0
; COMPUTE_PGM_RSRC2:SCRATCH_EN: 1
; COMPUTE_PGM_RSRC2:USER_SGPR: 8
; COMPUTE_PGM_RSRC2:TRAP_HANDLER: 0
; COMPUTE_PGM_RSRC2:TGID_X_EN: 1
; COMPUTE_PGM_RSRC2:TGID_Y_EN: 0
; COMPUTE_PGM_RSRC2:TGID_Z_EN: 0
; COMPUTE_PGM_RSRC2:TIDIG_COMP_CNT: 0
; COMPUTE_PGM_RSRC3_GFX90A:ACCUM_OFFSET: 28
; COMPUTE_PGM_RSRC3_GFX90A:TG_SPLIT: 0
	.section	.text._ZN9rocsolver6v33100L18trti2_kernel_smallILi39EfPfEEv13rocblas_fill_17rocblas_diagonal_T1_iil,"axG",@progbits,_ZN9rocsolver6v33100L18trti2_kernel_smallILi39EfPfEEv13rocblas_fill_17rocblas_diagonal_T1_iil,comdat
	.globl	_ZN9rocsolver6v33100L18trti2_kernel_smallILi39EfPfEEv13rocblas_fill_17rocblas_diagonal_T1_iil ; -- Begin function _ZN9rocsolver6v33100L18trti2_kernel_smallILi39EfPfEEv13rocblas_fill_17rocblas_diagonal_T1_iil
	.p2align	8
	.type	_ZN9rocsolver6v33100L18trti2_kernel_smallILi39EfPfEEv13rocblas_fill_17rocblas_diagonal_T1_iil,@function
_ZN9rocsolver6v33100L18trti2_kernel_smallILi39EfPfEEv13rocblas_fill_17rocblas_diagonal_T1_iil: ; @_ZN9rocsolver6v33100L18trti2_kernel_smallILi39EfPfEEv13rocblas_fill_17rocblas_diagonal_T1_iil
; %bb.0:
	s_add_u32 s0, s0, s9
	s_addc_u32 s1, s1, 0
	v_cmp_gt_u32_e32 vcc, 39, v0
	s_and_saveexec_b64 s[6:7], vcc
	s_cbranch_execz .LBB38_752
; %bb.1:
	s_load_dwordx8 s[12:19], s[4:5], 0x0
	s_ashr_i32 s6, s8, 31
	s_waitcnt lgkmcnt(0)
	s_mul_i32 s7, s8, s19
	s_mul_hi_u32 s9, s8, s18
	s_add_i32 s7, s9, s7
	s_mul_i32 s6, s6, s18
	s_add_i32 s7, s7, s6
	s_mul_i32 s6, s8, s18
	s_ashr_i32 s5, s16, 31
	s_lshl_b64 s[6:7], s[6:7], 2
	s_mov_b32 s4, s16
	s_add_u32 s6, s14, s6
	s_addc_u32 s7, s15, s7
	s_lshl_b64 s[4:5], s[4:5], 2
	s_add_u32 s4, s6, s4
	s_addc_u32 s5, s7, s5
	s_add_i32 s6, s17, s17
	v_add_u32_e32 v4, s6, v0
	v_ashrrev_i32_e32 v5, 31, v4
	v_lshlrev_b64 v[2:3], 2, v[4:5]
	v_add_u32_e32 v6, s17, v4
	v_mov_b32_e32 v1, s5
	v_add_co_u32_e32 v2, vcc, s4, v2
	v_ashrrev_i32_e32 v7, 31, v6
	v_addc_co_u32_e32 v3, vcc, v1, v3, vcc
	v_lshlrev_b64 v[4:5], 2, v[6:7]
	v_add_u32_e32 v8, s17, v6
	v_add_co_u32_e32 v4, vcc, s4, v4
	v_ashrrev_i32_e32 v9, 31, v8
	v_addc_co_u32_e32 v5, vcc, v1, v5, vcc
	v_lshlrev_b64 v[6:7], 2, v[8:9]
	v_add_u32_e32 v10, s17, v8
	;; [unrolled: 5-line block ×34, first 2 shown]
	v_add_co_u32_e32 v70, vcc, s4, v70
	v_ashrrev_i32_e32 v75, 31, v74
	v_addc_co_u32_e32 v71, vcc, v1, v71, vcc
	v_lshlrev_b64 v[72:73], 2, v[74:75]
	v_add_co_u32_e32 v72, vcc, s4, v72
	v_add_u32_e32 v74, s17, v74
	v_addc_co_u32_e32 v73, vcc, v1, v73, vcc
	v_ashrrev_i32_e32 v75, 31, v74
	v_lshlrev_b32_e32 v1, 2, v0
	v_lshlrev_b64 v[78:79], 2, v[74:75]
	v_mov_b32_e32 v75, s5
	v_add_co_u32_e32 v74, vcc, s4, v1
	s_ashr_i32 s7, s17, 31
	s_mov_b32 s6, s17
	v_addc_co_u32_e32 v75, vcc, 0, v75, vcc
	s_lshl_b64 s[6:7], s[6:7], 2
	v_mov_b32_e32 v77, s7
	v_add_co_u32_e32 v76, vcc, s6, v74
	v_addc_co_u32_e32 v77, vcc, v75, v77, vcc
	global_load_dword v80, v1, s[4:5]
	global_load_dword v81, v[76:77], off
	global_load_dword v82, v[6:7], off
	;; [unrolled: 1-line block ×37, first 2 shown]
	v_mov_b32_e32 v113, s5
	v_add_co_u32_e32 v78, vcc, s4, v78
	v_addc_co_u32_e32 v79, vcc, v113, v79, vcc
	global_load_dword v113, v[78:79], off
	s_cmpk_lg_i32 s13, 0x84
	s_waitcnt vmcnt(38)
	buffer_store_dword v80, off, s[0:3], 0
	s_waitcnt vmcnt(38)
	buffer_store_dword v81, off, s[0:3], 0 offset:4
	s_waitcnt vmcnt(33)
	buffer_store_dword v87, off, s[0:3], 0 offset:12
	;; [unrolled: 2-line block ×3, first 2 shown]
	buffer_store_dword v82, off, s[0:3], 0 offset:16
	buffer_store_dword v83, off, s[0:3], 0 offset:20
	buffer_store_dword v84, off, s[0:3], 0 offset:24
	buffer_store_dword v85, off, s[0:3], 0 offset:28
	buffer_store_dword v86, off, s[0:3], 0 offset:32
	s_waitcnt vmcnt(38)
	buffer_store_dword v89, off, s[0:3], 0 offset:36
	s_waitcnt vmcnt(33)
	buffer_store_dword v95, off, s[0:3], 0 offset:44
	;; [unrolled: 2-line block ×3, first 2 shown]
	buffer_store_dword v90, off, s[0:3], 0 offset:48
	buffer_store_dword v91, off, s[0:3], 0 offset:52
	;; [unrolled: 1-line block ×5, first 2 shown]
	s_waitcnt vmcnt(38)
	buffer_store_dword v97, off, s[0:3], 0 offset:68
	s_waitcnt vmcnt(38)
	buffer_store_dword v98, off, s[0:3], 0 offset:72
	;; [unrolled: 2-line block ×5, first 2 shown]
	buffer_store_dword v101, off, s[0:3], 0 offset:92
	buffer_store_dword v102, off, s[0:3], 0 offset:88
	s_waitcnt vmcnt(37)
	buffer_store_dword v105, off, s[0:3], 0 offset:100
	buffer_store_dword v100, off, s[0:3], 0 offset:96
	s_waitcnt vmcnt(33)
	buffer_store_dword v111, off, s[0:3], 0 offset:108
	s_waitcnt vmcnt(33)
	buffer_store_dword v112, off, s[0:3], 0 offset:104
	buffer_store_dword v109, off, s[0:3], 0 offset:116
	;; [unrolled: 1-line block ×5, first 2 shown]
	s_waitcnt vmcnt(37)
	buffer_store_dword v114, off, s[0:3], 0 offset:132
	buffer_store_dword v106, off, s[0:3], 0 offset:128
	s_waitcnt vmcnt(36)
	buffer_store_dword v117, off, s[0:3], 0 offset:140
	s_waitcnt vmcnt(36)
	buffer_store_dword v118, off, s[0:3], 0 offset:136
	buffer_store_dword v115, off, s[0:3], 0 offset:148
	;; [unrolled: 1-line block ×3, first 2 shown]
	s_waitcnt vmcnt(38)
	buffer_store_dword v113, off, s[0:3], 0 offset:152
	s_cselect_b64 s[10:11], -1, 0
	s_cmpk_eq_i32 s13, 0x84
	v_mov_b32_e32 v99, 0
	v_mov_b32_e32 v80, -1.0
	s_cbranch_scc1 .LBB38_3
; %bb.2:
	v_lshl_add_u32 v80, v0, 2, v99
	buffer_load_dword v81, v80, s[0:3], 0 offen
	s_waitcnt vmcnt(0)
	v_div_scale_f32 v82, s[4:5], v81, v81, 1.0
	v_rcp_f32_e32 v83, v82
	v_div_scale_f32 v84, vcc, 1.0, v81, 1.0
	v_fma_f32 v85, -v82, v83, 1.0
	v_fmac_f32_e32 v83, v85, v83
	v_mul_f32_e32 v85, v84, v83
	v_fma_f32 v86, -v82, v85, v84
	v_fmac_f32_e32 v85, v86, v83
	v_fma_f32 v82, -v82, v85, v84
	v_div_fmas_f32 v82, v82, v83, v85
	v_div_fixup_f32 v81, v82, v81, 1.0
	buffer_store_dword v81, v80, s[0:3], 0 offen
	v_xor_b32_e32 v80, 0x80000000, v81
.LBB38_3:
	ds_write_b32 v1, v80
	s_cmpk_eq_i32 s12, 0x79
	v_add_u32_e32 v80, 0xa0, v1
	v_add_u32_e32 v81, 0, v1
	s_mov_b64 s[4:5], -1
	s_cbranch_scc1 .LBB38_377
; %bb.4:
	buffer_load_dword v82, off, s[0:3], 0 offset:148
	v_cmp_eq_u32_e64 s[4:5], 38, v0
	s_waitcnt vmcnt(0)
	ds_write_b32 v80, v82
	s_waitcnt lgkmcnt(0)
	; wave barrier
	s_waitcnt lgkmcnt(0)
	s_and_saveexec_b64 s[6:7], s[4:5]
	s_cbranch_execz .LBB38_10
; %bb.5:
	s_and_b64 vcc, exec, s[10:11]
	s_cbranch_vccz .LBB38_7
; %bb.6:
	buffer_load_dword v82, v81, s[0:3], 0 offen
	ds_read_b32 v83, v80
	s_waitcnt vmcnt(0) lgkmcnt(0)
	v_mul_f32_e32 v82, v82, v83
	s_cbranch_execz .LBB38_8
	s_branch .LBB38_9
.LBB38_7:
                                        ; implicit-def: $vgpr82
.LBB38_8:
	ds_read_b32 v82, v80
.LBB38_9:
	v_mov_b32_e32 v83, 0
	ds_read_b32 v83, v83 offset:148
	s_waitcnt lgkmcnt(0)
	v_mul_f32_e32 v82, v82, v83
	buffer_store_dword v82, off, s[0:3], 0 offset:148
.LBB38_10:
	s_or_b64 exec, exec, s[6:7]
	buffer_load_dword v100, off, s[0:3], 0 offset:144
	v_or_b32_e32 v82, 8, v99
	v_add_u32_e32 v83, 16, v99
	v_add_u32_e32 v84, 24, v99
	;; [unrolled: 1-line block ×17, first 2 shown]
	v_cmp_lt_u32_e64 s[8:9], 36, v0
	s_waitcnt vmcnt(0)
	ds_write_b32 v80, v100
	s_waitcnt lgkmcnt(0)
	; wave barrier
	s_waitcnt lgkmcnt(0)
	s_and_saveexec_b64 s[6:7], s[8:9]
	s_cbranch_execz .LBB38_16
; %bb.11:
	s_andn2_b64 vcc, exec, s[10:11]
	s_cbranch_vccnz .LBB38_13
; %bb.12:
	buffer_load_dword v100, v81, s[0:3], 0 offen
	ds_read_b32 v101, v80
	s_waitcnt vmcnt(0) lgkmcnt(0)
	v_mul_f32_e32 v100, v100, v101
	s_cbranch_execz .LBB38_14
	s_branch .LBB38_15
.LBB38_13:
                                        ; implicit-def: $vgpr100
.LBB38_14:
	ds_read_b32 v100, v80
.LBB38_15:
	buffer_load_dword v101, off, s[0:3], 0 offset:148
	v_mov_b32_e32 v102, 0
	ds_read2_b32 v[102:103], v102 offset0:36 offset1:77
	s_waitcnt vmcnt(0) lgkmcnt(0)
	v_fma_f32 v101, v101, v103, v100
	v_cndmask_b32_e64 v100, v100, v101, s[4:5]
	v_mul_f32_e32 v100, v100, v102
	buffer_store_dword v100, off, s[0:3], 0 offset:144
.LBB38_16:
	s_or_b64 exec, exec, s[6:7]
	buffer_load_dword v100, off, s[0:3], 0 offset:140
	v_cmp_lt_u32_e64 s[6:7], 35, v0
	s_waitcnt vmcnt(0)
	ds_write_b32 v80, v100
	s_waitcnt lgkmcnt(0)
	; wave barrier
	s_waitcnt lgkmcnt(0)
	s_and_saveexec_b64 s[4:5], s[6:7]
	s_cbranch_execz .LBB38_26
; %bb.17:
	s_andn2_b64 vcc, exec, s[10:11]
	s_cbranch_vccnz .LBB38_19
; %bb.18:
	buffer_load_dword v100, v81, s[0:3], 0 offen
	ds_read_b32 v101, v80
	s_waitcnt vmcnt(0) lgkmcnt(0)
	v_mul_f32_e32 v100, v100, v101
	s_cbranch_execz .LBB38_20
	s_branch .LBB38_21
.LBB38_19:
                                        ; implicit-def: $vgpr100
.LBB38_20:
	ds_read_b32 v100, v80
.LBB38_21:
	s_and_saveexec_b64 s[12:13], s[8:9]
	s_cbranch_execz .LBB38_25
; %bb.22:
	v_subrev_u32_e32 v101, 36, v0
	s_movk_i32 s14, 0x130
	s_mov_b64 s[8:9], 0
.LBB38_23:                              ; =>This Inner Loop Header: Depth=1
	buffer_load_dword v102, v99, s[0:3], 0 offen
	v_mov_b32_e32 v103, s14
	ds_read_b32 v103, v103
	v_add_u32_e32 v101, -1, v101
	s_add_i32 s14, s14, 4
	v_cmp_eq_u32_e32 vcc, 0, v101
	v_add_u32_e32 v99, 4, v99
	s_or_b64 s[8:9], vcc, s[8:9]
	s_waitcnt vmcnt(0) lgkmcnt(0)
	v_fmac_f32_e32 v100, v102, v103
	s_andn2_b64 exec, exec, s[8:9]
	s_cbranch_execnz .LBB38_23
; %bb.24:
	s_or_b64 exec, exec, s[8:9]
.LBB38_25:
	s_or_b64 exec, exec, s[12:13]
	v_mov_b32_e32 v99, 0
	ds_read_b32 v99, v99 offset:140
	s_waitcnt lgkmcnt(0)
	v_mul_f32_e32 v99, v100, v99
	buffer_store_dword v99, off, s[0:3], 0 offset:140
.LBB38_26:
	s_or_b64 exec, exec, s[4:5]
	buffer_load_dword v99, off, s[0:3], 0 offset:136
	v_cmp_lt_u32_e64 s[4:5], 34, v0
	s_waitcnt vmcnt(0)
	ds_write_b32 v80, v99
	s_waitcnt lgkmcnt(0)
	; wave barrier
	s_waitcnt lgkmcnt(0)
	s_and_saveexec_b64 s[8:9], s[4:5]
	s_cbranch_execz .LBB38_36
; %bb.27:
	s_andn2_b64 vcc, exec, s[10:11]
	s_cbranch_vccnz .LBB38_29
; %bb.28:
	buffer_load_dword v99, v81, s[0:3], 0 offen
	ds_read_b32 v100, v80
	s_waitcnt vmcnt(0) lgkmcnt(0)
	v_mul_f32_e32 v99, v99, v100
	s_cbranch_execz .LBB38_30
	s_branch .LBB38_31
.LBB38_29:
                                        ; implicit-def: $vgpr99
.LBB38_30:
	ds_read_b32 v99, v80
.LBB38_31:
	s_and_saveexec_b64 s[12:13], s[6:7]
	s_cbranch_execz .LBB38_35
; %bb.32:
	v_mov_b32_e32 v100, 0
	v_add_u32_e32 v100, 0x8c, v100
	v_subrev_u32_e32 v101, 35, v0
	s_movk_i32 s14, 0x12c
	s_mov_b64 s[6:7], 0
.LBB38_33:                              ; =>This Inner Loop Header: Depth=1
	buffer_load_dword v102, v100, s[0:3], 0 offen
	v_mov_b32_e32 v103, s14
	ds_read_b32 v103, v103
	v_add_u32_e32 v101, -1, v101
	s_add_i32 s14, s14, 4
	v_cmp_eq_u32_e32 vcc, 0, v101
	v_add_u32_e32 v100, 4, v100
	s_or_b64 s[6:7], vcc, s[6:7]
	s_waitcnt vmcnt(0) lgkmcnt(0)
	v_fmac_f32_e32 v99, v102, v103
	s_andn2_b64 exec, exec, s[6:7]
	s_cbranch_execnz .LBB38_33
; %bb.34:
	s_or_b64 exec, exec, s[6:7]
.LBB38_35:
	s_or_b64 exec, exec, s[12:13]
	v_mov_b32_e32 v100, 0
	ds_read_b32 v100, v100 offset:136
	s_waitcnt lgkmcnt(0)
	v_mul_f32_e32 v99, v99, v100
	buffer_store_dword v99, off, s[0:3], 0 offset:136
.LBB38_36:
	s_or_b64 exec, exec, s[8:9]
	buffer_load_dword v99, off, s[0:3], 0 offset:132
	v_cmp_lt_u32_e64 s[6:7], 33, v0
	s_waitcnt vmcnt(0)
	ds_write_b32 v80, v99
	s_waitcnt lgkmcnt(0)
	; wave barrier
	s_waitcnt lgkmcnt(0)
	s_and_saveexec_b64 s[8:9], s[6:7]
	s_cbranch_execz .LBB38_46
; %bb.37:
	s_andn2_b64 vcc, exec, s[10:11]
	s_cbranch_vccnz .LBB38_39
; %bb.38:
	buffer_load_dword v99, v81, s[0:3], 0 offen
	ds_read_b32 v100, v80
	s_waitcnt vmcnt(0) lgkmcnt(0)
	v_mul_f32_e32 v99, v99, v100
	s_cbranch_execz .LBB38_40
	s_branch .LBB38_41
.LBB38_39:
                                        ; implicit-def: $vgpr99
.LBB38_40:
	ds_read_b32 v99, v80
.LBB38_41:
	s_and_saveexec_b64 s[12:13], s[4:5]
	s_cbranch_execz .LBB38_45
; %bb.42:
	v_subrev_u32_e32 v100, 34, v0
	s_movk_i32 s14, 0x128
	s_mov_b64 s[4:5], 0
.LBB38_43:                              ; =>This Inner Loop Header: Depth=1
	buffer_load_dword v101, v98, s[0:3], 0 offen
	v_mov_b32_e32 v102, s14
	ds_read_b32 v102, v102
	v_add_u32_e32 v100, -1, v100
	s_add_i32 s14, s14, 4
	v_cmp_eq_u32_e32 vcc, 0, v100
	v_add_u32_e32 v98, 4, v98
	s_or_b64 s[4:5], vcc, s[4:5]
	s_waitcnt vmcnt(0) lgkmcnt(0)
	v_fmac_f32_e32 v99, v101, v102
	s_andn2_b64 exec, exec, s[4:5]
	s_cbranch_execnz .LBB38_43
; %bb.44:
	s_or_b64 exec, exec, s[4:5]
.LBB38_45:
	s_or_b64 exec, exec, s[12:13]
	v_mov_b32_e32 v98, 0
	ds_read_b32 v98, v98 offset:132
	s_waitcnt lgkmcnt(0)
	v_mul_f32_e32 v98, v99, v98
	buffer_store_dword v98, off, s[0:3], 0 offset:132
.LBB38_46:
	s_or_b64 exec, exec, s[8:9]
	buffer_load_dword v98, off, s[0:3], 0 offset:128
	v_cmp_lt_u32_e64 s[4:5], 32, v0
	s_waitcnt vmcnt(0)
	ds_write_b32 v80, v98
	s_waitcnt lgkmcnt(0)
	; wave barrier
	s_waitcnt lgkmcnt(0)
	s_and_saveexec_b64 s[8:9], s[4:5]
	s_cbranch_execz .LBB38_56
; %bb.47:
	s_andn2_b64 vcc, exec, s[10:11]
	s_cbranch_vccnz .LBB38_49
; %bb.48:
	buffer_load_dword v98, v81, s[0:3], 0 offen
	ds_read_b32 v99, v80
	s_waitcnt vmcnt(0) lgkmcnt(0)
	v_mul_f32_e32 v98, v98, v99
	s_cbranch_execz .LBB38_50
	s_branch .LBB38_51
.LBB38_49:
                                        ; implicit-def: $vgpr98
.LBB38_50:
	ds_read_b32 v98, v80
.LBB38_51:
	s_and_saveexec_b64 s[12:13], s[6:7]
	s_cbranch_execz .LBB38_55
; %bb.52:
	v_mov_b32_e32 v99, 0
	v_add_u32_e32 v99, 0x84, v99
	v_subrev_u32_e32 v100, 33, v0
	s_movk_i32 s14, 0x124
	s_mov_b64 s[6:7], 0
.LBB38_53:                              ; =>This Inner Loop Header: Depth=1
	buffer_load_dword v101, v99, s[0:3], 0 offen
	v_mov_b32_e32 v102, s14
	ds_read_b32 v102, v102
	v_add_u32_e32 v100, -1, v100
	s_add_i32 s14, s14, 4
	v_cmp_eq_u32_e32 vcc, 0, v100
	v_add_u32_e32 v99, 4, v99
	s_or_b64 s[6:7], vcc, s[6:7]
	s_waitcnt vmcnt(0) lgkmcnt(0)
	v_fmac_f32_e32 v98, v101, v102
	s_andn2_b64 exec, exec, s[6:7]
	s_cbranch_execnz .LBB38_53
; %bb.54:
	s_or_b64 exec, exec, s[6:7]
.LBB38_55:
	s_or_b64 exec, exec, s[12:13]
	v_mov_b32_e32 v99, 0
	ds_read_b32 v99, v99 offset:128
	s_waitcnt lgkmcnt(0)
	v_mul_f32_e32 v98, v98, v99
	buffer_store_dword v98, off, s[0:3], 0 offset:128
.LBB38_56:
	s_or_b64 exec, exec, s[8:9]
	buffer_load_dword v98, off, s[0:3], 0 offset:124
	v_cmp_lt_u32_e64 s[6:7], 31, v0
	s_waitcnt vmcnt(0)
	ds_write_b32 v80, v98
	s_waitcnt lgkmcnt(0)
	; wave barrier
	s_waitcnt lgkmcnt(0)
	s_and_saveexec_b64 s[8:9], s[6:7]
	s_cbranch_execz .LBB38_66
; %bb.57:
	s_andn2_b64 vcc, exec, s[10:11]
	s_cbranch_vccnz .LBB38_59
; %bb.58:
	buffer_load_dword v98, v81, s[0:3], 0 offen
	ds_read_b32 v99, v80
	s_waitcnt vmcnt(0) lgkmcnt(0)
	v_mul_f32_e32 v98, v98, v99
	s_cbranch_execz .LBB38_60
	s_branch .LBB38_61
.LBB38_59:
                                        ; implicit-def: $vgpr98
.LBB38_60:
	ds_read_b32 v98, v80
.LBB38_61:
	s_and_saveexec_b64 s[12:13], s[4:5]
	s_cbranch_execz .LBB38_65
; %bb.62:
	v_subrev_u32_e32 v99, 32, v0
	s_movk_i32 s14, 0x120
	s_mov_b64 s[4:5], 0
.LBB38_63:                              ; =>This Inner Loop Header: Depth=1
	buffer_load_dword v100, v97, s[0:3], 0 offen
	v_mov_b32_e32 v101, s14
	ds_read_b32 v101, v101
	v_add_u32_e32 v99, -1, v99
	s_add_i32 s14, s14, 4
	v_cmp_eq_u32_e32 vcc, 0, v99
	v_add_u32_e32 v97, 4, v97
	s_or_b64 s[4:5], vcc, s[4:5]
	s_waitcnt vmcnt(0) lgkmcnt(0)
	v_fmac_f32_e32 v98, v100, v101
	s_andn2_b64 exec, exec, s[4:5]
	s_cbranch_execnz .LBB38_63
; %bb.64:
	s_or_b64 exec, exec, s[4:5]
.LBB38_65:
	s_or_b64 exec, exec, s[12:13]
	v_mov_b32_e32 v97, 0
	ds_read_b32 v97, v97 offset:124
	s_waitcnt lgkmcnt(0)
	v_mul_f32_e32 v97, v98, v97
	buffer_store_dword v97, off, s[0:3], 0 offset:124
.LBB38_66:
	s_or_b64 exec, exec, s[8:9]
	buffer_load_dword v97, off, s[0:3], 0 offset:120
	v_cmp_lt_u32_e64 s[4:5], 30, v0
	s_waitcnt vmcnt(0)
	ds_write_b32 v80, v97
	s_waitcnt lgkmcnt(0)
	; wave barrier
	s_waitcnt lgkmcnt(0)
	s_and_saveexec_b64 s[8:9], s[4:5]
	s_cbranch_execz .LBB38_76
; %bb.67:
	s_andn2_b64 vcc, exec, s[10:11]
	s_cbranch_vccnz .LBB38_69
; %bb.68:
	buffer_load_dword v97, v81, s[0:3], 0 offen
	ds_read_b32 v98, v80
	s_waitcnt vmcnt(0) lgkmcnt(0)
	v_mul_f32_e32 v97, v97, v98
	s_cbranch_execz .LBB38_70
	s_branch .LBB38_71
.LBB38_69:
                                        ; implicit-def: $vgpr97
.LBB38_70:
	ds_read_b32 v97, v80
.LBB38_71:
	s_and_saveexec_b64 s[12:13], s[6:7]
	s_cbranch_execz .LBB38_75
; %bb.72:
	v_mov_b32_e32 v98, 0
	v_add_u32_e32 v98, 0x7c, v98
	v_subrev_u32_e32 v99, 31, v0
	s_movk_i32 s14, 0x11c
	s_mov_b64 s[6:7], 0
.LBB38_73:                              ; =>This Inner Loop Header: Depth=1
	buffer_load_dword v100, v98, s[0:3], 0 offen
	v_mov_b32_e32 v101, s14
	ds_read_b32 v101, v101
	v_add_u32_e32 v99, -1, v99
	s_add_i32 s14, s14, 4
	v_cmp_eq_u32_e32 vcc, 0, v99
	v_add_u32_e32 v98, 4, v98
	s_or_b64 s[6:7], vcc, s[6:7]
	s_waitcnt vmcnt(0) lgkmcnt(0)
	v_fmac_f32_e32 v97, v100, v101
	s_andn2_b64 exec, exec, s[6:7]
	s_cbranch_execnz .LBB38_73
; %bb.74:
	s_or_b64 exec, exec, s[6:7]
.LBB38_75:
	s_or_b64 exec, exec, s[12:13]
	v_mov_b32_e32 v98, 0
	ds_read_b32 v98, v98 offset:120
	s_waitcnt lgkmcnt(0)
	v_mul_f32_e32 v97, v97, v98
	buffer_store_dword v97, off, s[0:3], 0 offset:120
.LBB38_76:
	s_or_b64 exec, exec, s[8:9]
	buffer_load_dword v97, off, s[0:3], 0 offset:116
	v_cmp_lt_u32_e64 s[6:7], 29, v0
	s_waitcnt vmcnt(0)
	ds_write_b32 v80, v97
	s_waitcnt lgkmcnt(0)
	; wave barrier
	s_waitcnt lgkmcnt(0)
	s_and_saveexec_b64 s[8:9], s[6:7]
	s_cbranch_execz .LBB38_86
; %bb.77:
	s_andn2_b64 vcc, exec, s[10:11]
	s_cbranch_vccnz .LBB38_79
; %bb.78:
	buffer_load_dword v97, v81, s[0:3], 0 offen
	ds_read_b32 v98, v80
	s_waitcnt vmcnt(0) lgkmcnt(0)
	v_mul_f32_e32 v97, v97, v98
	s_cbranch_execz .LBB38_80
	s_branch .LBB38_81
.LBB38_79:
                                        ; implicit-def: $vgpr97
.LBB38_80:
	ds_read_b32 v97, v80
.LBB38_81:
	s_and_saveexec_b64 s[12:13], s[4:5]
	s_cbranch_execz .LBB38_85
; %bb.82:
	v_subrev_u32_e32 v98, 30, v0
	s_movk_i32 s14, 0x118
	s_mov_b64 s[4:5], 0
.LBB38_83:                              ; =>This Inner Loop Header: Depth=1
	buffer_load_dword v99, v96, s[0:3], 0 offen
	v_mov_b32_e32 v100, s14
	ds_read_b32 v100, v100
	v_add_u32_e32 v98, -1, v98
	s_add_i32 s14, s14, 4
	v_cmp_eq_u32_e32 vcc, 0, v98
	v_add_u32_e32 v96, 4, v96
	s_or_b64 s[4:5], vcc, s[4:5]
	s_waitcnt vmcnt(0) lgkmcnt(0)
	v_fmac_f32_e32 v97, v99, v100
	s_andn2_b64 exec, exec, s[4:5]
	s_cbranch_execnz .LBB38_83
; %bb.84:
	s_or_b64 exec, exec, s[4:5]
.LBB38_85:
	s_or_b64 exec, exec, s[12:13]
	v_mov_b32_e32 v96, 0
	ds_read_b32 v96, v96 offset:116
	s_waitcnt lgkmcnt(0)
	v_mul_f32_e32 v96, v97, v96
	buffer_store_dword v96, off, s[0:3], 0 offset:116
.LBB38_86:
	s_or_b64 exec, exec, s[8:9]
	buffer_load_dword v96, off, s[0:3], 0 offset:112
	v_cmp_lt_u32_e64 s[4:5], 28, v0
	s_waitcnt vmcnt(0)
	ds_write_b32 v80, v96
	s_waitcnt lgkmcnt(0)
	; wave barrier
	s_waitcnt lgkmcnt(0)
	s_and_saveexec_b64 s[8:9], s[4:5]
	s_cbranch_execz .LBB38_96
; %bb.87:
	s_andn2_b64 vcc, exec, s[10:11]
	s_cbranch_vccnz .LBB38_89
; %bb.88:
	buffer_load_dword v96, v81, s[0:3], 0 offen
	ds_read_b32 v97, v80
	s_waitcnt vmcnt(0) lgkmcnt(0)
	v_mul_f32_e32 v96, v96, v97
	s_cbranch_execz .LBB38_90
	s_branch .LBB38_91
.LBB38_89:
                                        ; implicit-def: $vgpr96
.LBB38_90:
	ds_read_b32 v96, v80
.LBB38_91:
	s_and_saveexec_b64 s[12:13], s[6:7]
	s_cbranch_execz .LBB38_95
; %bb.92:
	v_mov_b32_e32 v97, 0
	v_add_u32_e32 v97, 0x74, v97
	v_subrev_u32_e32 v98, 29, v0
	s_movk_i32 s14, 0x114
	s_mov_b64 s[6:7], 0
.LBB38_93:                              ; =>This Inner Loop Header: Depth=1
	buffer_load_dword v99, v97, s[0:3], 0 offen
	v_mov_b32_e32 v100, s14
	ds_read_b32 v100, v100
	v_add_u32_e32 v98, -1, v98
	s_add_i32 s14, s14, 4
	v_cmp_eq_u32_e32 vcc, 0, v98
	v_add_u32_e32 v97, 4, v97
	s_or_b64 s[6:7], vcc, s[6:7]
	s_waitcnt vmcnt(0) lgkmcnt(0)
	v_fmac_f32_e32 v96, v99, v100
	s_andn2_b64 exec, exec, s[6:7]
	s_cbranch_execnz .LBB38_93
; %bb.94:
	s_or_b64 exec, exec, s[6:7]
.LBB38_95:
	s_or_b64 exec, exec, s[12:13]
	v_mov_b32_e32 v97, 0
	ds_read_b32 v97, v97 offset:112
	s_waitcnt lgkmcnt(0)
	v_mul_f32_e32 v96, v96, v97
	buffer_store_dword v96, off, s[0:3], 0 offset:112
.LBB38_96:
	s_or_b64 exec, exec, s[8:9]
	buffer_load_dword v96, off, s[0:3], 0 offset:108
	v_cmp_lt_u32_e64 s[6:7], 27, v0
	s_waitcnt vmcnt(0)
	ds_write_b32 v80, v96
	s_waitcnt lgkmcnt(0)
	; wave barrier
	s_waitcnt lgkmcnt(0)
	s_and_saveexec_b64 s[8:9], s[6:7]
	s_cbranch_execz .LBB38_106
; %bb.97:
	s_andn2_b64 vcc, exec, s[10:11]
	s_cbranch_vccnz .LBB38_99
; %bb.98:
	buffer_load_dword v96, v81, s[0:3], 0 offen
	ds_read_b32 v97, v80
	s_waitcnt vmcnt(0) lgkmcnt(0)
	v_mul_f32_e32 v96, v96, v97
	s_cbranch_execz .LBB38_100
	s_branch .LBB38_101
.LBB38_99:
                                        ; implicit-def: $vgpr96
.LBB38_100:
	ds_read_b32 v96, v80
.LBB38_101:
	s_and_saveexec_b64 s[12:13], s[4:5]
	s_cbranch_execz .LBB38_105
; %bb.102:
	v_subrev_u32_e32 v97, 28, v0
	s_movk_i32 s14, 0x110
	s_mov_b64 s[4:5], 0
.LBB38_103:                             ; =>This Inner Loop Header: Depth=1
	buffer_load_dword v98, v95, s[0:3], 0 offen
	v_mov_b32_e32 v99, s14
	ds_read_b32 v99, v99
	v_add_u32_e32 v97, -1, v97
	s_add_i32 s14, s14, 4
	v_cmp_eq_u32_e32 vcc, 0, v97
	v_add_u32_e32 v95, 4, v95
	s_or_b64 s[4:5], vcc, s[4:5]
	s_waitcnt vmcnt(0) lgkmcnt(0)
	v_fmac_f32_e32 v96, v98, v99
	s_andn2_b64 exec, exec, s[4:5]
	s_cbranch_execnz .LBB38_103
; %bb.104:
	s_or_b64 exec, exec, s[4:5]
.LBB38_105:
	s_or_b64 exec, exec, s[12:13]
	v_mov_b32_e32 v95, 0
	ds_read_b32 v95, v95 offset:108
	s_waitcnt lgkmcnt(0)
	v_mul_f32_e32 v95, v96, v95
	buffer_store_dword v95, off, s[0:3], 0 offset:108
.LBB38_106:
	s_or_b64 exec, exec, s[8:9]
	buffer_load_dword v95, off, s[0:3], 0 offset:104
	v_cmp_lt_u32_e64 s[4:5], 26, v0
	s_waitcnt vmcnt(0)
	ds_write_b32 v80, v95
	s_waitcnt lgkmcnt(0)
	; wave barrier
	s_waitcnt lgkmcnt(0)
	s_and_saveexec_b64 s[8:9], s[4:5]
	s_cbranch_execz .LBB38_116
; %bb.107:
	s_andn2_b64 vcc, exec, s[10:11]
	s_cbranch_vccnz .LBB38_109
; %bb.108:
	buffer_load_dword v95, v81, s[0:3], 0 offen
	ds_read_b32 v96, v80
	s_waitcnt vmcnt(0) lgkmcnt(0)
	v_mul_f32_e32 v95, v95, v96
	s_cbranch_execz .LBB38_110
	s_branch .LBB38_111
.LBB38_109:
                                        ; implicit-def: $vgpr95
.LBB38_110:
	ds_read_b32 v95, v80
.LBB38_111:
	s_and_saveexec_b64 s[12:13], s[6:7]
	s_cbranch_execz .LBB38_115
; %bb.112:
	v_mov_b32_e32 v96, 0
	v_add_u32_e32 v96, 0x6c, v96
	v_subrev_u32_e32 v97, 27, v0
	s_movk_i32 s14, 0x10c
	s_mov_b64 s[6:7], 0
.LBB38_113:                             ; =>This Inner Loop Header: Depth=1
	buffer_load_dword v98, v96, s[0:3], 0 offen
	v_mov_b32_e32 v99, s14
	ds_read_b32 v99, v99
	v_add_u32_e32 v97, -1, v97
	s_add_i32 s14, s14, 4
	v_cmp_eq_u32_e32 vcc, 0, v97
	v_add_u32_e32 v96, 4, v96
	s_or_b64 s[6:7], vcc, s[6:7]
	s_waitcnt vmcnt(0) lgkmcnt(0)
	v_fmac_f32_e32 v95, v98, v99
	s_andn2_b64 exec, exec, s[6:7]
	s_cbranch_execnz .LBB38_113
; %bb.114:
	s_or_b64 exec, exec, s[6:7]
.LBB38_115:
	s_or_b64 exec, exec, s[12:13]
	v_mov_b32_e32 v96, 0
	ds_read_b32 v96, v96 offset:104
	s_waitcnt lgkmcnt(0)
	v_mul_f32_e32 v95, v95, v96
	buffer_store_dword v95, off, s[0:3], 0 offset:104
.LBB38_116:
	s_or_b64 exec, exec, s[8:9]
	buffer_load_dword v95, off, s[0:3], 0 offset:100
	v_cmp_lt_u32_e64 s[6:7], 25, v0
	s_waitcnt vmcnt(0)
	ds_write_b32 v80, v95
	s_waitcnt lgkmcnt(0)
	; wave barrier
	s_waitcnt lgkmcnt(0)
	s_and_saveexec_b64 s[8:9], s[6:7]
	s_cbranch_execz .LBB38_126
; %bb.117:
	s_andn2_b64 vcc, exec, s[10:11]
	s_cbranch_vccnz .LBB38_119
; %bb.118:
	buffer_load_dword v95, v81, s[0:3], 0 offen
	ds_read_b32 v96, v80
	s_waitcnt vmcnt(0) lgkmcnt(0)
	v_mul_f32_e32 v95, v95, v96
	s_cbranch_execz .LBB38_120
	s_branch .LBB38_121
.LBB38_119:
                                        ; implicit-def: $vgpr95
.LBB38_120:
	ds_read_b32 v95, v80
.LBB38_121:
	s_and_saveexec_b64 s[12:13], s[4:5]
	s_cbranch_execz .LBB38_125
; %bb.122:
	v_subrev_u32_e32 v96, 26, v0
	s_movk_i32 s14, 0x108
	s_mov_b64 s[4:5], 0
.LBB38_123:                             ; =>This Inner Loop Header: Depth=1
	buffer_load_dword v97, v94, s[0:3], 0 offen
	v_mov_b32_e32 v98, s14
	ds_read_b32 v98, v98
	v_add_u32_e32 v96, -1, v96
	s_add_i32 s14, s14, 4
	v_cmp_eq_u32_e32 vcc, 0, v96
	v_add_u32_e32 v94, 4, v94
	s_or_b64 s[4:5], vcc, s[4:5]
	s_waitcnt vmcnt(0) lgkmcnt(0)
	v_fmac_f32_e32 v95, v97, v98
	s_andn2_b64 exec, exec, s[4:5]
	s_cbranch_execnz .LBB38_123
; %bb.124:
	s_or_b64 exec, exec, s[4:5]
.LBB38_125:
	s_or_b64 exec, exec, s[12:13]
	v_mov_b32_e32 v94, 0
	ds_read_b32 v94, v94 offset:100
	s_waitcnt lgkmcnt(0)
	v_mul_f32_e32 v94, v95, v94
	buffer_store_dword v94, off, s[0:3], 0 offset:100
.LBB38_126:
	s_or_b64 exec, exec, s[8:9]
	buffer_load_dword v94, off, s[0:3], 0 offset:96
	v_cmp_lt_u32_e64 s[4:5], 24, v0
	s_waitcnt vmcnt(0)
	ds_write_b32 v80, v94
	s_waitcnt lgkmcnt(0)
	; wave barrier
	s_waitcnt lgkmcnt(0)
	s_and_saveexec_b64 s[8:9], s[4:5]
	s_cbranch_execz .LBB38_136
; %bb.127:
	s_andn2_b64 vcc, exec, s[10:11]
	s_cbranch_vccnz .LBB38_129
; %bb.128:
	buffer_load_dword v94, v81, s[0:3], 0 offen
	ds_read_b32 v95, v80
	s_waitcnt vmcnt(0) lgkmcnt(0)
	v_mul_f32_e32 v94, v94, v95
	s_cbranch_execz .LBB38_130
	s_branch .LBB38_131
.LBB38_129:
                                        ; implicit-def: $vgpr94
.LBB38_130:
	ds_read_b32 v94, v80
.LBB38_131:
	s_and_saveexec_b64 s[12:13], s[6:7]
	s_cbranch_execz .LBB38_135
; %bb.132:
	v_mov_b32_e32 v95, 0
	v_add_u32_e32 v95, 0x64, v95
	v_subrev_u32_e32 v96, 25, v0
	s_movk_i32 s14, 0x104
	s_mov_b64 s[6:7], 0
.LBB38_133:                             ; =>This Inner Loop Header: Depth=1
	buffer_load_dword v97, v95, s[0:3], 0 offen
	v_mov_b32_e32 v98, s14
	ds_read_b32 v98, v98
	v_add_u32_e32 v96, -1, v96
	s_add_i32 s14, s14, 4
	v_cmp_eq_u32_e32 vcc, 0, v96
	v_add_u32_e32 v95, 4, v95
	s_or_b64 s[6:7], vcc, s[6:7]
	s_waitcnt vmcnt(0) lgkmcnt(0)
	v_fmac_f32_e32 v94, v97, v98
	s_andn2_b64 exec, exec, s[6:7]
	s_cbranch_execnz .LBB38_133
; %bb.134:
	s_or_b64 exec, exec, s[6:7]
.LBB38_135:
	s_or_b64 exec, exec, s[12:13]
	v_mov_b32_e32 v95, 0
	ds_read_b32 v95, v95 offset:96
	s_waitcnt lgkmcnt(0)
	v_mul_f32_e32 v94, v94, v95
	buffer_store_dword v94, off, s[0:3], 0 offset:96
.LBB38_136:
	s_or_b64 exec, exec, s[8:9]
	buffer_load_dword v94, off, s[0:3], 0 offset:92
	v_cmp_lt_u32_e64 s[6:7], 23, v0
	s_waitcnt vmcnt(0)
	ds_write_b32 v80, v94
	s_waitcnt lgkmcnt(0)
	; wave barrier
	s_waitcnt lgkmcnt(0)
	s_and_saveexec_b64 s[8:9], s[6:7]
	s_cbranch_execz .LBB38_146
; %bb.137:
	s_andn2_b64 vcc, exec, s[10:11]
	s_cbranch_vccnz .LBB38_139
; %bb.138:
	buffer_load_dword v94, v81, s[0:3], 0 offen
	ds_read_b32 v95, v80
	s_waitcnt vmcnt(0) lgkmcnt(0)
	v_mul_f32_e32 v94, v94, v95
	s_cbranch_execz .LBB38_140
	s_branch .LBB38_141
.LBB38_139:
                                        ; implicit-def: $vgpr94
.LBB38_140:
	ds_read_b32 v94, v80
.LBB38_141:
	s_and_saveexec_b64 s[12:13], s[4:5]
	s_cbranch_execz .LBB38_145
; %bb.142:
	v_subrev_u32_e32 v95, 24, v0
	s_movk_i32 s14, 0x100
	s_mov_b64 s[4:5], 0
.LBB38_143:                             ; =>This Inner Loop Header: Depth=1
	buffer_load_dword v96, v93, s[0:3], 0 offen
	v_mov_b32_e32 v97, s14
	ds_read_b32 v97, v97
	v_add_u32_e32 v95, -1, v95
	s_add_i32 s14, s14, 4
	v_cmp_eq_u32_e32 vcc, 0, v95
	v_add_u32_e32 v93, 4, v93
	s_or_b64 s[4:5], vcc, s[4:5]
	s_waitcnt vmcnt(0) lgkmcnt(0)
	v_fmac_f32_e32 v94, v96, v97
	s_andn2_b64 exec, exec, s[4:5]
	s_cbranch_execnz .LBB38_143
; %bb.144:
	s_or_b64 exec, exec, s[4:5]
.LBB38_145:
	s_or_b64 exec, exec, s[12:13]
	v_mov_b32_e32 v93, 0
	ds_read_b32 v93, v93 offset:92
	s_waitcnt lgkmcnt(0)
	v_mul_f32_e32 v93, v94, v93
	buffer_store_dword v93, off, s[0:3], 0 offset:92
.LBB38_146:
	s_or_b64 exec, exec, s[8:9]
	buffer_load_dword v93, off, s[0:3], 0 offset:88
	v_cmp_lt_u32_e64 s[4:5], 22, v0
	s_waitcnt vmcnt(0)
	ds_write_b32 v80, v93
	s_waitcnt lgkmcnt(0)
	; wave barrier
	s_waitcnt lgkmcnt(0)
	s_and_saveexec_b64 s[8:9], s[4:5]
	s_cbranch_execz .LBB38_156
; %bb.147:
	s_andn2_b64 vcc, exec, s[10:11]
	s_cbranch_vccnz .LBB38_149
; %bb.148:
	buffer_load_dword v93, v81, s[0:3], 0 offen
	ds_read_b32 v94, v80
	s_waitcnt vmcnt(0) lgkmcnt(0)
	v_mul_f32_e32 v93, v93, v94
	s_cbranch_execz .LBB38_150
	s_branch .LBB38_151
.LBB38_149:
                                        ; implicit-def: $vgpr93
.LBB38_150:
	ds_read_b32 v93, v80
.LBB38_151:
	s_and_saveexec_b64 s[12:13], s[6:7]
	s_cbranch_execz .LBB38_155
; %bb.152:
	v_mov_b32_e32 v94, 0
	v_add_u32_e32 v94, 0x5c, v94
	v_subrev_u32_e32 v95, 23, v0
	s_movk_i32 s14, 0xfc
	s_mov_b64 s[6:7], 0
.LBB38_153:                             ; =>This Inner Loop Header: Depth=1
	buffer_load_dword v96, v94, s[0:3], 0 offen
	v_mov_b32_e32 v97, s14
	ds_read_b32 v97, v97
	v_add_u32_e32 v95, -1, v95
	s_add_i32 s14, s14, 4
	v_cmp_eq_u32_e32 vcc, 0, v95
	v_add_u32_e32 v94, 4, v94
	s_or_b64 s[6:7], vcc, s[6:7]
	s_waitcnt vmcnt(0) lgkmcnt(0)
	v_fmac_f32_e32 v93, v96, v97
	s_andn2_b64 exec, exec, s[6:7]
	s_cbranch_execnz .LBB38_153
; %bb.154:
	s_or_b64 exec, exec, s[6:7]
.LBB38_155:
	s_or_b64 exec, exec, s[12:13]
	v_mov_b32_e32 v94, 0
	ds_read_b32 v94, v94 offset:88
	s_waitcnt lgkmcnt(0)
	v_mul_f32_e32 v93, v93, v94
	buffer_store_dword v93, off, s[0:3], 0 offset:88
.LBB38_156:
	s_or_b64 exec, exec, s[8:9]
	buffer_load_dword v93, off, s[0:3], 0 offset:84
	v_cmp_lt_u32_e64 s[6:7], 21, v0
	s_waitcnt vmcnt(0)
	ds_write_b32 v80, v93
	s_waitcnt lgkmcnt(0)
	; wave barrier
	s_waitcnt lgkmcnt(0)
	s_and_saveexec_b64 s[8:9], s[6:7]
	s_cbranch_execz .LBB38_166
; %bb.157:
	s_andn2_b64 vcc, exec, s[10:11]
	s_cbranch_vccnz .LBB38_159
; %bb.158:
	buffer_load_dword v93, v81, s[0:3], 0 offen
	ds_read_b32 v94, v80
	s_waitcnt vmcnt(0) lgkmcnt(0)
	v_mul_f32_e32 v93, v93, v94
	s_cbranch_execz .LBB38_160
	s_branch .LBB38_161
.LBB38_159:
                                        ; implicit-def: $vgpr93
.LBB38_160:
	ds_read_b32 v93, v80
.LBB38_161:
	s_and_saveexec_b64 s[12:13], s[4:5]
	s_cbranch_execz .LBB38_165
; %bb.162:
	v_subrev_u32_e32 v94, 22, v0
	s_movk_i32 s14, 0xf8
	s_mov_b64 s[4:5], 0
.LBB38_163:                             ; =>This Inner Loop Header: Depth=1
	buffer_load_dword v95, v92, s[0:3], 0 offen
	v_mov_b32_e32 v96, s14
	ds_read_b32 v96, v96
	v_add_u32_e32 v94, -1, v94
	s_add_i32 s14, s14, 4
	v_cmp_eq_u32_e32 vcc, 0, v94
	v_add_u32_e32 v92, 4, v92
	s_or_b64 s[4:5], vcc, s[4:5]
	s_waitcnt vmcnt(0) lgkmcnt(0)
	v_fmac_f32_e32 v93, v95, v96
	s_andn2_b64 exec, exec, s[4:5]
	s_cbranch_execnz .LBB38_163
; %bb.164:
	s_or_b64 exec, exec, s[4:5]
.LBB38_165:
	s_or_b64 exec, exec, s[12:13]
	v_mov_b32_e32 v92, 0
	ds_read_b32 v92, v92 offset:84
	s_waitcnt lgkmcnt(0)
	v_mul_f32_e32 v92, v93, v92
	buffer_store_dword v92, off, s[0:3], 0 offset:84
.LBB38_166:
	s_or_b64 exec, exec, s[8:9]
	buffer_load_dword v92, off, s[0:3], 0 offset:80
	v_cmp_lt_u32_e64 s[4:5], 20, v0
	s_waitcnt vmcnt(0)
	ds_write_b32 v80, v92
	s_waitcnt lgkmcnt(0)
	; wave barrier
	s_waitcnt lgkmcnt(0)
	s_and_saveexec_b64 s[8:9], s[4:5]
	s_cbranch_execz .LBB38_176
; %bb.167:
	s_andn2_b64 vcc, exec, s[10:11]
	s_cbranch_vccnz .LBB38_169
; %bb.168:
	buffer_load_dword v92, v81, s[0:3], 0 offen
	ds_read_b32 v93, v80
	s_waitcnt vmcnt(0) lgkmcnt(0)
	v_mul_f32_e32 v92, v92, v93
	s_cbranch_execz .LBB38_170
	s_branch .LBB38_171
.LBB38_169:
                                        ; implicit-def: $vgpr92
.LBB38_170:
	ds_read_b32 v92, v80
.LBB38_171:
	s_and_saveexec_b64 s[12:13], s[6:7]
	s_cbranch_execz .LBB38_175
; %bb.172:
	v_mov_b32_e32 v93, 0
	v_add_u32_e32 v93, 0x54, v93
	v_subrev_u32_e32 v94, 21, v0
	s_movk_i32 s14, 0xf4
	s_mov_b64 s[6:7], 0
.LBB38_173:                             ; =>This Inner Loop Header: Depth=1
	buffer_load_dword v95, v93, s[0:3], 0 offen
	v_mov_b32_e32 v96, s14
	ds_read_b32 v96, v96
	v_add_u32_e32 v94, -1, v94
	s_add_i32 s14, s14, 4
	v_cmp_eq_u32_e32 vcc, 0, v94
	v_add_u32_e32 v93, 4, v93
	s_or_b64 s[6:7], vcc, s[6:7]
	s_waitcnt vmcnt(0) lgkmcnt(0)
	v_fmac_f32_e32 v92, v95, v96
	s_andn2_b64 exec, exec, s[6:7]
	s_cbranch_execnz .LBB38_173
; %bb.174:
	s_or_b64 exec, exec, s[6:7]
.LBB38_175:
	s_or_b64 exec, exec, s[12:13]
	v_mov_b32_e32 v93, 0
	ds_read_b32 v93, v93 offset:80
	s_waitcnt lgkmcnt(0)
	v_mul_f32_e32 v92, v92, v93
	buffer_store_dword v92, off, s[0:3], 0 offset:80
.LBB38_176:
	s_or_b64 exec, exec, s[8:9]
	buffer_load_dword v92, off, s[0:3], 0 offset:76
	v_cmp_lt_u32_e64 s[6:7], 19, v0
	s_waitcnt vmcnt(0)
	ds_write_b32 v80, v92
	s_waitcnt lgkmcnt(0)
	; wave barrier
	s_waitcnt lgkmcnt(0)
	s_and_saveexec_b64 s[8:9], s[6:7]
	s_cbranch_execz .LBB38_186
; %bb.177:
	s_andn2_b64 vcc, exec, s[10:11]
	s_cbranch_vccnz .LBB38_179
; %bb.178:
	buffer_load_dword v92, v81, s[0:3], 0 offen
	ds_read_b32 v93, v80
	s_waitcnt vmcnt(0) lgkmcnt(0)
	v_mul_f32_e32 v92, v92, v93
	s_cbranch_execz .LBB38_180
	s_branch .LBB38_181
.LBB38_179:
                                        ; implicit-def: $vgpr92
.LBB38_180:
	ds_read_b32 v92, v80
.LBB38_181:
	s_and_saveexec_b64 s[12:13], s[4:5]
	s_cbranch_execz .LBB38_185
; %bb.182:
	v_subrev_u32_e32 v93, 20, v0
	s_movk_i32 s14, 0xf0
	s_mov_b64 s[4:5], 0
.LBB38_183:                             ; =>This Inner Loop Header: Depth=1
	buffer_load_dword v94, v91, s[0:3], 0 offen
	v_mov_b32_e32 v95, s14
	ds_read_b32 v95, v95
	v_add_u32_e32 v93, -1, v93
	s_add_i32 s14, s14, 4
	v_cmp_eq_u32_e32 vcc, 0, v93
	v_add_u32_e32 v91, 4, v91
	s_or_b64 s[4:5], vcc, s[4:5]
	s_waitcnt vmcnt(0) lgkmcnt(0)
	v_fmac_f32_e32 v92, v94, v95
	s_andn2_b64 exec, exec, s[4:5]
	s_cbranch_execnz .LBB38_183
; %bb.184:
	s_or_b64 exec, exec, s[4:5]
.LBB38_185:
	s_or_b64 exec, exec, s[12:13]
	v_mov_b32_e32 v91, 0
	ds_read_b32 v91, v91 offset:76
	s_waitcnt lgkmcnt(0)
	v_mul_f32_e32 v91, v92, v91
	buffer_store_dword v91, off, s[0:3], 0 offset:76
.LBB38_186:
	s_or_b64 exec, exec, s[8:9]
	buffer_load_dword v91, off, s[0:3], 0 offset:72
	v_cmp_lt_u32_e64 s[4:5], 18, v0
	s_waitcnt vmcnt(0)
	ds_write_b32 v80, v91
	s_waitcnt lgkmcnt(0)
	; wave barrier
	s_waitcnt lgkmcnt(0)
	s_and_saveexec_b64 s[8:9], s[4:5]
	s_cbranch_execz .LBB38_196
; %bb.187:
	s_andn2_b64 vcc, exec, s[10:11]
	s_cbranch_vccnz .LBB38_189
; %bb.188:
	buffer_load_dword v91, v81, s[0:3], 0 offen
	ds_read_b32 v92, v80
	s_waitcnt vmcnt(0) lgkmcnt(0)
	v_mul_f32_e32 v91, v91, v92
	s_cbranch_execz .LBB38_190
	s_branch .LBB38_191
.LBB38_189:
                                        ; implicit-def: $vgpr91
.LBB38_190:
	ds_read_b32 v91, v80
.LBB38_191:
	s_and_saveexec_b64 s[12:13], s[6:7]
	s_cbranch_execz .LBB38_195
; %bb.192:
	v_mov_b32_e32 v92, 0
	v_add_u32_e32 v92, 0x4c, v92
	v_subrev_u32_e32 v93, 19, v0
	s_movk_i32 s14, 0xec
	s_mov_b64 s[6:7], 0
.LBB38_193:                             ; =>This Inner Loop Header: Depth=1
	buffer_load_dword v94, v92, s[0:3], 0 offen
	v_mov_b32_e32 v95, s14
	ds_read_b32 v95, v95
	v_add_u32_e32 v93, -1, v93
	s_add_i32 s14, s14, 4
	v_cmp_eq_u32_e32 vcc, 0, v93
	v_add_u32_e32 v92, 4, v92
	s_or_b64 s[6:7], vcc, s[6:7]
	s_waitcnt vmcnt(0) lgkmcnt(0)
	v_fmac_f32_e32 v91, v94, v95
	s_andn2_b64 exec, exec, s[6:7]
	s_cbranch_execnz .LBB38_193
; %bb.194:
	s_or_b64 exec, exec, s[6:7]
.LBB38_195:
	s_or_b64 exec, exec, s[12:13]
	v_mov_b32_e32 v92, 0
	ds_read_b32 v92, v92 offset:72
	s_waitcnt lgkmcnt(0)
	v_mul_f32_e32 v91, v91, v92
	buffer_store_dword v91, off, s[0:3], 0 offset:72
.LBB38_196:
	s_or_b64 exec, exec, s[8:9]
	buffer_load_dword v91, off, s[0:3], 0 offset:68
	v_cmp_lt_u32_e64 s[6:7], 17, v0
	s_waitcnt vmcnt(0)
	ds_write_b32 v80, v91
	s_waitcnt lgkmcnt(0)
	; wave barrier
	s_waitcnt lgkmcnt(0)
	s_and_saveexec_b64 s[8:9], s[6:7]
	s_cbranch_execz .LBB38_206
; %bb.197:
	s_andn2_b64 vcc, exec, s[10:11]
	s_cbranch_vccnz .LBB38_199
; %bb.198:
	buffer_load_dword v91, v81, s[0:3], 0 offen
	ds_read_b32 v92, v80
	s_waitcnt vmcnt(0) lgkmcnt(0)
	v_mul_f32_e32 v91, v91, v92
	s_cbranch_execz .LBB38_200
	s_branch .LBB38_201
.LBB38_199:
                                        ; implicit-def: $vgpr91
.LBB38_200:
	ds_read_b32 v91, v80
.LBB38_201:
	s_and_saveexec_b64 s[12:13], s[4:5]
	s_cbranch_execz .LBB38_205
; %bb.202:
	v_subrev_u32_e32 v92, 18, v0
	s_movk_i32 s14, 0xe8
	s_mov_b64 s[4:5], 0
.LBB38_203:                             ; =>This Inner Loop Header: Depth=1
	buffer_load_dword v93, v90, s[0:3], 0 offen
	v_mov_b32_e32 v94, s14
	ds_read_b32 v94, v94
	v_add_u32_e32 v92, -1, v92
	s_add_i32 s14, s14, 4
	v_cmp_eq_u32_e32 vcc, 0, v92
	v_add_u32_e32 v90, 4, v90
	s_or_b64 s[4:5], vcc, s[4:5]
	s_waitcnt vmcnt(0) lgkmcnt(0)
	v_fmac_f32_e32 v91, v93, v94
	s_andn2_b64 exec, exec, s[4:5]
	s_cbranch_execnz .LBB38_203
; %bb.204:
	s_or_b64 exec, exec, s[4:5]
.LBB38_205:
	s_or_b64 exec, exec, s[12:13]
	v_mov_b32_e32 v90, 0
	ds_read_b32 v90, v90 offset:68
	s_waitcnt lgkmcnt(0)
	v_mul_f32_e32 v90, v91, v90
	buffer_store_dword v90, off, s[0:3], 0 offset:68
.LBB38_206:
	s_or_b64 exec, exec, s[8:9]
	buffer_load_dword v90, off, s[0:3], 0 offset:64
	v_cmp_lt_u32_e64 s[4:5], 16, v0
	s_waitcnt vmcnt(0)
	ds_write_b32 v80, v90
	s_waitcnt lgkmcnt(0)
	; wave barrier
	s_waitcnt lgkmcnt(0)
	s_and_saveexec_b64 s[8:9], s[4:5]
	s_cbranch_execz .LBB38_216
; %bb.207:
	s_andn2_b64 vcc, exec, s[10:11]
	s_cbranch_vccnz .LBB38_209
; %bb.208:
	buffer_load_dword v90, v81, s[0:3], 0 offen
	ds_read_b32 v91, v80
	s_waitcnt vmcnt(0) lgkmcnt(0)
	v_mul_f32_e32 v90, v90, v91
	s_cbranch_execz .LBB38_210
	s_branch .LBB38_211
.LBB38_209:
                                        ; implicit-def: $vgpr90
.LBB38_210:
	ds_read_b32 v90, v80
.LBB38_211:
	s_and_saveexec_b64 s[12:13], s[6:7]
	s_cbranch_execz .LBB38_215
; %bb.212:
	v_mov_b32_e32 v91, 0
	v_add_u32_e32 v91, 0x44, v91
	v_subrev_u32_e32 v92, 17, v0
	s_movk_i32 s14, 0xe4
	s_mov_b64 s[6:7], 0
.LBB38_213:                             ; =>This Inner Loop Header: Depth=1
	buffer_load_dword v93, v91, s[0:3], 0 offen
	v_mov_b32_e32 v94, s14
	ds_read_b32 v94, v94
	v_add_u32_e32 v92, -1, v92
	s_add_i32 s14, s14, 4
	v_cmp_eq_u32_e32 vcc, 0, v92
	v_add_u32_e32 v91, 4, v91
	s_or_b64 s[6:7], vcc, s[6:7]
	s_waitcnt vmcnt(0) lgkmcnt(0)
	v_fmac_f32_e32 v90, v93, v94
	s_andn2_b64 exec, exec, s[6:7]
	s_cbranch_execnz .LBB38_213
; %bb.214:
	s_or_b64 exec, exec, s[6:7]
.LBB38_215:
	s_or_b64 exec, exec, s[12:13]
	v_mov_b32_e32 v91, 0
	ds_read_b32 v91, v91 offset:64
	s_waitcnt lgkmcnt(0)
	v_mul_f32_e32 v90, v90, v91
	buffer_store_dword v90, off, s[0:3], 0 offset:64
.LBB38_216:
	s_or_b64 exec, exec, s[8:9]
	buffer_load_dword v90, off, s[0:3], 0 offset:60
	v_cmp_lt_u32_e64 s[6:7], 15, v0
	s_waitcnt vmcnt(0)
	ds_write_b32 v80, v90
	s_waitcnt lgkmcnt(0)
	; wave barrier
	s_waitcnt lgkmcnt(0)
	s_and_saveexec_b64 s[8:9], s[6:7]
	s_cbranch_execz .LBB38_226
; %bb.217:
	s_andn2_b64 vcc, exec, s[10:11]
	s_cbranch_vccnz .LBB38_219
; %bb.218:
	buffer_load_dword v90, v81, s[0:3], 0 offen
	ds_read_b32 v91, v80
	s_waitcnt vmcnt(0) lgkmcnt(0)
	v_mul_f32_e32 v90, v90, v91
	s_cbranch_execz .LBB38_220
	s_branch .LBB38_221
.LBB38_219:
                                        ; implicit-def: $vgpr90
.LBB38_220:
	ds_read_b32 v90, v80
.LBB38_221:
	s_and_saveexec_b64 s[12:13], s[4:5]
	s_cbranch_execz .LBB38_225
; %bb.222:
	v_add_u32_e32 v91, -16, v0
	s_movk_i32 s14, 0xe0
	s_mov_b64 s[4:5], 0
.LBB38_223:                             ; =>This Inner Loop Header: Depth=1
	buffer_load_dword v92, v89, s[0:3], 0 offen
	v_mov_b32_e32 v93, s14
	ds_read_b32 v93, v93
	v_add_u32_e32 v91, -1, v91
	s_add_i32 s14, s14, 4
	v_cmp_eq_u32_e32 vcc, 0, v91
	v_add_u32_e32 v89, 4, v89
	s_or_b64 s[4:5], vcc, s[4:5]
	s_waitcnt vmcnt(0) lgkmcnt(0)
	v_fmac_f32_e32 v90, v92, v93
	s_andn2_b64 exec, exec, s[4:5]
	s_cbranch_execnz .LBB38_223
; %bb.224:
	s_or_b64 exec, exec, s[4:5]
.LBB38_225:
	s_or_b64 exec, exec, s[12:13]
	v_mov_b32_e32 v89, 0
	ds_read_b32 v89, v89 offset:60
	s_waitcnt lgkmcnt(0)
	v_mul_f32_e32 v89, v90, v89
	buffer_store_dword v89, off, s[0:3], 0 offset:60
.LBB38_226:
	s_or_b64 exec, exec, s[8:9]
	buffer_load_dword v89, off, s[0:3], 0 offset:56
	v_cmp_lt_u32_e64 s[4:5], 14, v0
	s_waitcnt vmcnt(0)
	ds_write_b32 v80, v89
	s_waitcnt lgkmcnt(0)
	; wave barrier
	s_waitcnt lgkmcnt(0)
	s_and_saveexec_b64 s[8:9], s[4:5]
	s_cbranch_execz .LBB38_236
; %bb.227:
	s_andn2_b64 vcc, exec, s[10:11]
	s_cbranch_vccnz .LBB38_229
; %bb.228:
	buffer_load_dword v89, v81, s[0:3], 0 offen
	ds_read_b32 v90, v80
	s_waitcnt vmcnt(0) lgkmcnt(0)
	v_mul_f32_e32 v89, v89, v90
	s_cbranch_execz .LBB38_230
	s_branch .LBB38_231
.LBB38_229:
                                        ; implicit-def: $vgpr89
.LBB38_230:
	ds_read_b32 v89, v80
.LBB38_231:
	s_and_saveexec_b64 s[12:13], s[6:7]
	s_cbranch_execz .LBB38_235
; %bb.232:
	v_mov_b32_e32 v90, 0
	v_add_u32_e32 v90, 60, v90
	v_add_u32_e32 v91, -15, v0
	s_movk_i32 s14, 0xdc
	s_mov_b64 s[6:7], 0
.LBB38_233:                             ; =>This Inner Loop Header: Depth=1
	buffer_load_dword v92, v90, s[0:3], 0 offen
	v_mov_b32_e32 v93, s14
	ds_read_b32 v93, v93
	v_add_u32_e32 v91, -1, v91
	s_add_i32 s14, s14, 4
	v_cmp_eq_u32_e32 vcc, 0, v91
	v_add_u32_e32 v90, 4, v90
	s_or_b64 s[6:7], vcc, s[6:7]
	s_waitcnt vmcnt(0) lgkmcnt(0)
	v_fmac_f32_e32 v89, v92, v93
	s_andn2_b64 exec, exec, s[6:7]
	s_cbranch_execnz .LBB38_233
; %bb.234:
	s_or_b64 exec, exec, s[6:7]
.LBB38_235:
	s_or_b64 exec, exec, s[12:13]
	v_mov_b32_e32 v90, 0
	ds_read_b32 v90, v90 offset:56
	s_waitcnt lgkmcnt(0)
	v_mul_f32_e32 v89, v89, v90
	buffer_store_dword v89, off, s[0:3], 0 offset:56
.LBB38_236:
	s_or_b64 exec, exec, s[8:9]
	buffer_load_dword v89, off, s[0:3], 0 offset:52
	v_cmp_lt_u32_e64 s[6:7], 13, v0
	s_waitcnt vmcnt(0)
	ds_write_b32 v80, v89
	s_waitcnt lgkmcnt(0)
	; wave barrier
	s_waitcnt lgkmcnt(0)
	s_and_saveexec_b64 s[8:9], s[6:7]
	s_cbranch_execz .LBB38_246
; %bb.237:
	s_andn2_b64 vcc, exec, s[10:11]
	s_cbranch_vccnz .LBB38_239
; %bb.238:
	buffer_load_dword v89, v81, s[0:3], 0 offen
	ds_read_b32 v90, v80
	s_waitcnt vmcnt(0) lgkmcnt(0)
	v_mul_f32_e32 v89, v89, v90
	s_cbranch_execz .LBB38_240
	s_branch .LBB38_241
.LBB38_239:
                                        ; implicit-def: $vgpr89
.LBB38_240:
	ds_read_b32 v89, v80
.LBB38_241:
	s_and_saveexec_b64 s[12:13], s[4:5]
	s_cbranch_execz .LBB38_245
; %bb.242:
	v_add_u32_e32 v90, -14, v0
	s_movk_i32 s14, 0xd8
	s_mov_b64 s[4:5], 0
.LBB38_243:                             ; =>This Inner Loop Header: Depth=1
	buffer_load_dword v91, v88, s[0:3], 0 offen
	v_mov_b32_e32 v92, s14
	ds_read_b32 v92, v92
	v_add_u32_e32 v90, -1, v90
	s_add_i32 s14, s14, 4
	v_cmp_eq_u32_e32 vcc, 0, v90
	v_add_u32_e32 v88, 4, v88
	s_or_b64 s[4:5], vcc, s[4:5]
	s_waitcnt vmcnt(0) lgkmcnt(0)
	v_fmac_f32_e32 v89, v91, v92
	s_andn2_b64 exec, exec, s[4:5]
	s_cbranch_execnz .LBB38_243
; %bb.244:
	s_or_b64 exec, exec, s[4:5]
.LBB38_245:
	s_or_b64 exec, exec, s[12:13]
	v_mov_b32_e32 v88, 0
	ds_read_b32 v88, v88 offset:52
	s_waitcnt lgkmcnt(0)
	v_mul_f32_e32 v88, v89, v88
	buffer_store_dword v88, off, s[0:3], 0 offset:52
.LBB38_246:
	s_or_b64 exec, exec, s[8:9]
	buffer_load_dword v88, off, s[0:3], 0 offset:48
	v_cmp_lt_u32_e64 s[4:5], 12, v0
	s_waitcnt vmcnt(0)
	ds_write_b32 v80, v88
	s_waitcnt lgkmcnt(0)
	; wave barrier
	s_waitcnt lgkmcnt(0)
	s_and_saveexec_b64 s[8:9], s[4:5]
	s_cbranch_execz .LBB38_256
; %bb.247:
	s_andn2_b64 vcc, exec, s[10:11]
	s_cbranch_vccnz .LBB38_249
; %bb.248:
	buffer_load_dword v88, v81, s[0:3], 0 offen
	ds_read_b32 v89, v80
	s_waitcnt vmcnt(0) lgkmcnt(0)
	v_mul_f32_e32 v88, v88, v89
	s_cbranch_execz .LBB38_250
	s_branch .LBB38_251
.LBB38_249:
                                        ; implicit-def: $vgpr88
.LBB38_250:
	ds_read_b32 v88, v80
.LBB38_251:
	s_and_saveexec_b64 s[12:13], s[6:7]
	s_cbranch_execz .LBB38_255
; %bb.252:
	v_mov_b32_e32 v89, 0
	v_add_u32_e32 v89, 52, v89
	v_add_u32_e32 v90, -13, v0
	s_movk_i32 s14, 0xd4
	s_mov_b64 s[6:7], 0
.LBB38_253:                             ; =>This Inner Loop Header: Depth=1
	buffer_load_dword v91, v89, s[0:3], 0 offen
	v_mov_b32_e32 v92, s14
	ds_read_b32 v92, v92
	v_add_u32_e32 v90, -1, v90
	s_add_i32 s14, s14, 4
	v_cmp_eq_u32_e32 vcc, 0, v90
	v_add_u32_e32 v89, 4, v89
	s_or_b64 s[6:7], vcc, s[6:7]
	s_waitcnt vmcnt(0) lgkmcnt(0)
	v_fmac_f32_e32 v88, v91, v92
	s_andn2_b64 exec, exec, s[6:7]
	s_cbranch_execnz .LBB38_253
; %bb.254:
	s_or_b64 exec, exec, s[6:7]
.LBB38_255:
	s_or_b64 exec, exec, s[12:13]
	v_mov_b32_e32 v89, 0
	ds_read_b32 v89, v89 offset:48
	s_waitcnt lgkmcnt(0)
	v_mul_f32_e32 v88, v88, v89
	buffer_store_dword v88, off, s[0:3], 0 offset:48
.LBB38_256:
	s_or_b64 exec, exec, s[8:9]
	buffer_load_dword v88, off, s[0:3], 0 offset:44
	v_cmp_lt_u32_e64 s[6:7], 11, v0
	s_waitcnt vmcnt(0)
	ds_write_b32 v80, v88
	s_waitcnt lgkmcnt(0)
	; wave barrier
	s_waitcnt lgkmcnt(0)
	s_and_saveexec_b64 s[8:9], s[6:7]
	s_cbranch_execz .LBB38_266
; %bb.257:
	s_andn2_b64 vcc, exec, s[10:11]
	s_cbranch_vccnz .LBB38_259
; %bb.258:
	buffer_load_dword v88, v81, s[0:3], 0 offen
	ds_read_b32 v89, v80
	s_waitcnt vmcnt(0) lgkmcnt(0)
	v_mul_f32_e32 v88, v88, v89
	s_cbranch_execz .LBB38_260
	s_branch .LBB38_261
.LBB38_259:
                                        ; implicit-def: $vgpr88
.LBB38_260:
	ds_read_b32 v88, v80
.LBB38_261:
	s_and_saveexec_b64 s[12:13], s[4:5]
	s_cbranch_execz .LBB38_265
; %bb.262:
	v_add_u32_e32 v89, -12, v0
	s_movk_i32 s14, 0xd0
	s_mov_b64 s[4:5], 0
.LBB38_263:                             ; =>This Inner Loop Header: Depth=1
	buffer_load_dword v90, v87, s[0:3], 0 offen
	v_mov_b32_e32 v91, s14
	ds_read_b32 v91, v91
	v_add_u32_e32 v89, -1, v89
	s_add_i32 s14, s14, 4
	v_cmp_eq_u32_e32 vcc, 0, v89
	v_add_u32_e32 v87, 4, v87
	s_or_b64 s[4:5], vcc, s[4:5]
	s_waitcnt vmcnt(0) lgkmcnt(0)
	v_fmac_f32_e32 v88, v90, v91
	s_andn2_b64 exec, exec, s[4:5]
	s_cbranch_execnz .LBB38_263
; %bb.264:
	s_or_b64 exec, exec, s[4:5]
.LBB38_265:
	s_or_b64 exec, exec, s[12:13]
	v_mov_b32_e32 v87, 0
	ds_read_b32 v87, v87 offset:44
	s_waitcnt lgkmcnt(0)
	v_mul_f32_e32 v87, v88, v87
	buffer_store_dword v87, off, s[0:3], 0 offset:44
.LBB38_266:
	s_or_b64 exec, exec, s[8:9]
	buffer_load_dword v87, off, s[0:3], 0 offset:40
	v_cmp_lt_u32_e64 s[4:5], 10, v0
	s_waitcnt vmcnt(0)
	ds_write_b32 v80, v87
	s_waitcnt lgkmcnt(0)
	; wave barrier
	s_waitcnt lgkmcnt(0)
	s_and_saveexec_b64 s[8:9], s[4:5]
	s_cbranch_execz .LBB38_276
; %bb.267:
	s_andn2_b64 vcc, exec, s[10:11]
	s_cbranch_vccnz .LBB38_269
; %bb.268:
	buffer_load_dword v87, v81, s[0:3], 0 offen
	ds_read_b32 v88, v80
	s_waitcnt vmcnt(0) lgkmcnt(0)
	v_mul_f32_e32 v87, v87, v88
	s_cbranch_execz .LBB38_270
	s_branch .LBB38_271
.LBB38_269:
                                        ; implicit-def: $vgpr87
.LBB38_270:
	ds_read_b32 v87, v80
.LBB38_271:
	s_and_saveexec_b64 s[12:13], s[6:7]
	s_cbranch_execz .LBB38_275
; %bb.272:
	v_mov_b32_e32 v88, 0
	v_add_u32_e32 v88, 44, v88
	v_add_u32_e32 v89, -11, v0
	s_movk_i32 s14, 0xcc
	s_mov_b64 s[6:7], 0
.LBB38_273:                             ; =>This Inner Loop Header: Depth=1
	buffer_load_dword v90, v88, s[0:3], 0 offen
	v_mov_b32_e32 v91, s14
	ds_read_b32 v91, v91
	v_add_u32_e32 v89, -1, v89
	s_add_i32 s14, s14, 4
	v_cmp_eq_u32_e32 vcc, 0, v89
	v_add_u32_e32 v88, 4, v88
	s_or_b64 s[6:7], vcc, s[6:7]
	s_waitcnt vmcnt(0) lgkmcnt(0)
	v_fmac_f32_e32 v87, v90, v91
	s_andn2_b64 exec, exec, s[6:7]
	s_cbranch_execnz .LBB38_273
; %bb.274:
	s_or_b64 exec, exec, s[6:7]
.LBB38_275:
	s_or_b64 exec, exec, s[12:13]
	v_mov_b32_e32 v88, 0
	ds_read_b32 v88, v88 offset:40
	s_waitcnt lgkmcnt(0)
	v_mul_f32_e32 v87, v87, v88
	buffer_store_dword v87, off, s[0:3], 0 offset:40
.LBB38_276:
	s_or_b64 exec, exec, s[8:9]
	buffer_load_dword v87, off, s[0:3], 0 offset:36
	v_cmp_lt_u32_e64 s[6:7], 9, v0
	s_waitcnt vmcnt(0)
	ds_write_b32 v80, v87
	s_waitcnt lgkmcnt(0)
	; wave barrier
	s_waitcnt lgkmcnt(0)
	s_and_saveexec_b64 s[8:9], s[6:7]
	s_cbranch_execz .LBB38_286
; %bb.277:
	s_andn2_b64 vcc, exec, s[10:11]
	s_cbranch_vccnz .LBB38_279
; %bb.278:
	buffer_load_dword v87, v81, s[0:3], 0 offen
	ds_read_b32 v88, v80
	s_waitcnt vmcnt(0) lgkmcnt(0)
	v_mul_f32_e32 v87, v87, v88
	s_cbranch_execz .LBB38_280
	s_branch .LBB38_281
.LBB38_279:
                                        ; implicit-def: $vgpr87
.LBB38_280:
	ds_read_b32 v87, v80
.LBB38_281:
	s_and_saveexec_b64 s[12:13], s[4:5]
	s_cbranch_execz .LBB38_285
; %bb.282:
	v_add_u32_e32 v88, -10, v0
	s_movk_i32 s14, 0xc8
	s_mov_b64 s[4:5], 0
.LBB38_283:                             ; =>This Inner Loop Header: Depth=1
	buffer_load_dword v89, v86, s[0:3], 0 offen
	v_mov_b32_e32 v90, s14
	ds_read_b32 v90, v90
	v_add_u32_e32 v88, -1, v88
	s_add_i32 s14, s14, 4
	v_cmp_eq_u32_e32 vcc, 0, v88
	v_add_u32_e32 v86, 4, v86
	s_or_b64 s[4:5], vcc, s[4:5]
	s_waitcnt vmcnt(0) lgkmcnt(0)
	v_fmac_f32_e32 v87, v89, v90
	s_andn2_b64 exec, exec, s[4:5]
	s_cbranch_execnz .LBB38_283
; %bb.284:
	s_or_b64 exec, exec, s[4:5]
.LBB38_285:
	s_or_b64 exec, exec, s[12:13]
	v_mov_b32_e32 v86, 0
	ds_read_b32 v86, v86 offset:36
	s_waitcnt lgkmcnt(0)
	v_mul_f32_e32 v86, v87, v86
	buffer_store_dword v86, off, s[0:3], 0 offset:36
.LBB38_286:
	s_or_b64 exec, exec, s[8:9]
	buffer_load_dword v86, off, s[0:3], 0 offset:32
	v_cmp_lt_u32_e64 s[4:5], 8, v0
	s_waitcnt vmcnt(0)
	ds_write_b32 v80, v86
	s_waitcnt lgkmcnt(0)
	; wave barrier
	s_waitcnt lgkmcnt(0)
	s_and_saveexec_b64 s[8:9], s[4:5]
	s_cbranch_execz .LBB38_296
; %bb.287:
	s_andn2_b64 vcc, exec, s[10:11]
	s_cbranch_vccnz .LBB38_289
; %bb.288:
	buffer_load_dword v86, v81, s[0:3], 0 offen
	ds_read_b32 v87, v80
	s_waitcnt vmcnt(0) lgkmcnt(0)
	v_mul_f32_e32 v86, v86, v87
	s_cbranch_execz .LBB38_290
	s_branch .LBB38_291
.LBB38_289:
                                        ; implicit-def: $vgpr86
.LBB38_290:
	ds_read_b32 v86, v80
.LBB38_291:
	s_and_saveexec_b64 s[12:13], s[6:7]
	s_cbranch_execz .LBB38_295
; %bb.292:
	v_mov_b32_e32 v87, 0
	v_add_u32_e32 v87, 36, v87
	v_add_u32_e32 v88, -9, v0
	s_movk_i32 s14, 0xc4
	s_mov_b64 s[6:7], 0
.LBB38_293:                             ; =>This Inner Loop Header: Depth=1
	buffer_load_dword v89, v87, s[0:3], 0 offen
	v_mov_b32_e32 v90, s14
	ds_read_b32 v90, v90
	v_add_u32_e32 v88, -1, v88
	s_add_i32 s14, s14, 4
	v_cmp_eq_u32_e32 vcc, 0, v88
	v_add_u32_e32 v87, 4, v87
	s_or_b64 s[6:7], vcc, s[6:7]
	s_waitcnt vmcnt(0) lgkmcnt(0)
	v_fmac_f32_e32 v86, v89, v90
	s_andn2_b64 exec, exec, s[6:7]
	s_cbranch_execnz .LBB38_293
; %bb.294:
	s_or_b64 exec, exec, s[6:7]
.LBB38_295:
	s_or_b64 exec, exec, s[12:13]
	v_mov_b32_e32 v87, 0
	ds_read_b32 v87, v87 offset:32
	s_waitcnt lgkmcnt(0)
	v_mul_f32_e32 v86, v86, v87
	buffer_store_dword v86, off, s[0:3], 0 offset:32
.LBB38_296:
	s_or_b64 exec, exec, s[8:9]
	buffer_load_dword v86, off, s[0:3], 0 offset:28
	v_cmp_lt_u32_e64 s[6:7], 7, v0
	s_waitcnt vmcnt(0)
	ds_write_b32 v80, v86
	s_waitcnt lgkmcnt(0)
	; wave barrier
	s_waitcnt lgkmcnt(0)
	s_and_saveexec_b64 s[8:9], s[6:7]
	s_cbranch_execz .LBB38_306
; %bb.297:
	s_andn2_b64 vcc, exec, s[10:11]
	s_cbranch_vccnz .LBB38_299
; %bb.298:
	buffer_load_dword v86, v81, s[0:3], 0 offen
	ds_read_b32 v87, v80
	s_waitcnt vmcnt(0) lgkmcnt(0)
	v_mul_f32_e32 v86, v86, v87
	s_cbranch_execz .LBB38_300
	s_branch .LBB38_301
.LBB38_299:
                                        ; implicit-def: $vgpr86
.LBB38_300:
	ds_read_b32 v86, v80
.LBB38_301:
	s_and_saveexec_b64 s[12:13], s[4:5]
	s_cbranch_execz .LBB38_305
; %bb.302:
	v_add_u32_e32 v87, -8, v0
	s_movk_i32 s14, 0xc0
	s_mov_b64 s[4:5], 0
.LBB38_303:                             ; =>This Inner Loop Header: Depth=1
	buffer_load_dword v88, v85, s[0:3], 0 offen
	v_mov_b32_e32 v89, s14
	ds_read_b32 v89, v89
	v_add_u32_e32 v87, -1, v87
	s_add_i32 s14, s14, 4
	v_cmp_eq_u32_e32 vcc, 0, v87
	v_add_u32_e32 v85, 4, v85
	s_or_b64 s[4:5], vcc, s[4:5]
	s_waitcnt vmcnt(0) lgkmcnt(0)
	v_fmac_f32_e32 v86, v88, v89
	s_andn2_b64 exec, exec, s[4:5]
	s_cbranch_execnz .LBB38_303
; %bb.304:
	s_or_b64 exec, exec, s[4:5]
.LBB38_305:
	s_or_b64 exec, exec, s[12:13]
	v_mov_b32_e32 v85, 0
	ds_read_b32 v85, v85 offset:28
	s_waitcnt lgkmcnt(0)
	v_mul_f32_e32 v85, v86, v85
	buffer_store_dword v85, off, s[0:3], 0 offset:28
.LBB38_306:
	s_or_b64 exec, exec, s[8:9]
	buffer_load_dword v85, off, s[0:3], 0 offset:24
	v_cmp_lt_u32_e64 s[4:5], 6, v0
	s_waitcnt vmcnt(0)
	ds_write_b32 v80, v85
	s_waitcnt lgkmcnt(0)
	; wave barrier
	s_waitcnt lgkmcnt(0)
	s_and_saveexec_b64 s[8:9], s[4:5]
	s_cbranch_execz .LBB38_316
; %bb.307:
	s_andn2_b64 vcc, exec, s[10:11]
	s_cbranch_vccnz .LBB38_309
; %bb.308:
	buffer_load_dword v85, v81, s[0:3], 0 offen
	ds_read_b32 v86, v80
	s_waitcnt vmcnt(0) lgkmcnt(0)
	v_mul_f32_e32 v85, v85, v86
	s_cbranch_execz .LBB38_310
	s_branch .LBB38_311
.LBB38_309:
                                        ; implicit-def: $vgpr85
.LBB38_310:
	ds_read_b32 v85, v80
.LBB38_311:
	s_and_saveexec_b64 s[12:13], s[6:7]
	s_cbranch_execz .LBB38_315
; %bb.312:
	v_mov_b32_e32 v86, 0
	v_add_u32_e32 v86, 28, v86
	v_add_u32_e32 v87, -7, v0
	s_movk_i32 s14, 0xbc
	s_mov_b64 s[6:7], 0
.LBB38_313:                             ; =>This Inner Loop Header: Depth=1
	buffer_load_dword v88, v86, s[0:3], 0 offen
	v_mov_b32_e32 v89, s14
	ds_read_b32 v89, v89
	v_add_u32_e32 v87, -1, v87
	s_add_i32 s14, s14, 4
	v_cmp_eq_u32_e32 vcc, 0, v87
	v_add_u32_e32 v86, 4, v86
	s_or_b64 s[6:7], vcc, s[6:7]
	s_waitcnt vmcnt(0) lgkmcnt(0)
	v_fmac_f32_e32 v85, v88, v89
	s_andn2_b64 exec, exec, s[6:7]
	s_cbranch_execnz .LBB38_313
; %bb.314:
	s_or_b64 exec, exec, s[6:7]
.LBB38_315:
	s_or_b64 exec, exec, s[12:13]
	v_mov_b32_e32 v86, 0
	ds_read_b32 v86, v86 offset:24
	s_waitcnt lgkmcnt(0)
	v_mul_f32_e32 v85, v85, v86
	buffer_store_dword v85, off, s[0:3], 0 offset:24
.LBB38_316:
	s_or_b64 exec, exec, s[8:9]
	buffer_load_dword v85, off, s[0:3], 0 offset:20
	v_cmp_lt_u32_e64 s[6:7], 5, v0
	s_waitcnt vmcnt(0)
	ds_write_b32 v80, v85
	s_waitcnt lgkmcnt(0)
	; wave barrier
	s_waitcnt lgkmcnt(0)
	s_and_saveexec_b64 s[8:9], s[6:7]
	s_cbranch_execz .LBB38_326
; %bb.317:
	s_andn2_b64 vcc, exec, s[10:11]
	s_cbranch_vccnz .LBB38_319
; %bb.318:
	buffer_load_dword v85, v81, s[0:3], 0 offen
	ds_read_b32 v86, v80
	s_waitcnt vmcnt(0) lgkmcnt(0)
	v_mul_f32_e32 v85, v85, v86
	s_cbranch_execz .LBB38_320
	s_branch .LBB38_321
.LBB38_319:
                                        ; implicit-def: $vgpr85
.LBB38_320:
	ds_read_b32 v85, v80
.LBB38_321:
	s_and_saveexec_b64 s[12:13], s[4:5]
	s_cbranch_execz .LBB38_325
; %bb.322:
	v_add_u32_e32 v86, -6, v0
	s_movk_i32 s14, 0xb8
	s_mov_b64 s[4:5], 0
.LBB38_323:                             ; =>This Inner Loop Header: Depth=1
	buffer_load_dword v87, v84, s[0:3], 0 offen
	v_mov_b32_e32 v88, s14
	ds_read_b32 v88, v88
	v_add_u32_e32 v86, -1, v86
	s_add_i32 s14, s14, 4
	v_cmp_eq_u32_e32 vcc, 0, v86
	v_add_u32_e32 v84, 4, v84
	s_or_b64 s[4:5], vcc, s[4:5]
	s_waitcnt vmcnt(0) lgkmcnt(0)
	v_fmac_f32_e32 v85, v87, v88
	s_andn2_b64 exec, exec, s[4:5]
	s_cbranch_execnz .LBB38_323
; %bb.324:
	s_or_b64 exec, exec, s[4:5]
.LBB38_325:
	s_or_b64 exec, exec, s[12:13]
	v_mov_b32_e32 v84, 0
	ds_read_b32 v84, v84 offset:20
	s_waitcnt lgkmcnt(0)
	v_mul_f32_e32 v84, v85, v84
	buffer_store_dword v84, off, s[0:3], 0 offset:20
.LBB38_326:
	s_or_b64 exec, exec, s[8:9]
	buffer_load_dword v84, off, s[0:3], 0 offset:16
	v_cmp_lt_u32_e64 s[4:5], 4, v0
	s_waitcnt vmcnt(0)
	ds_write_b32 v80, v84
	s_waitcnt lgkmcnt(0)
	; wave barrier
	s_waitcnt lgkmcnt(0)
	s_and_saveexec_b64 s[8:9], s[4:5]
	s_cbranch_execz .LBB38_336
; %bb.327:
	s_andn2_b64 vcc, exec, s[10:11]
	s_cbranch_vccnz .LBB38_329
; %bb.328:
	buffer_load_dword v84, v81, s[0:3], 0 offen
	ds_read_b32 v85, v80
	s_waitcnt vmcnt(0) lgkmcnt(0)
	v_mul_f32_e32 v84, v84, v85
	s_cbranch_execz .LBB38_330
	s_branch .LBB38_331
.LBB38_329:
                                        ; implicit-def: $vgpr84
.LBB38_330:
	ds_read_b32 v84, v80
.LBB38_331:
	s_and_saveexec_b64 s[12:13], s[6:7]
	s_cbranch_execz .LBB38_335
; %bb.332:
	v_mov_b32_e32 v85, 0
	v_add_u32_e32 v85, 20, v85
	v_add_u32_e32 v86, -5, v0
	s_movk_i32 s14, 0xb4
	s_mov_b64 s[6:7], 0
.LBB38_333:                             ; =>This Inner Loop Header: Depth=1
	buffer_load_dword v87, v85, s[0:3], 0 offen
	v_mov_b32_e32 v88, s14
	ds_read_b32 v88, v88
	v_add_u32_e32 v86, -1, v86
	s_add_i32 s14, s14, 4
	v_cmp_eq_u32_e32 vcc, 0, v86
	v_add_u32_e32 v85, 4, v85
	s_or_b64 s[6:7], vcc, s[6:7]
	s_waitcnt vmcnt(0) lgkmcnt(0)
	v_fmac_f32_e32 v84, v87, v88
	s_andn2_b64 exec, exec, s[6:7]
	s_cbranch_execnz .LBB38_333
; %bb.334:
	s_or_b64 exec, exec, s[6:7]
.LBB38_335:
	s_or_b64 exec, exec, s[12:13]
	v_mov_b32_e32 v85, 0
	ds_read_b32 v85, v85 offset:16
	s_waitcnt lgkmcnt(0)
	v_mul_f32_e32 v84, v84, v85
	buffer_store_dword v84, off, s[0:3], 0 offset:16
.LBB38_336:
	s_or_b64 exec, exec, s[8:9]
	buffer_load_dword v84, off, s[0:3], 0 offset:12
	v_cmp_lt_u32_e64 s[6:7], 3, v0
	s_waitcnt vmcnt(0)
	ds_write_b32 v80, v84
	s_waitcnt lgkmcnt(0)
	; wave barrier
	s_waitcnt lgkmcnt(0)
	s_and_saveexec_b64 s[8:9], s[6:7]
	s_cbranch_execz .LBB38_346
; %bb.337:
	s_andn2_b64 vcc, exec, s[10:11]
	s_cbranch_vccnz .LBB38_339
; %bb.338:
	buffer_load_dword v84, v81, s[0:3], 0 offen
	ds_read_b32 v85, v80
	s_waitcnt vmcnt(0) lgkmcnt(0)
	v_mul_f32_e32 v84, v84, v85
	s_cbranch_execz .LBB38_340
	s_branch .LBB38_341
.LBB38_339:
                                        ; implicit-def: $vgpr84
.LBB38_340:
	ds_read_b32 v84, v80
.LBB38_341:
	s_and_saveexec_b64 s[12:13], s[4:5]
	s_cbranch_execz .LBB38_345
; %bb.342:
	v_add_u32_e32 v85, -4, v0
	s_movk_i32 s14, 0xb0
	s_mov_b64 s[4:5], 0
.LBB38_343:                             ; =>This Inner Loop Header: Depth=1
	buffer_load_dword v86, v83, s[0:3], 0 offen
	v_mov_b32_e32 v87, s14
	ds_read_b32 v87, v87
	v_add_u32_e32 v85, -1, v85
	s_add_i32 s14, s14, 4
	v_cmp_eq_u32_e32 vcc, 0, v85
	v_add_u32_e32 v83, 4, v83
	s_or_b64 s[4:5], vcc, s[4:5]
	s_waitcnt vmcnt(0) lgkmcnt(0)
	v_fmac_f32_e32 v84, v86, v87
	s_andn2_b64 exec, exec, s[4:5]
	s_cbranch_execnz .LBB38_343
; %bb.344:
	s_or_b64 exec, exec, s[4:5]
.LBB38_345:
	s_or_b64 exec, exec, s[12:13]
	v_mov_b32_e32 v83, 0
	ds_read_b32 v83, v83 offset:12
	s_waitcnt lgkmcnt(0)
	v_mul_f32_e32 v83, v84, v83
	buffer_store_dword v83, off, s[0:3], 0 offset:12
.LBB38_346:
	s_or_b64 exec, exec, s[8:9]
	buffer_load_dword v83, off, s[0:3], 0 offset:8
	v_cmp_lt_u32_e64 s[4:5], 2, v0
	s_waitcnt vmcnt(0)
	ds_write_b32 v80, v83
	s_waitcnt lgkmcnt(0)
	; wave barrier
	s_waitcnt lgkmcnt(0)
	s_and_saveexec_b64 s[8:9], s[4:5]
	s_cbranch_execz .LBB38_356
; %bb.347:
	s_andn2_b64 vcc, exec, s[10:11]
	s_cbranch_vccnz .LBB38_349
; %bb.348:
	buffer_load_dword v83, v81, s[0:3], 0 offen
	ds_read_b32 v84, v80
	s_waitcnt vmcnt(0) lgkmcnt(0)
	v_mul_f32_e32 v83, v83, v84
	s_cbranch_execz .LBB38_350
	s_branch .LBB38_351
.LBB38_349:
                                        ; implicit-def: $vgpr83
.LBB38_350:
	ds_read_b32 v83, v80
.LBB38_351:
	s_and_saveexec_b64 s[12:13], s[6:7]
	s_cbranch_execz .LBB38_355
; %bb.352:
	v_mov_b32_e32 v84, 0
	v_or_b32_e32 v84, 12, v84
	v_add_u32_e32 v85, -3, v0
	s_movk_i32 s14, 0xac
	s_mov_b64 s[6:7], 0
.LBB38_353:                             ; =>This Inner Loop Header: Depth=1
	buffer_load_dword v86, v84, s[0:3], 0 offen
	v_mov_b32_e32 v87, s14
	ds_read_b32 v87, v87
	v_add_u32_e32 v85, -1, v85
	s_add_i32 s14, s14, 4
	v_cmp_eq_u32_e32 vcc, 0, v85
	v_add_u32_e32 v84, 4, v84
	s_or_b64 s[6:7], vcc, s[6:7]
	s_waitcnt vmcnt(0) lgkmcnt(0)
	v_fmac_f32_e32 v83, v86, v87
	s_andn2_b64 exec, exec, s[6:7]
	s_cbranch_execnz .LBB38_353
; %bb.354:
	s_or_b64 exec, exec, s[6:7]
.LBB38_355:
	s_or_b64 exec, exec, s[12:13]
	v_mov_b32_e32 v84, 0
	ds_read_b32 v84, v84 offset:8
	s_waitcnt lgkmcnt(0)
	v_mul_f32_e32 v83, v83, v84
	buffer_store_dword v83, off, s[0:3], 0 offset:8
.LBB38_356:
	s_or_b64 exec, exec, s[8:9]
	buffer_load_dword v83, off, s[0:3], 0 offset:4
	v_cmp_lt_u32_e64 s[6:7], 1, v0
	s_waitcnt vmcnt(0)
	ds_write_b32 v80, v83
	s_waitcnt lgkmcnt(0)
	; wave barrier
	s_waitcnt lgkmcnt(0)
	s_and_saveexec_b64 s[8:9], s[6:7]
	s_cbranch_execz .LBB38_366
; %bb.357:
	s_andn2_b64 vcc, exec, s[10:11]
	s_cbranch_vccnz .LBB38_359
; %bb.358:
	buffer_load_dword v83, v81, s[0:3], 0 offen
	ds_read_b32 v84, v80
	s_waitcnt vmcnt(0) lgkmcnt(0)
	v_mul_f32_e32 v83, v83, v84
	s_cbranch_execz .LBB38_360
	s_branch .LBB38_361
.LBB38_359:
                                        ; implicit-def: $vgpr83
.LBB38_360:
	ds_read_b32 v83, v80
.LBB38_361:
	s_and_saveexec_b64 s[12:13], s[4:5]
	s_cbranch_execz .LBB38_365
; %bb.362:
	v_add_u32_e32 v84, -2, v0
	s_movk_i32 s14, 0xa8
	s_mov_b64 s[4:5], 0
.LBB38_363:                             ; =>This Inner Loop Header: Depth=1
	buffer_load_dword v85, v82, s[0:3], 0 offen
	v_mov_b32_e32 v86, s14
	ds_read_b32 v86, v86
	v_add_u32_e32 v84, -1, v84
	s_add_i32 s14, s14, 4
	v_cmp_eq_u32_e32 vcc, 0, v84
	v_add_u32_e32 v82, 4, v82
	s_or_b64 s[4:5], vcc, s[4:5]
	s_waitcnt vmcnt(0) lgkmcnt(0)
	v_fmac_f32_e32 v83, v85, v86
	s_andn2_b64 exec, exec, s[4:5]
	s_cbranch_execnz .LBB38_363
; %bb.364:
	s_or_b64 exec, exec, s[4:5]
.LBB38_365:
	s_or_b64 exec, exec, s[12:13]
	v_mov_b32_e32 v82, 0
	ds_read_b32 v82, v82 offset:4
	s_waitcnt lgkmcnt(0)
	v_mul_f32_e32 v82, v83, v82
	buffer_store_dword v82, off, s[0:3], 0 offset:4
.LBB38_366:
	s_or_b64 exec, exec, s[8:9]
	buffer_load_dword v82, off, s[0:3], 0
	v_cmp_ne_u32_e32 vcc, 0, v0
	s_waitcnt vmcnt(0)
	ds_write_b32 v80, v82
	s_waitcnt lgkmcnt(0)
	; wave barrier
	s_waitcnt lgkmcnt(0)
	s_and_saveexec_b64 s[4:5], vcc
	s_cbranch_execz .LBB38_376
; %bb.367:
	s_andn2_b64 vcc, exec, s[10:11]
	s_cbranch_vccnz .LBB38_369
; %bb.368:
	buffer_load_dword v82, v81, s[0:3], 0 offen
	ds_read_b32 v83, v80
	s_waitcnt vmcnt(0) lgkmcnt(0)
	v_mul_f32_e32 v82, v82, v83
	s_cbranch_execz .LBB38_370
	s_branch .LBB38_371
.LBB38_369:
                                        ; implicit-def: $vgpr82
.LBB38_370:
	ds_read_b32 v82, v80
.LBB38_371:
	s_and_saveexec_b64 s[8:9], s[6:7]
	s_cbranch_execz .LBB38_375
; %bb.372:
	v_mov_b32_e32 v83, 0
	v_or_b32_e32 v83, 4, v83
	v_add_u32_e32 v84, -1, v0
	s_movk_i32 s12, 0xa4
	s_mov_b64 s[6:7], 0
.LBB38_373:                             ; =>This Inner Loop Header: Depth=1
	buffer_load_dword v85, v83, s[0:3], 0 offen
	v_mov_b32_e32 v86, s12
	ds_read_b32 v86, v86
	v_add_u32_e32 v84, -1, v84
	s_add_i32 s12, s12, 4
	v_cmp_eq_u32_e32 vcc, 0, v84
	v_add_u32_e32 v83, 4, v83
	s_or_b64 s[6:7], vcc, s[6:7]
	s_waitcnt vmcnt(0) lgkmcnt(0)
	v_fmac_f32_e32 v82, v85, v86
	s_andn2_b64 exec, exec, s[6:7]
	s_cbranch_execnz .LBB38_373
; %bb.374:
	s_or_b64 exec, exec, s[6:7]
.LBB38_375:
	s_or_b64 exec, exec, s[8:9]
	v_mov_b32_e32 v83, 0
	ds_read_b32 v83, v83
	s_waitcnt lgkmcnt(0)
	v_mul_f32_e32 v82, v82, v83
	buffer_store_dword v82, off, s[0:3], 0
.LBB38_376:
	s_or_b64 exec, exec, s[4:5]
	s_mov_b64 s[4:5], 0
.LBB38_377:
	s_and_b64 vcc, exec, s[4:5]
	s_cbranch_vccz .LBB38_751
; %bb.378:
	buffer_load_dword v82, off, s[0:3], 0 offset:4
	v_cmp_eq_u32_e64 s[6:7], 0, v0
	s_waitcnt vmcnt(0)
	ds_write_b32 v80, v82
	s_waitcnt lgkmcnt(0)
	; wave barrier
	s_waitcnt lgkmcnt(0)
	s_and_saveexec_b64 s[4:5], s[6:7]
	s_cbranch_execz .LBB38_384
; %bb.379:
	s_and_b64 vcc, exec, s[10:11]
	s_cbranch_vccz .LBB38_381
; %bb.380:
	buffer_load_dword v82, v81, s[0:3], 0 offen
	ds_read_b32 v83, v80
	s_waitcnt vmcnt(0) lgkmcnt(0)
	v_mul_f32_e32 v82, v82, v83
	s_cbranch_execz .LBB38_382
	s_branch .LBB38_383
.LBB38_381:
                                        ; implicit-def: $vgpr82
.LBB38_382:
	ds_read_b32 v82, v80
.LBB38_383:
	v_mov_b32_e32 v83, 0
	ds_read_b32 v83, v83 offset:4
	s_waitcnt lgkmcnt(0)
	v_mul_f32_e32 v82, v82, v83
	buffer_store_dword v82, off, s[0:3], 0 offset:4
.LBB38_384:
	s_or_b64 exec, exec, s[4:5]
	buffer_load_dword v82, off, s[0:3], 0 offset:8
	v_cndmask_b32_e64 v83, 0, 1, s[10:11]
	v_cmp_gt_u32_e32 vcc, 2, v0
	v_cmp_ne_u32_e64 s[4:5], 1, v83
	s_waitcnt vmcnt(0)
	ds_write_b32 v80, v82
	s_waitcnt lgkmcnt(0)
	; wave barrier
	s_waitcnt lgkmcnt(0)
	s_and_saveexec_b64 s[8:9], vcc
	s_cbranch_execz .LBB38_392
; %bb.385:
	s_and_b64 vcc, exec, s[4:5]
	s_cbranch_vccnz .LBB38_387
; %bb.386:
	buffer_load_dword v82, v81, s[0:3], 0 offen
	ds_read_b32 v83, v80
	s_waitcnt vmcnt(0) lgkmcnt(0)
	v_mul_f32_e32 v82, v82, v83
	s_cbranch_execz .LBB38_388
	s_branch .LBB38_389
.LBB38_387:
                                        ; implicit-def: $vgpr82
.LBB38_388:
	ds_read_b32 v82, v80
.LBB38_389:
	s_and_saveexec_b64 s[10:11], s[6:7]
	s_cbranch_execz .LBB38_391
; %bb.390:
	buffer_load_dword v83, v81, s[0:3], 0 offen offset:4
	ds_read_b32 v84, v80 offset:4
	s_waitcnt vmcnt(0) lgkmcnt(0)
	v_fmac_f32_e32 v82, v83, v84
.LBB38_391:
	s_or_b64 exec, exec, s[10:11]
	v_mov_b32_e32 v83, 0
	ds_read_b32 v83, v83 offset:8
	s_waitcnt lgkmcnt(0)
	v_mul_f32_e32 v82, v82, v83
	buffer_store_dword v82, off, s[0:3], 0 offset:8
.LBB38_392:
	s_or_b64 exec, exec, s[8:9]
	buffer_load_dword v82, off, s[0:3], 0 offset:12
	v_cmp_gt_u32_e32 vcc, 3, v0
	s_waitcnt vmcnt(0)
	ds_write_b32 v80, v82
	s_waitcnt lgkmcnt(0)
	; wave barrier
	s_waitcnt lgkmcnt(0)
	s_and_saveexec_b64 s[8:9], vcc
	s_cbranch_execz .LBB38_400
; %bb.393:
	s_and_b64 vcc, exec, s[4:5]
	s_cbranch_vccnz .LBB38_395
; %bb.394:
	buffer_load_dword v82, v81, s[0:3], 0 offen
	ds_read_b32 v83, v80
	s_waitcnt vmcnt(0) lgkmcnt(0)
	v_mul_f32_e32 v82, v82, v83
	s_cbranch_execz .LBB38_396
	s_branch .LBB38_397
.LBB38_395:
                                        ; implicit-def: $vgpr82
.LBB38_396:
	ds_read_b32 v82, v80
.LBB38_397:
	v_cmp_ne_u32_e32 vcc, 2, v0
	s_and_saveexec_b64 s[10:11], vcc
	s_cbranch_execz .LBB38_399
; %bb.398:
	buffer_load_dword v83, v81, s[0:3], 0 offen offset:4
	buffer_load_dword v84, off, s[0:3], 0 offset:8
	v_mov_b32_e32 v85, 0
	ds_read_b32 v86, v80 offset:4
	ds_read_b32 v85, v85 offset:168
	s_waitcnt vmcnt(1) lgkmcnt(1)
	v_fmac_f32_e32 v82, v83, v86
	s_waitcnt vmcnt(0) lgkmcnt(0)
	v_fma_f32 v83, v84, v85, v82
	v_cndmask_b32_e64 v82, v82, v83, s[6:7]
.LBB38_399:
	s_or_b64 exec, exec, s[10:11]
	v_mov_b32_e32 v83, 0
	ds_read_b32 v83, v83 offset:12
	s_waitcnt lgkmcnt(0)
	v_mul_f32_e32 v82, v82, v83
	buffer_store_dword v82, off, s[0:3], 0 offset:12
.LBB38_400:
	s_or_b64 exec, exec, s[8:9]
	buffer_load_dword v82, off, s[0:3], 0 offset:16
	v_cmp_gt_u32_e32 vcc, 4, v0
	s_waitcnt vmcnt(0)
	ds_write_b32 v80, v82
	s_waitcnt lgkmcnt(0)
	; wave barrier
	s_waitcnt lgkmcnt(0)
	s_and_saveexec_b64 s[6:7], vcc
	s_cbranch_execz .LBB38_410
; %bb.401:
	s_and_b64 vcc, exec, s[4:5]
	s_cbranch_vccnz .LBB38_403
; %bb.402:
	buffer_load_dword v82, v81, s[0:3], 0 offen
	ds_read_b32 v83, v80
	s_waitcnt vmcnt(0) lgkmcnt(0)
	v_mul_f32_e32 v82, v82, v83
	s_cbranch_execz .LBB38_404
	s_branch .LBB38_405
.LBB38_403:
                                        ; implicit-def: $vgpr82
.LBB38_404:
	ds_read_b32 v82, v80
.LBB38_405:
	v_cmp_ne_u32_e32 vcc, 3, v0
	s_and_saveexec_b64 s[8:9], vcc
	s_cbranch_execz .LBB38_409
; %bb.406:
	v_mov_b32_e32 v84, 0
	v_add_u32_e32 v83, 0xa4, v1
	v_add3_u32 v84, v1, v84, 4
	s_mov_b64 s[10:11], 0
	v_mov_b32_e32 v85, v0
.LBB38_407:                             ; =>This Inner Loop Header: Depth=1
	buffer_load_dword v86, v84, s[0:3], 0 offen
	ds_read_b32 v87, v83
	v_add_u32_e32 v85, 1, v85
	v_cmp_lt_u32_e32 vcc, 2, v85
	v_add_u32_e32 v83, 4, v83
	v_add_u32_e32 v84, 4, v84
	s_or_b64 s[10:11], vcc, s[10:11]
	s_waitcnt vmcnt(0) lgkmcnt(0)
	v_fmac_f32_e32 v82, v86, v87
	s_andn2_b64 exec, exec, s[10:11]
	s_cbranch_execnz .LBB38_407
; %bb.408:
	s_or_b64 exec, exec, s[10:11]
.LBB38_409:
	s_or_b64 exec, exec, s[8:9]
	v_mov_b32_e32 v83, 0
	ds_read_b32 v83, v83 offset:16
	s_waitcnt lgkmcnt(0)
	v_mul_f32_e32 v82, v82, v83
	buffer_store_dword v82, off, s[0:3], 0 offset:16
.LBB38_410:
	s_or_b64 exec, exec, s[6:7]
	buffer_load_dword v82, off, s[0:3], 0 offset:20
	v_cmp_gt_u32_e32 vcc, 5, v0
	s_waitcnt vmcnt(0)
	ds_write_b32 v80, v82
	s_waitcnt lgkmcnt(0)
	; wave barrier
	s_waitcnt lgkmcnt(0)
	s_and_saveexec_b64 s[6:7], vcc
	s_cbranch_execz .LBB38_420
; %bb.411:
	s_and_b64 vcc, exec, s[4:5]
	s_cbranch_vccnz .LBB38_413
; %bb.412:
	buffer_load_dword v82, v81, s[0:3], 0 offen
	ds_read_b32 v83, v80
	s_waitcnt vmcnt(0) lgkmcnt(0)
	v_mul_f32_e32 v82, v82, v83
	s_cbranch_execz .LBB38_414
	s_branch .LBB38_415
.LBB38_413:
                                        ; implicit-def: $vgpr82
.LBB38_414:
	ds_read_b32 v82, v80
.LBB38_415:
	v_cmp_ne_u32_e32 vcc, 4, v0
	s_and_saveexec_b64 s[8:9], vcc
	s_cbranch_execz .LBB38_419
; %bb.416:
	v_mov_b32_e32 v84, 0
	v_add_u32_e32 v83, 0xa4, v1
	v_add3_u32 v84, v1, v84, 4
	s_mov_b64 s[10:11], 0
	v_mov_b32_e32 v85, v0
.LBB38_417:                             ; =>This Inner Loop Header: Depth=1
	buffer_load_dword v86, v84, s[0:3], 0 offen
	ds_read_b32 v87, v83
	v_add_u32_e32 v85, 1, v85
	v_cmp_lt_u32_e32 vcc, 3, v85
	v_add_u32_e32 v83, 4, v83
	v_add_u32_e32 v84, 4, v84
	s_or_b64 s[10:11], vcc, s[10:11]
	s_waitcnt vmcnt(0) lgkmcnt(0)
	v_fmac_f32_e32 v82, v86, v87
	s_andn2_b64 exec, exec, s[10:11]
	s_cbranch_execnz .LBB38_417
; %bb.418:
	s_or_b64 exec, exec, s[10:11]
.LBB38_419:
	s_or_b64 exec, exec, s[8:9]
	v_mov_b32_e32 v83, 0
	ds_read_b32 v83, v83 offset:20
	s_waitcnt lgkmcnt(0)
	v_mul_f32_e32 v82, v82, v83
	buffer_store_dword v82, off, s[0:3], 0 offset:20
.LBB38_420:
	;; [unrolled: 56-line block ×33, first 2 shown]
	s_or_b64 exec, exec, s[6:7]
	buffer_load_dword v82, off, s[0:3], 0 offset:148
	v_cmp_gt_u32_e64 s[6:7], 37, v0
	s_waitcnt vmcnt(0)
	ds_write_b32 v80, v82
	s_waitcnt lgkmcnt(0)
	; wave barrier
	s_waitcnt lgkmcnt(0)
	s_and_saveexec_b64 s[8:9], s[6:7]
	s_cbranch_execz .LBB38_740
; %bb.731:
	s_and_b64 vcc, exec, s[4:5]
	s_cbranch_vccnz .LBB38_733
; %bb.732:
	buffer_load_dword v82, v81, s[0:3], 0 offen
	ds_read_b32 v83, v80
	s_waitcnt vmcnt(0) lgkmcnt(0)
	v_mul_f32_e32 v82, v82, v83
	s_cbranch_execz .LBB38_734
	s_branch .LBB38_735
.LBB38_733:
                                        ; implicit-def: $vgpr82
.LBB38_734:
	ds_read_b32 v82, v80
.LBB38_735:
	v_cmp_ne_u32_e32 vcc, 36, v0
	s_and_saveexec_b64 s[10:11], vcc
	s_cbranch_execz .LBB38_739
; %bb.736:
	v_mov_b32_e32 v84, 0
	v_add_u32_e32 v83, 0xa4, v1
	v_add3_u32 v84, v1, v84, 4
	s_mov_b64 s[12:13], 0
	v_mov_b32_e32 v85, v0
.LBB38_737:                             ; =>This Inner Loop Header: Depth=1
	buffer_load_dword v86, v84, s[0:3], 0 offen
	ds_read_b32 v87, v83
	v_add_u32_e32 v85, 1, v85
	v_cmp_lt_u32_e32 vcc, 35, v85
	v_add_u32_e32 v83, 4, v83
	v_add_u32_e32 v84, 4, v84
	s_or_b64 s[12:13], vcc, s[12:13]
	s_waitcnt vmcnt(0) lgkmcnt(0)
	v_fmac_f32_e32 v82, v86, v87
	s_andn2_b64 exec, exec, s[12:13]
	s_cbranch_execnz .LBB38_737
; %bb.738:
	s_or_b64 exec, exec, s[12:13]
.LBB38_739:
	s_or_b64 exec, exec, s[10:11]
	v_mov_b32_e32 v83, 0
	ds_read_b32 v83, v83 offset:148
	s_waitcnt lgkmcnt(0)
	v_mul_f32_e32 v82, v82, v83
	buffer_store_dword v82, off, s[0:3], 0 offset:148
.LBB38_740:
	s_or_b64 exec, exec, s[8:9]
	buffer_load_dword v82, off, s[0:3], 0 offset:152
	v_cmp_ne_u32_e32 vcc, 38, v0
	s_waitcnt vmcnt(0)
	ds_write_b32 v80, v82
	s_waitcnt lgkmcnt(0)
	; wave barrier
	s_waitcnt lgkmcnt(0)
	s_and_saveexec_b64 s[8:9], vcc
	s_cbranch_execz .LBB38_750
; %bb.741:
	s_and_b64 vcc, exec, s[4:5]
	s_cbranch_vccnz .LBB38_743
; %bb.742:
	buffer_load_dword v81, v81, s[0:3], 0 offen
	ds_read_b32 v82, v80
	s_waitcnt vmcnt(0) lgkmcnt(0)
	v_mul_f32_e32 v81, v81, v82
	s_cbranch_execz .LBB38_744
	s_branch .LBB38_745
.LBB38_743:
                                        ; implicit-def: $vgpr81
.LBB38_744:
	ds_read_b32 v81, v80
.LBB38_745:
	s_and_saveexec_b64 s[4:5], s[6:7]
	s_cbranch_execz .LBB38_749
; %bb.746:
	v_mov_b32_e32 v82, 0
	v_add_u32_e32 v80, 0xa4, v1
	v_add3_u32 v1, v1, v82, 4
	s_mov_b64 s[6:7], 0
.LBB38_747:                             ; =>This Inner Loop Header: Depth=1
	buffer_load_dword v82, v1, s[0:3], 0 offen
	ds_read_b32 v83, v80
	v_add_u32_e32 v0, 1, v0
	v_cmp_lt_u32_e32 vcc, 36, v0
	v_add_u32_e32 v80, 4, v80
	v_add_u32_e32 v1, 4, v1
	s_or_b64 s[6:7], vcc, s[6:7]
	s_waitcnt vmcnt(0) lgkmcnt(0)
	v_fmac_f32_e32 v81, v82, v83
	s_andn2_b64 exec, exec, s[6:7]
	s_cbranch_execnz .LBB38_747
; %bb.748:
	s_or_b64 exec, exec, s[6:7]
.LBB38_749:
	s_or_b64 exec, exec, s[4:5]
	v_mov_b32_e32 v0, 0
	ds_read_b32 v0, v0 offset:152
	s_waitcnt lgkmcnt(0)
	v_mul_f32_e32 v0, v81, v0
	buffer_store_dword v0, off, s[0:3], 0 offset:152
.LBB38_750:
	s_or_b64 exec, exec, s[8:9]
.LBB38_751:
	buffer_load_dword v0, off, s[0:3], 0
	buffer_load_dword v1, off, s[0:3], 0 offset:4
	buffer_load_dword v80, off, s[0:3], 0 offset:8
	;; [unrolled: 1-line block ×38, first 2 shown]
	s_waitcnt vmcnt(38)
	global_store_dword v[74:75], v0, off
	s_waitcnt vmcnt(38)
	global_store_dword v[76:77], v1, off
	;; [unrolled: 2-line block ×39, first 2 shown]
.LBB38_752:
	s_endpgm
	.section	.rodata,"a",@progbits
	.p2align	6, 0x0
	.amdhsa_kernel _ZN9rocsolver6v33100L18trti2_kernel_smallILi39EfPfEEv13rocblas_fill_17rocblas_diagonal_T1_iil
		.amdhsa_group_segment_fixed_size 316
		.amdhsa_private_segment_fixed_size 160
		.amdhsa_kernarg_size 32
		.amdhsa_user_sgpr_count 8
		.amdhsa_user_sgpr_private_segment_buffer 1
		.amdhsa_user_sgpr_dispatch_ptr 0
		.amdhsa_user_sgpr_queue_ptr 0
		.amdhsa_user_sgpr_kernarg_segment_ptr 1
		.amdhsa_user_sgpr_dispatch_id 0
		.amdhsa_user_sgpr_flat_scratch_init 1
		.amdhsa_user_sgpr_kernarg_preload_length 0
		.amdhsa_user_sgpr_kernarg_preload_offset 0
		.amdhsa_user_sgpr_private_segment_size 0
		.amdhsa_uses_dynamic_stack 0
		.amdhsa_system_sgpr_private_segment_wavefront_offset 1
		.amdhsa_system_sgpr_workgroup_id_x 1
		.amdhsa_system_sgpr_workgroup_id_y 0
		.amdhsa_system_sgpr_workgroup_id_z 0
		.amdhsa_system_sgpr_workgroup_info 0
		.amdhsa_system_vgpr_workitem_id 0
		.amdhsa_next_free_vgpr 119
		.amdhsa_next_free_sgpr 20
		.amdhsa_accum_offset 120
		.amdhsa_reserve_vcc 1
		.amdhsa_reserve_flat_scratch 0
		.amdhsa_float_round_mode_32 0
		.amdhsa_float_round_mode_16_64 0
		.amdhsa_float_denorm_mode_32 3
		.amdhsa_float_denorm_mode_16_64 3
		.amdhsa_dx10_clamp 1
		.amdhsa_ieee_mode 1
		.amdhsa_fp16_overflow 0
		.amdhsa_tg_split 0
		.amdhsa_exception_fp_ieee_invalid_op 0
		.amdhsa_exception_fp_denorm_src 0
		.amdhsa_exception_fp_ieee_div_zero 0
		.amdhsa_exception_fp_ieee_overflow 0
		.amdhsa_exception_fp_ieee_underflow 0
		.amdhsa_exception_fp_ieee_inexact 0
		.amdhsa_exception_int_div_zero 0
	.end_amdhsa_kernel
	.section	.text._ZN9rocsolver6v33100L18trti2_kernel_smallILi39EfPfEEv13rocblas_fill_17rocblas_diagonal_T1_iil,"axG",@progbits,_ZN9rocsolver6v33100L18trti2_kernel_smallILi39EfPfEEv13rocblas_fill_17rocblas_diagonal_T1_iil,comdat
.Lfunc_end38:
	.size	_ZN9rocsolver6v33100L18trti2_kernel_smallILi39EfPfEEv13rocblas_fill_17rocblas_diagonal_T1_iil, .Lfunc_end38-_ZN9rocsolver6v33100L18trti2_kernel_smallILi39EfPfEEv13rocblas_fill_17rocblas_diagonal_T1_iil
                                        ; -- End function
	.section	.AMDGPU.csdata,"",@progbits
; Kernel info:
; codeLenInByte = 18936
; NumSgprs: 24
; NumVgprs: 119
; NumAgprs: 0
; TotalNumVgprs: 119
; ScratchSize: 160
; MemoryBound: 0
; FloatMode: 240
; IeeeMode: 1
; LDSByteSize: 316 bytes/workgroup (compile time only)
; SGPRBlocks: 2
; VGPRBlocks: 14
; NumSGPRsForWavesPerEU: 24
; NumVGPRsForWavesPerEU: 119
; AccumOffset: 120
; Occupancy: 4
; WaveLimiterHint : 0
; COMPUTE_PGM_RSRC2:SCRATCH_EN: 1
; COMPUTE_PGM_RSRC2:USER_SGPR: 8
; COMPUTE_PGM_RSRC2:TRAP_HANDLER: 0
; COMPUTE_PGM_RSRC2:TGID_X_EN: 1
; COMPUTE_PGM_RSRC2:TGID_Y_EN: 0
; COMPUTE_PGM_RSRC2:TGID_Z_EN: 0
; COMPUTE_PGM_RSRC2:TIDIG_COMP_CNT: 0
; COMPUTE_PGM_RSRC3_GFX90A:ACCUM_OFFSET: 29
; COMPUTE_PGM_RSRC3_GFX90A:TG_SPLIT: 0
	.section	.text._ZN9rocsolver6v33100L18trti2_kernel_smallILi40EfPfEEv13rocblas_fill_17rocblas_diagonal_T1_iil,"axG",@progbits,_ZN9rocsolver6v33100L18trti2_kernel_smallILi40EfPfEEv13rocblas_fill_17rocblas_diagonal_T1_iil,comdat
	.globl	_ZN9rocsolver6v33100L18trti2_kernel_smallILi40EfPfEEv13rocblas_fill_17rocblas_diagonal_T1_iil ; -- Begin function _ZN9rocsolver6v33100L18trti2_kernel_smallILi40EfPfEEv13rocblas_fill_17rocblas_diagonal_T1_iil
	.p2align	8
	.type	_ZN9rocsolver6v33100L18trti2_kernel_smallILi40EfPfEEv13rocblas_fill_17rocblas_diagonal_T1_iil,@function
_ZN9rocsolver6v33100L18trti2_kernel_smallILi40EfPfEEv13rocblas_fill_17rocblas_diagonal_T1_iil: ; @_ZN9rocsolver6v33100L18trti2_kernel_smallILi40EfPfEEv13rocblas_fill_17rocblas_diagonal_T1_iil
; %bb.0:
	s_add_u32 s0, s0, s9
	s_addc_u32 s1, s1, 0
	v_cmp_gt_u32_e32 vcc, 40, v0
	s_and_saveexec_b64 s[6:7], vcc
	s_cbranch_execz .LBB39_772
; %bb.1:
	s_load_dwordx8 s[12:19], s[4:5], 0x0
	s_ashr_i32 s6, s8, 31
	s_waitcnt lgkmcnt(0)
	s_mul_i32 s7, s8, s19
	s_mul_hi_u32 s9, s8, s18
	s_add_i32 s7, s9, s7
	s_mul_i32 s6, s6, s18
	s_add_i32 s7, s7, s6
	s_mul_i32 s6, s8, s18
	s_ashr_i32 s5, s16, 31
	s_lshl_b64 s[6:7], s[6:7], 2
	s_mov_b32 s4, s16
	s_add_u32 s6, s14, s6
	s_addc_u32 s7, s15, s7
	s_lshl_b64 s[4:5], s[4:5], 2
	s_add_u32 s4, s6, s4
	s_addc_u32 s5, s7, s5
	s_add_i32 s6, s17, s17
	v_add_u32_e32 v4, s6, v0
	v_ashrrev_i32_e32 v5, 31, v4
	v_lshlrev_b64 v[2:3], 2, v[4:5]
	v_add_u32_e32 v6, s17, v4
	v_mov_b32_e32 v1, s5
	v_add_co_u32_e32 v2, vcc, s4, v2
	v_ashrrev_i32_e32 v7, 31, v6
	v_addc_co_u32_e32 v3, vcc, v1, v3, vcc
	v_lshlrev_b64 v[4:5], 2, v[6:7]
	v_add_u32_e32 v8, s17, v6
	v_add_co_u32_e32 v4, vcc, s4, v4
	v_ashrrev_i32_e32 v9, 31, v8
	v_addc_co_u32_e32 v5, vcc, v1, v5, vcc
	v_lshlrev_b64 v[6:7], 2, v[8:9]
	v_add_u32_e32 v10, s17, v8
	v_add_co_u32_e32 v6, vcc, s4, v6
	v_ashrrev_i32_e32 v11, 31, v10
	v_addc_co_u32_e32 v7, vcc, v1, v7, vcc
	v_lshlrev_b64 v[8:9], 2, v[10:11]
	v_add_u32_e32 v12, s17, v10
	v_add_co_u32_e32 v8, vcc, s4, v8
	v_ashrrev_i32_e32 v13, 31, v12
	v_addc_co_u32_e32 v9, vcc, v1, v9, vcc
	v_lshlrev_b64 v[10:11], 2, v[12:13]
	v_add_u32_e32 v14, s17, v12
	v_add_co_u32_e32 v10, vcc, s4, v10
	v_ashrrev_i32_e32 v15, 31, v14
	v_addc_co_u32_e32 v11, vcc, v1, v11, vcc
	v_lshlrev_b64 v[12:13], 2, v[14:15]
	v_add_u32_e32 v16, s17, v14
	v_add_co_u32_e32 v12, vcc, s4, v12
	v_ashrrev_i32_e32 v17, 31, v16
	v_addc_co_u32_e32 v13, vcc, v1, v13, vcc
	v_lshlrev_b64 v[14:15], 2, v[16:17]
	v_add_u32_e32 v18, s17, v16
	v_add_co_u32_e32 v14, vcc, s4, v14
	v_ashrrev_i32_e32 v19, 31, v18
	v_addc_co_u32_e32 v15, vcc, v1, v15, vcc
	v_lshlrev_b64 v[16:17], 2, v[18:19]
	v_add_u32_e32 v20, s17, v18
	v_add_co_u32_e32 v16, vcc, s4, v16
	v_ashrrev_i32_e32 v21, 31, v20
	v_addc_co_u32_e32 v17, vcc, v1, v17, vcc
	v_lshlrev_b64 v[18:19], 2, v[20:21]
	v_add_u32_e32 v22, s17, v20
	v_add_co_u32_e32 v18, vcc, s4, v18
	v_ashrrev_i32_e32 v23, 31, v22
	v_addc_co_u32_e32 v19, vcc, v1, v19, vcc
	v_lshlrev_b64 v[20:21], 2, v[22:23]
	v_add_u32_e32 v24, s17, v22
	v_add_co_u32_e32 v20, vcc, s4, v20
	v_ashrrev_i32_e32 v25, 31, v24
	v_addc_co_u32_e32 v21, vcc, v1, v21, vcc
	v_lshlrev_b64 v[22:23], 2, v[24:25]
	v_add_u32_e32 v26, s17, v24
	v_add_co_u32_e32 v22, vcc, s4, v22
	v_ashrrev_i32_e32 v27, 31, v26
	v_addc_co_u32_e32 v23, vcc, v1, v23, vcc
	v_lshlrev_b64 v[24:25], 2, v[26:27]
	v_add_u32_e32 v28, s17, v26
	v_add_co_u32_e32 v24, vcc, s4, v24
	v_ashrrev_i32_e32 v29, 31, v28
	v_addc_co_u32_e32 v25, vcc, v1, v25, vcc
	v_lshlrev_b64 v[26:27], 2, v[28:29]
	v_add_u32_e32 v30, s17, v28
	v_add_co_u32_e32 v26, vcc, s4, v26
	v_ashrrev_i32_e32 v31, 31, v30
	v_addc_co_u32_e32 v27, vcc, v1, v27, vcc
	v_lshlrev_b64 v[28:29], 2, v[30:31]
	v_add_u32_e32 v32, s17, v30
	v_add_co_u32_e32 v28, vcc, s4, v28
	v_ashrrev_i32_e32 v33, 31, v32
	v_addc_co_u32_e32 v29, vcc, v1, v29, vcc
	v_lshlrev_b64 v[30:31], 2, v[32:33]
	v_add_u32_e32 v34, s17, v32
	v_add_co_u32_e32 v30, vcc, s4, v30
	v_ashrrev_i32_e32 v35, 31, v34
	v_addc_co_u32_e32 v31, vcc, v1, v31, vcc
	v_lshlrev_b64 v[32:33], 2, v[34:35]
	v_add_u32_e32 v36, s17, v34
	v_add_co_u32_e32 v32, vcc, s4, v32
	v_ashrrev_i32_e32 v37, 31, v36
	v_addc_co_u32_e32 v33, vcc, v1, v33, vcc
	v_lshlrev_b64 v[34:35], 2, v[36:37]
	v_add_u32_e32 v38, s17, v36
	v_add_co_u32_e32 v34, vcc, s4, v34
	v_ashrrev_i32_e32 v39, 31, v38
	v_addc_co_u32_e32 v35, vcc, v1, v35, vcc
	v_lshlrev_b64 v[36:37], 2, v[38:39]
	v_add_u32_e32 v40, s17, v38
	v_add_co_u32_e32 v36, vcc, s4, v36
	v_ashrrev_i32_e32 v41, 31, v40
	v_addc_co_u32_e32 v37, vcc, v1, v37, vcc
	v_lshlrev_b64 v[38:39], 2, v[40:41]
	v_add_u32_e32 v42, s17, v40
	v_add_co_u32_e32 v38, vcc, s4, v38
	v_ashrrev_i32_e32 v43, 31, v42
	v_addc_co_u32_e32 v39, vcc, v1, v39, vcc
	v_lshlrev_b64 v[40:41], 2, v[42:43]
	v_add_u32_e32 v44, s17, v42
	v_add_co_u32_e32 v40, vcc, s4, v40
	v_ashrrev_i32_e32 v45, 31, v44
	v_addc_co_u32_e32 v41, vcc, v1, v41, vcc
	v_lshlrev_b64 v[42:43], 2, v[44:45]
	v_add_u32_e32 v46, s17, v44
	v_add_co_u32_e32 v42, vcc, s4, v42
	v_ashrrev_i32_e32 v47, 31, v46
	v_addc_co_u32_e32 v43, vcc, v1, v43, vcc
	v_lshlrev_b64 v[44:45], 2, v[46:47]
	v_add_u32_e32 v48, s17, v46
	v_add_co_u32_e32 v44, vcc, s4, v44
	v_ashrrev_i32_e32 v49, 31, v48
	v_addc_co_u32_e32 v45, vcc, v1, v45, vcc
	v_lshlrev_b64 v[46:47], 2, v[48:49]
	v_add_u32_e32 v50, s17, v48
	v_add_co_u32_e32 v46, vcc, s4, v46
	v_ashrrev_i32_e32 v51, 31, v50
	v_addc_co_u32_e32 v47, vcc, v1, v47, vcc
	v_lshlrev_b64 v[48:49], 2, v[50:51]
	v_add_u32_e32 v52, s17, v50
	v_add_co_u32_e32 v48, vcc, s4, v48
	v_ashrrev_i32_e32 v53, 31, v52
	v_addc_co_u32_e32 v49, vcc, v1, v49, vcc
	v_lshlrev_b64 v[50:51], 2, v[52:53]
	v_add_u32_e32 v54, s17, v52
	v_add_co_u32_e32 v50, vcc, s4, v50
	v_ashrrev_i32_e32 v55, 31, v54
	v_addc_co_u32_e32 v51, vcc, v1, v51, vcc
	v_lshlrev_b64 v[52:53], 2, v[54:55]
	v_add_u32_e32 v56, s17, v54
	v_add_co_u32_e32 v52, vcc, s4, v52
	v_ashrrev_i32_e32 v57, 31, v56
	v_addc_co_u32_e32 v53, vcc, v1, v53, vcc
	v_lshlrev_b64 v[54:55], 2, v[56:57]
	v_add_u32_e32 v58, s17, v56
	v_add_co_u32_e32 v54, vcc, s4, v54
	v_ashrrev_i32_e32 v59, 31, v58
	v_addc_co_u32_e32 v55, vcc, v1, v55, vcc
	v_lshlrev_b64 v[56:57], 2, v[58:59]
	v_add_u32_e32 v60, s17, v58
	v_add_co_u32_e32 v56, vcc, s4, v56
	v_ashrrev_i32_e32 v61, 31, v60
	v_addc_co_u32_e32 v57, vcc, v1, v57, vcc
	v_lshlrev_b64 v[58:59], 2, v[60:61]
	v_add_u32_e32 v62, s17, v60
	v_add_co_u32_e32 v58, vcc, s4, v58
	v_ashrrev_i32_e32 v63, 31, v62
	v_addc_co_u32_e32 v59, vcc, v1, v59, vcc
	v_lshlrev_b64 v[60:61], 2, v[62:63]
	v_add_u32_e32 v64, s17, v62
	v_add_co_u32_e32 v60, vcc, s4, v60
	v_ashrrev_i32_e32 v65, 31, v64
	v_addc_co_u32_e32 v61, vcc, v1, v61, vcc
	v_lshlrev_b64 v[62:63], 2, v[64:65]
	v_add_u32_e32 v66, s17, v64
	v_add_co_u32_e32 v62, vcc, s4, v62
	v_ashrrev_i32_e32 v67, 31, v66
	v_addc_co_u32_e32 v63, vcc, v1, v63, vcc
	v_lshlrev_b64 v[64:65], 2, v[66:67]
	v_add_u32_e32 v68, s17, v66
	v_add_co_u32_e32 v64, vcc, s4, v64
	v_ashrrev_i32_e32 v69, 31, v68
	v_addc_co_u32_e32 v65, vcc, v1, v65, vcc
	v_lshlrev_b64 v[66:67], 2, v[68:69]
	v_add_u32_e32 v70, s17, v68
	v_add_co_u32_e32 v66, vcc, s4, v66
	v_ashrrev_i32_e32 v71, 31, v70
	v_addc_co_u32_e32 v67, vcc, v1, v67, vcc
	v_lshlrev_b64 v[68:69], 2, v[70:71]
	v_add_u32_e32 v72, s17, v70
	v_add_co_u32_e32 v68, vcc, s4, v68
	v_ashrrev_i32_e32 v73, 31, v72
	v_addc_co_u32_e32 v69, vcc, v1, v69, vcc
	v_lshlrev_b64 v[70:71], 2, v[72:73]
	v_add_u32_e32 v74, s17, v72
	v_add_co_u32_e32 v70, vcc, s4, v70
	v_ashrrev_i32_e32 v75, 31, v74
	v_addc_co_u32_e32 v71, vcc, v1, v71, vcc
	v_lshlrev_b64 v[72:73], 2, v[74:75]
	v_add_u32_e32 v76, s17, v74
	v_add_co_u32_e32 v72, vcc, s4, v72
	v_ashrrev_i32_e32 v77, 31, v76
	v_addc_co_u32_e32 v73, vcc, v1, v73, vcc
	v_lshlrev_b64 v[74:75], 2, v[76:77]
	v_add_co_u32_e32 v74, vcc, s4, v74
	v_add_u32_e32 v76, s17, v76
	v_addc_co_u32_e32 v75, vcc, v1, v75, vcc
	v_ashrrev_i32_e32 v77, 31, v76
	v_lshlrev_b32_e32 v1, 2, v0
	v_lshlrev_b64 v[80:81], 2, v[76:77]
	v_mov_b32_e32 v77, s5
	v_add_co_u32_e32 v76, vcc, s4, v1
	s_ashr_i32 s7, s17, 31
	s_mov_b32 s6, s17
	v_addc_co_u32_e32 v77, vcc, 0, v77, vcc
	s_lshl_b64 s[6:7], s[6:7], 2
	v_mov_b32_e32 v79, s7
	v_add_co_u32_e32 v78, vcc, s6, v76
	v_addc_co_u32_e32 v79, vcc, v77, v79, vcc
	global_load_dword v83, v1, s[4:5]
	global_load_dword v84, v[78:79], off
	global_load_dword v85, v[6:7], off
	;; [unrolled: 1-line block ×14, first 2 shown]
                                        ; kill: killed $sgpr5
	global_load_dword v98, v[20:21], off
	global_load_dword v99, v[18:19], off
	;; [unrolled: 1-line block ×24, first 2 shown]
	v_mov_b32_e32 v82, s5
	v_add_co_u32_e32 v80, vcc, s4, v80
	v_addc_co_u32_e32 v81, vcc, v82, v81, vcc
	global_load_dword v82, v[80:81], off
	s_cmpk_lg_i32 s13, 0x84
	s_waitcnt vmcnt(39)
	buffer_store_dword v83, off, s[0:3], 0
	s_waitcnt vmcnt(39)
	buffer_store_dword v84, off, s[0:3], 0 offset:4
	s_waitcnt vmcnt(34)
	buffer_store_dword v90, off, s[0:3], 0 offset:12
	;; [unrolled: 2-line block ×3, first 2 shown]
	buffer_store_dword v85, off, s[0:3], 0 offset:16
	buffer_store_dword v86, off, s[0:3], 0 offset:20
	;; [unrolled: 1-line block ×5, first 2 shown]
	s_waitcnt vmcnt(39)
	buffer_store_dword v92, off, s[0:3], 0 offset:36
	s_waitcnt vmcnt(34)
	buffer_store_dword v98, off, s[0:3], 0 offset:44
	;; [unrolled: 2-line block ×3, first 2 shown]
	buffer_store_dword v93, off, s[0:3], 0 offset:48
	buffer_store_dword v94, off, s[0:3], 0 offset:52
	;; [unrolled: 1-line block ×5, first 2 shown]
	s_waitcnt vmcnt(39)
	buffer_store_dword v100, off, s[0:3], 0 offset:68
	s_waitcnt vmcnt(39)
	buffer_store_dword v101, off, s[0:3], 0 offset:72
	;; [unrolled: 2-line block ×5, first 2 shown]
	buffer_store_dword v104, off, s[0:3], 0 offset:92
	buffer_store_dword v105, off, s[0:3], 0 offset:88
	s_waitcnt vmcnt(38)
	buffer_store_dword v108, off, s[0:3], 0 offset:100
	buffer_store_dword v103, off, s[0:3], 0 offset:96
	s_waitcnt vmcnt(34)
	buffer_store_dword v114, off, s[0:3], 0 offset:108
	s_waitcnt vmcnt(34)
	buffer_store_dword v115, off, s[0:3], 0 offset:104
	buffer_store_dword v112, off, s[0:3], 0 offset:116
	;; [unrolled: 1-line block ×5, first 2 shown]
	s_waitcnt vmcnt(38)
	buffer_store_dword v116, off, s[0:3], 0 offset:132
	buffer_store_dword v109, off, s[0:3], 0 offset:128
	s_waitcnt vmcnt(36)
	buffer_store_dword v120, off, s[0:3], 0 offset:140
	s_waitcnt vmcnt(36)
	buffer_store_dword v121, off, s[0:3], 0 offset:136
	buffer_store_dword v118, off, s[0:3], 0 offset:148
	;; [unrolled: 1-line block ×3, first 2 shown]
	s_waitcnt vmcnt(38)
	buffer_store_dword v82, off, s[0:3], 0 offset:156
	buffer_store_dword v117, off, s[0:3], 0 offset:152
	s_cselect_b64 s[8:9], -1, 0
	s_cmpk_eq_i32 s13, 0x84
	v_mov_b32_e32 v101, 0
	v_mov_b32_e32 v82, -1.0
	s_cbranch_scc1 .LBB39_3
; %bb.2:
	v_lshl_add_u32 v82, v0, 2, v101
	buffer_load_dword v83, v82, s[0:3], 0 offen
	s_waitcnt vmcnt(0)
	v_div_scale_f32 v84, s[4:5], v83, v83, 1.0
	v_rcp_f32_e32 v85, v84
	v_div_scale_f32 v86, vcc, 1.0, v83, 1.0
	v_fma_f32 v87, -v84, v85, 1.0
	v_fmac_f32_e32 v85, v87, v85
	v_mul_f32_e32 v87, v86, v85
	v_fma_f32 v88, -v84, v87, v86
	v_fmac_f32_e32 v87, v88, v85
	v_fma_f32 v84, -v84, v87, v86
	v_div_fmas_f32 v84, v84, v85, v87
	v_div_fixup_f32 v83, v84, v83, 1.0
	buffer_store_dword v83, v82, s[0:3], 0 offen
	v_xor_b32_e32 v82, 0x80000000, v83
.LBB39_3:
	ds_write_b32 v1, v82
	s_cmpk_eq_i32 s12, 0x79
	v_add_u32_e32 v82, 0xa0, v1
	v_add_u32_e32 v83, 0, v1
	s_mov_b64 s[4:5], -1
	s_cbranch_scc1 .LBB39_387
; %bb.4:
	buffer_load_dword v84, off, s[0:3], 0 offset:152
	v_cmp_eq_u32_e64 s[4:5], 39, v0
	s_waitcnt vmcnt(0)
	ds_write_b32 v82, v84
	s_waitcnt lgkmcnt(0)
	; wave barrier
	s_waitcnt lgkmcnt(0)
	s_and_saveexec_b64 s[6:7], s[4:5]
	s_cbranch_execz .LBB39_10
; %bb.5:
	s_and_b64 vcc, exec, s[8:9]
	s_cbranch_vccz .LBB39_7
; %bb.6:
	buffer_load_dword v84, v83, s[0:3], 0 offen
	ds_read_b32 v85, v82
	s_waitcnt vmcnt(0) lgkmcnt(0)
	v_mul_f32_e32 v84, v84, v85
	s_cbranch_execz .LBB39_8
	s_branch .LBB39_9
.LBB39_7:
                                        ; implicit-def: $vgpr84
.LBB39_8:
	ds_read_b32 v84, v82
.LBB39_9:
	v_mov_b32_e32 v85, 0
	ds_read_b32 v85, v85 offset:152
	s_waitcnt lgkmcnt(0)
	v_mul_f32_e32 v84, v84, v85
	buffer_store_dword v84, off, s[0:3], 0 offset:152
.LBB39_10:
	s_or_b64 exec, exec, s[6:7]
	buffer_load_dword v102, off, s[0:3], 0 offset:148
	v_or_b32_e32 v84, 8, v101
	v_add_u32_e32 v85, 16, v101
	v_add_u32_e32 v86, 24, v101
	;; [unrolled: 1-line block ×17, first 2 shown]
	v_cmp_lt_u32_e64 s[6:7], 37, v0
	s_waitcnt vmcnt(0)
	ds_write_b32 v82, v102
	s_waitcnt lgkmcnt(0)
	; wave barrier
	s_waitcnt lgkmcnt(0)
	s_and_saveexec_b64 s[10:11], s[6:7]
	s_cbranch_execz .LBB39_16
; %bb.11:
	s_andn2_b64 vcc, exec, s[8:9]
	s_cbranch_vccnz .LBB39_13
; %bb.12:
	buffer_load_dword v102, v83, s[0:3], 0 offen
	ds_read_b32 v103, v82
	s_waitcnt vmcnt(0) lgkmcnt(0)
	v_mul_f32_e32 v102, v102, v103
	s_cbranch_execz .LBB39_14
	s_branch .LBB39_15
.LBB39_13:
                                        ; implicit-def: $vgpr102
.LBB39_14:
	ds_read_b32 v102, v82
.LBB39_15:
	buffer_load_dword v103, off, s[0:3], 0 offset:152
	v_mov_b32_e32 v104, 0
	ds_read2_b32 v[104:105], v104 offset0:37 offset1:78
	s_waitcnt vmcnt(0) lgkmcnt(0)
	v_fma_f32 v103, v103, v105, v102
	v_cndmask_b32_e64 v102, v102, v103, s[4:5]
	v_mul_f32_e32 v102, v102, v104
	buffer_store_dword v102, off, s[0:3], 0 offset:148
.LBB39_16:
	s_or_b64 exec, exec, s[10:11]
	buffer_load_dword v102, off, s[0:3], 0 offset:144
	v_cmp_lt_u32_e64 s[4:5], 36, v0
	s_waitcnt vmcnt(0)
	ds_write_b32 v82, v102
	s_waitcnt lgkmcnt(0)
	; wave barrier
	s_waitcnt lgkmcnt(0)
	s_and_saveexec_b64 s[10:11], s[4:5]
	s_cbranch_execz .LBB39_26
; %bb.17:
	s_andn2_b64 vcc, exec, s[8:9]
	s_cbranch_vccnz .LBB39_19
; %bb.18:
	buffer_load_dword v102, v83, s[0:3], 0 offen
	ds_read_b32 v103, v82
	s_waitcnt vmcnt(0) lgkmcnt(0)
	v_mul_f32_e32 v102, v102, v103
	s_cbranch_execz .LBB39_20
	s_branch .LBB39_21
.LBB39_19:
                                        ; implicit-def: $vgpr102
.LBB39_20:
	ds_read_b32 v102, v82
.LBB39_21:
	s_and_saveexec_b64 s[12:13], s[6:7]
	s_cbranch_execz .LBB39_25
; %bb.22:
	v_mov_b32_e32 v103, 0
	v_add_u32_e32 v103, 0x94, v103
	v_subrev_u32_e32 v104, 37, v0
	s_movk_i32 s14, 0x134
	s_mov_b64 s[6:7], 0
.LBB39_23:                              ; =>This Inner Loop Header: Depth=1
	buffer_load_dword v105, v103, s[0:3], 0 offen
	v_mov_b32_e32 v106, s14
	ds_read_b32 v106, v106
	v_add_u32_e32 v104, -1, v104
	s_add_i32 s14, s14, 4
	v_cmp_eq_u32_e32 vcc, 0, v104
	v_add_u32_e32 v103, 4, v103
	s_or_b64 s[6:7], vcc, s[6:7]
	s_waitcnt vmcnt(0) lgkmcnt(0)
	v_fmac_f32_e32 v102, v105, v106
	s_andn2_b64 exec, exec, s[6:7]
	s_cbranch_execnz .LBB39_23
; %bb.24:
	s_or_b64 exec, exec, s[6:7]
.LBB39_25:
	s_or_b64 exec, exec, s[12:13]
	v_mov_b32_e32 v103, 0
	ds_read_b32 v103, v103 offset:144
	s_waitcnt lgkmcnt(0)
	v_mul_f32_e32 v102, v102, v103
	buffer_store_dword v102, off, s[0:3], 0 offset:144
.LBB39_26:
	s_or_b64 exec, exec, s[10:11]
	buffer_load_dword v102, off, s[0:3], 0 offset:140
	v_cmp_lt_u32_e64 s[6:7], 35, v0
	s_waitcnt vmcnt(0)
	ds_write_b32 v82, v102
	s_waitcnt lgkmcnt(0)
	; wave barrier
	s_waitcnt lgkmcnt(0)
	s_and_saveexec_b64 s[10:11], s[6:7]
	s_cbranch_execz .LBB39_36
; %bb.27:
	s_andn2_b64 vcc, exec, s[8:9]
	s_cbranch_vccnz .LBB39_29
; %bb.28:
	buffer_load_dword v102, v83, s[0:3], 0 offen
	ds_read_b32 v103, v82
	s_waitcnt vmcnt(0) lgkmcnt(0)
	v_mul_f32_e32 v102, v102, v103
	s_cbranch_execz .LBB39_30
	s_branch .LBB39_31
.LBB39_29:
                                        ; implicit-def: $vgpr102
.LBB39_30:
	ds_read_b32 v102, v82
.LBB39_31:
	s_and_saveexec_b64 s[12:13], s[4:5]
	s_cbranch_execz .LBB39_35
; %bb.32:
	v_subrev_u32_e32 v103, 36, v0
	s_movk_i32 s14, 0x130
	s_mov_b64 s[4:5], 0
.LBB39_33:                              ; =>This Inner Loop Header: Depth=1
	buffer_load_dword v104, v101, s[0:3], 0 offen
	v_mov_b32_e32 v105, s14
	ds_read_b32 v105, v105
	v_add_u32_e32 v103, -1, v103
	s_add_i32 s14, s14, 4
	v_cmp_eq_u32_e32 vcc, 0, v103
	v_add_u32_e32 v101, 4, v101
	s_or_b64 s[4:5], vcc, s[4:5]
	s_waitcnt vmcnt(0) lgkmcnt(0)
	v_fmac_f32_e32 v102, v104, v105
	s_andn2_b64 exec, exec, s[4:5]
	s_cbranch_execnz .LBB39_33
; %bb.34:
	s_or_b64 exec, exec, s[4:5]
.LBB39_35:
	s_or_b64 exec, exec, s[12:13]
	v_mov_b32_e32 v101, 0
	ds_read_b32 v101, v101 offset:140
	s_waitcnt lgkmcnt(0)
	v_mul_f32_e32 v101, v102, v101
	buffer_store_dword v101, off, s[0:3], 0 offset:140
.LBB39_36:
	s_or_b64 exec, exec, s[10:11]
	buffer_load_dword v101, off, s[0:3], 0 offset:136
	v_cmp_lt_u32_e64 s[4:5], 34, v0
	s_waitcnt vmcnt(0)
	ds_write_b32 v82, v101
	s_waitcnt lgkmcnt(0)
	; wave barrier
	s_waitcnt lgkmcnt(0)
	s_and_saveexec_b64 s[10:11], s[4:5]
	s_cbranch_execz .LBB39_46
; %bb.37:
	s_andn2_b64 vcc, exec, s[8:9]
	s_cbranch_vccnz .LBB39_39
; %bb.38:
	buffer_load_dword v101, v83, s[0:3], 0 offen
	ds_read_b32 v102, v82
	s_waitcnt vmcnt(0) lgkmcnt(0)
	v_mul_f32_e32 v101, v101, v102
	s_cbranch_execz .LBB39_40
	s_branch .LBB39_41
.LBB39_39:
                                        ; implicit-def: $vgpr101
.LBB39_40:
	ds_read_b32 v101, v82
.LBB39_41:
	s_and_saveexec_b64 s[12:13], s[6:7]
	s_cbranch_execz .LBB39_45
; %bb.42:
	v_mov_b32_e32 v102, 0
	v_add_u32_e32 v102, 0x8c, v102
	v_subrev_u32_e32 v103, 35, v0
	s_movk_i32 s14, 0x12c
	s_mov_b64 s[6:7], 0
.LBB39_43:                              ; =>This Inner Loop Header: Depth=1
	buffer_load_dword v104, v102, s[0:3], 0 offen
	v_mov_b32_e32 v105, s14
	ds_read_b32 v105, v105
	v_add_u32_e32 v103, -1, v103
	s_add_i32 s14, s14, 4
	v_cmp_eq_u32_e32 vcc, 0, v103
	v_add_u32_e32 v102, 4, v102
	s_or_b64 s[6:7], vcc, s[6:7]
	s_waitcnt vmcnt(0) lgkmcnt(0)
	v_fmac_f32_e32 v101, v104, v105
	s_andn2_b64 exec, exec, s[6:7]
	s_cbranch_execnz .LBB39_43
; %bb.44:
	s_or_b64 exec, exec, s[6:7]
.LBB39_45:
	s_or_b64 exec, exec, s[12:13]
	v_mov_b32_e32 v102, 0
	ds_read_b32 v102, v102 offset:136
	s_waitcnt lgkmcnt(0)
	v_mul_f32_e32 v101, v101, v102
	buffer_store_dword v101, off, s[0:3], 0 offset:136
.LBB39_46:
	s_or_b64 exec, exec, s[10:11]
	buffer_load_dword v101, off, s[0:3], 0 offset:132
	v_cmp_lt_u32_e64 s[6:7], 33, v0
	s_waitcnt vmcnt(0)
	ds_write_b32 v82, v101
	s_waitcnt lgkmcnt(0)
	; wave barrier
	s_waitcnt lgkmcnt(0)
	s_and_saveexec_b64 s[10:11], s[6:7]
	s_cbranch_execz .LBB39_56
; %bb.47:
	s_andn2_b64 vcc, exec, s[8:9]
	s_cbranch_vccnz .LBB39_49
; %bb.48:
	buffer_load_dword v101, v83, s[0:3], 0 offen
	ds_read_b32 v102, v82
	s_waitcnt vmcnt(0) lgkmcnt(0)
	v_mul_f32_e32 v101, v101, v102
	s_cbranch_execz .LBB39_50
	s_branch .LBB39_51
.LBB39_49:
                                        ; implicit-def: $vgpr101
.LBB39_50:
	ds_read_b32 v101, v82
.LBB39_51:
	s_and_saveexec_b64 s[12:13], s[4:5]
	s_cbranch_execz .LBB39_55
; %bb.52:
	v_subrev_u32_e32 v102, 34, v0
	s_movk_i32 s14, 0x128
	s_mov_b64 s[4:5], 0
.LBB39_53:                              ; =>This Inner Loop Header: Depth=1
	buffer_load_dword v103, v100, s[0:3], 0 offen
	v_mov_b32_e32 v104, s14
	ds_read_b32 v104, v104
	v_add_u32_e32 v102, -1, v102
	s_add_i32 s14, s14, 4
	v_cmp_eq_u32_e32 vcc, 0, v102
	v_add_u32_e32 v100, 4, v100
	s_or_b64 s[4:5], vcc, s[4:5]
	s_waitcnt vmcnt(0) lgkmcnt(0)
	v_fmac_f32_e32 v101, v103, v104
	s_andn2_b64 exec, exec, s[4:5]
	s_cbranch_execnz .LBB39_53
; %bb.54:
	s_or_b64 exec, exec, s[4:5]
.LBB39_55:
	s_or_b64 exec, exec, s[12:13]
	v_mov_b32_e32 v100, 0
	ds_read_b32 v100, v100 offset:132
	s_waitcnt lgkmcnt(0)
	v_mul_f32_e32 v100, v101, v100
	buffer_store_dword v100, off, s[0:3], 0 offset:132
.LBB39_56:
	s_or_b64 exec, exec, s[10:11]
	buffer_load_dword v100, off, s[0:3], 0 offset:128
	v_cmp_lt_u32_e64 s[4:5], 32, v0
	s_waitcnt vmcnt(0)
	ds_write_b32 v82, v100
	s_waitcnt lgkmcnt(0)
	; wave barrier
	s_waitcnt lgkmcnt(0)
	s_and_saveexec_b64 s[10:11], s[4:5]
	s_cbranch_execz .LBB39_66
; %bb.57:
	s_andn2_b64 vcc, exec, s[8:9]
	s_cbranch_vccnz .LBB39_59
; %bb.58:
	buffer_load_dword v100, v83, s[0:3], 0 offen
	ds_read_b32 v101, v82
	s_waitcnt vmcnt(0) lgkmcnt(0)
	v_mul_f32_e32 v100, v100, v101
	s_cbranch_execz .LBB39_60
	s_branch .LBB39_61
.LBB39_59:
                                        ; implicit-def: $vgpr100
.LBB39_60:
	ds_read_b32 v100, v82
.LBB39_61:
	s_and_saveexec_b64 s[12:13], s[6:7]
	s_cbranch_execz .LBB39_65
; %bb.62:
	v_mov_b32_e32 v101, 0
	v_add_u32_e32 v101, 0x84, v101
	v_subrev_u32_e32 v102, 33, v0
	s_movk_i32 s14, 0x124
	s_mov_b64 s[6:7], 0
.LBB39_63:                              ; =>This Inner Loop Header: Depth=1
	buffer_load_dword v103, v101, s[0:3], 0 offen
	v_mov_b32_e32 v104, s14
	ds_read_b32 v104, v104
	v_add_u32_e32 v102, -1, v102
	s_add_i32 s14, s14, 4
	v_cmp_eq_u32_e32 vcc, 0, v102
	v_add_u32_e32 v101, 4, v101
	s_or_b64 s[6:7], vcc, s[6:7]
	s_waitcnt vmcnt(0) lgkmcnt(0)
	v_fmac_f32_e32 v100, v103, v104
	s_andn2_b64 exec, exec, s[6:7]
	s_cbranch_execnz .LBB39_63
; %bb.64:
	s_or_b64 exec, exec, s[6:7]
.LBB39_65:
	s_or_b64 exec, exec, s[12:13]
	v_mov_b32_e32 v101, 0
	ds_read_b32 v101, v101 offset:128
	s_waitcnt lgkmcnt(0)
	v_mul_f32_e32 v100, v100, v101
	buffer_store_dword v100, off, s[0:3], 0 offset:128
.LBB39_66:
	s_or_b64 exec, exec, s[10:11]
	buffer_load_dword v100, off, s[0:3], 0 offset:124
	v_cmp_lt_u32_e64 s[6:7], 31, v0
	s_waitcnt vmcnt(0)
	ds_write_b32 v82, v100
	s_waitcnt lgkmcnt(0)
	; wave barrier
	s_waitcnt lgkmcnt(0)
	s_and_saveexec_b64 s[10:11], s[6:7]
	s_cbranch_execz .LBB39_76
; %bb.67:
	s_andn2_b64 vcc, exec, s[8:9]
	s_cbranch_vccnz .LBB39_69
; %bb.68:
	buffer_load_dword v100, v83, s[0:3], 0 offen
	ds_read_b32 v101, v82
	s_waitcnt vmcnt(0) lgkmcnt(0)
	v_mul_f32_e32 v100, v100, v101
	s_cbranch_execz .LBB39_70
	s_branch .LBB39_71
.LBB39_69:
                                        ; implicit-def: $vgpr100
.LBB39_70:
	ds_read_b32 v100, v82
.LBB39_71:
	s_and_saveexec_b64 s[12:13], s[4:5]
	s_cbranch_execz .LBB39_75
; %bb.72:
	v_subrev_u32_e32 v101, 32, v0
	s_movk_i32 s14, 0x120
	s_mov_b64 s[4:5], 0
.LBB39_73:                              ; =>This Inner Loop Header: Depth=1
	buffer_load_dword v102, v99, s[0:3], 0 offen
	v_mov_b32_e32 v103, s14
	ds_read_b32 v103, v103
	v_add_u32_e32 v101, -1, v101
	s_add_i32 s14, s14, 4
	v_cmp_eq_u32_e32 vcc, 0, v101
	v_add_u32_e32 v99, 4, v99
	s_or_b64 s[4:5], vcc, s[4:5]
	s_waitcnt vmcnt(0) lgkmcnt(0)
	v_fmac_f32_e32 v100, v102, v103
	s_andn2_b64 exec, exec, s[4:5]
	s_cbranch_execnz .LBB39_73
; %bb.74:
	s_or_b64 exec, exec, s[4:5]
.LBB39_75:
	s_or_b64 exec, exec, s[12:13]
	v_mov_b32_e32 v99, 0
	ds_read_b32 v99, v99 offset:124
	s_waitcnt lgkmcnt(0)
	v_mul_f32_e32 v99, v100, v99
	buffer_store_dword v99, off, s[0:3], 0 offset:124
.LBB39_76:
	s_or_b64 exec, exec, s[10:11]
	buffer_load_dword v99, off, s[0:3], 0 offset:120
	v_cmp_lt_u32_e64 s[4:5], 30, v0
	s_waitcnt vmcnt(0)
	ds_write_b32 v82, v99
	s_waitcnt lgkmcnt(0)
	; wave barrier
	s_waitcnt lgkmcnt(0)
	s_and_saveexec_b64 s[10:11], s[4:5]
	s_cbranch_execz .LBB39_86
; %bb.77:
	s_andn2_b64 vcc, exec, s[8:9]
	s_cbranch_vccnz .LBB39_79
; %bb.78:
	buffer_load_dword v99, v83, s[0:3], 0 offen
	ds_read_b32 v100, v82
	s_waitcnt vmcnt(0) lgkmcnt(0)
	v_mul_f32_e32 v99, v99, v100
	s_cbranch_execz .LBB39_80
	s_branch .LBB39_81
.LBB39_79:
                                        ; implicit-def: $vgpr99
.LBB39_80:
	ds_read_b32 v99, v82
.LBB39_81:
	s_and_saveexec_b64 s[12:13], s[6:7]
	s_cbranch_execz .LBB39_85
; %bb.82:
	v_mov_b32_e32 v100, 0
	v_add_u32_e32 v100, 0x7c, v100
	v_subrev_u32_e32 v101, 31, v0
	s_movk_i32 s14, 0x11c
	s_mov_b64 s[6:7], 0
.LBB39_83:                              ; =>This Inner Loop Header: Depth=1
	buffer_load_dword v102, v100, s[0:3], 0 offen
	v_mov_b32_e32 v103, s14
	ds_read_b32 v103, v103
	v_add_u32_e32 v101, -1, v101
	s_add_i32 s14, s14, 4
	v_cmp_eq_u32_e32 vcc, 0, v101
	v_add_u32_e32 v100, 4, v100
	s_or_b64 s[6:7], vcc, s[6:7]
	s_waitcnt vmcnt(0) lgkmcnt(0)
	v_fmac_f32_e32 v99, v102, v103
	s_andn2_b64 exec, exec, s[6:7]
	s_cbranch_execnz .LBB39_83
; %bb.84:
	s_or_b64 exec, exec, s[6:7]
.LBB39_85:
	s_or_b64 exec, exec, s[12:13]
	v_mov_b32_e32 v100, 0
	ds_read_b32 v100, v100 offset:120
	s_waitcnt lgkmcnt(0)
	v_mul_f32_e32 v99, v99, v100
	buffer_store_dword v99, off, s[0:3], 0 offset:120
.LBB39_86:
	s_or_b64 exec, exec, s[10:11]
	buffer_load_dword v99, off, s[0:3], 0 offset:116
	v_cmp_lt_u32_e64 s[6:7], 29, v0
	s_waitcnt vmcnt(0)
	ds_write_b32 v82, v99
	s_waitcnt lgkmcnt(0)
	; wave barrier
	s_waitcnt lgkmcnt(0)
	s_and_saveexec_b64 s[10:11], s[6:7]
	s_cbranch_execz .LBB39_96
; %bb.87:
	s_andn2_b64 vcc, exec, s[8:9]
	s_cbranch_vccnz .LBB39_89
; %bb.88:
	buffer_load_dword v99, v83, s[0:3], 0 offen
	ds_read_b32 v100, v82
	s_waitcnt vmcnt(0) lgkmcnt(0)
	v_mul_f32_e32 v99, v99, v100
	s_cbranch_execz .LBB39_90
	s_branch .LBB39_91
.LBB39_89:
                                        ; implicit-def: $vgpr99
.LBB39_90:
	ds_read_b32 v99, v82
.LBB39_91:
	s_and_saveexec_b64 s[12:13], s[4:5]
	s_cbranch_execz .LBB39_95
; %bb.92:
	v_subrev_u32_e32 v100, 30, v0
	s_movk_i32 s14, 0x118
	s_mov_b64 s[4:5], 0
.LBB39_93:                              ; =>This Inner Loop Header: Depth=1
	buffer_load_dword v101, v98, s[0:3], 0 offen
	v_mov_b32_e32 v102, s14
	ds_read_b32 v102, v102
	v_add_u32_e32 v100, -1, v100
	s_add_i32 s14, s14, 4
	v_cmp_eq_u32_e32 vcc, 0, v100
	v_add_u32_e32 v98, 4, v98
	s_or_b64 s[4:5], vcc, s[4:5]
	s_waitcnt vmcnt(0) lgkmcnt(0)
	v_fmac_f32_e32 v99, v101, v102
	s_andn2_b64 exec, exec, s[4:5]
	s_cbranch_execnz .LBB39_93
; %bb.94:
	s_or_b64 exec, exec, s[4:5]
.LBB39_95:
	s_or_b64 exec, exec, s[12:13]
	v_mov_b32_e32 v98, 0
	ds_read_b32 v98, v98 offset:116
	s_waitcnt lgkmcnt(0)
	v_mul_f32_e32 v98, v99, v98
	buffer_store_dword v98, off, s[0:3], 0 offset:116
.LBB39_96:
	s_or_b64 exec, exec, s[10:11]
	buffer_load_dword v98, off, s[0:3], 0 offset:112
	v_cmp_lt_u32_e64 s[4:5], 28, v0
	s_waitcnt vmcnt(0)
	ds_write_b32 v82, v98
	s_waitcnt lgkmcnt(0)
	; wave barrier
	s_waitcnt lgkmcnt(0)
	s_and_saveexec_b64 s[10:11], s[4:5]
	s_cbranch_execz .LBB39_106
; %bb.97:
	s_andn2_b64 vcc, exec, s[8:9]
	s_cbranch_vccnz .LBB39_99
; %bb.98:
	buffer_load_dword v98, v83, s[0:3], 0 offen
	ds_read_b32 v99, v82
	s_waitcnt vmcnt(0) lgkmcnt(0)
	v_mul_f32_e32 v98, v98, v99
	s_cbranch_execz .LBB39_100
	s_branch .LBB39_101
.LBB39_99:
                                        ; implicit-def: $vgpr98
.LBB39_100:
	ds_read_b32 v98, v82
.LBB39_101:
	s_and_saveexec_b64 s[12:13], s[6:7]
	s_cbranch_execz .LBB39_105
; %bb.102:
	v_mov_b32_e32 v99, 0
	v_add_u32_e32 v99, 0x74, v99
	v_subrev_u32_e32 v100, 29, v0
	s_movk_i32 s14, 0x114
	s_mov_b64 s[6:7], 0
.LBB39_103:                             ; =>This Inner Loop Header: Depth=1
	buffer_load_dword v101, v99, s[0:3], 0 offen
	v_mov_b32_e32 v102, s14
	ds_read_b32 v102, v102
	v_add_u32_e32 v100, -1, v100
	s_add_i32 s14, s14, 4
	v_cmp_eq_u32_e32 vcc, 0, v100
	v_add_u32_e32 v99, 4, v99
	s_or_b64 s[6:7], vcc, s[6:7]
	s_waitcnt vmcnt(0) lgkmcnt(0)
	v_fmac_f32_e32 v98, v101, v102
	s_andn2_b64 exec, exec, s[6:7]
	s_cbranch_execnz .LBB39_103
; %bb.104:
	s_or_b64 exec, exec, s[6:7]
.LBB39_105:
	s_or_b64 exec, exec, s[12:13]
	v_mov_b32_e32 v99, 0
	ds_read_b32 v99, v99 offset:112
	s_waitcnt lgkmcnt(0)
	v_mul_f32_e32 v98, v98, v99
	buffer_store_dword v98, off, s[0:3], 0 offset:112
.LBB39_106:
	s_or_b64 exec, exec, s[10:11]
	buffer_load_dword v98, off, s[0:3], 0 offset:108
	v_cmp_lt_u32_e64 s[6:7], 27, v0
	s_waitcnt vmcnt(0)
	ds_write_b32 v82, v98
	s_waitcnt lgkmcnt(0)
	; wave barrier
	s_waitcnt lgkmcnt(0)
	s_and_saveexec_b64 s[10:11], s[6:7]
	s_cbranch_execz .LBB39_116
; %bb.107:
	s_andn2_b64 vcc, exec, s[8:9]
	s_cbranch_vccnz .LBB39_109
; %bb.108:
	buffer_load_dword v98, v83, s[0:3], 0 offen
	ds_read_b32 v99, v82
	s_waitcnt vmcnt(0) lgkmcnt(0)
	v_mul_f32_e32 v98, v98, v99
	s_cbranch_execz .LBB39_110
	s_branch .LBB39_111
.LBB39_109:
                                        ; implicit-def: $vgpr98
.LBB39_110:
	ds_read_b32 v98, v82
.LBB39_111:
	s_and_saveexec_b64 s[12:13], s[4:5]
	s_cbranch_execz .LBB39_115
; %bb.112:
	v_subrev_u32_e32 v99, 28, v0
	s_movk_i32 s14, 0x110
	s_mov_b64 s[4:5], 0
.LBB39_113:                             ; =>This Inner Loop Header: Depth=1
	buffer_load_dword v100, v97, s[0:3], 0 offen
	v_mov_b32_e32 v101, s14
	ds_read_b32 v101, v101
	v_add_u32_e32 v99, -1, v99
	s_add_i32 s14, s14, 4
	v_cmp_eq_u32_e32 vcc, 0, v99
	v_add_u32_e32 v97, 4, v97
	s_or_b64 s[4:5], vcc, s[4:5]
	s_waitcnt vmcnt(0) lgkmcnt(0)
	v_fmac_f32_e32 v98, v100, v101
	s_andn2_b64 exec, exec, s[4:5]
	s_cbranch_execnz .LBB39_113
; %bb.114:
	s_or_b64 exec, exec, s[4:5]
.LBB39_115:
	s_or_b64 exec, exec, s[12:13]
	v_mov_b32_e32 v97, 0
	ds_read_b32 v97, v97 offset:108
	s_waitcnt lgkmcnt(0)
	v_mul_f32_e32 v97, v98, v97
	buffer_store_dword v97, off, s[0:3], 0 offset:108
.LBB39_116:
	s_or_b64 exec, exec, s[10:11]
	buffer_load_dword v97, off, s[0:3], 0 offset:104
	v_cmp_lt_u32_e64 s[4:5], 26, v0
	s_waitcnt vmcnt(0)
	ds_write_b32 v82, v97
	s_waitcnt lgkmcnt(0)
	; wave barrier
	s_waitcnt lgkmcnt(0)
	s_and_saveexec_b64 s[10:11], s[4:5]
	s_cbranch_execz .LBB39_126
; %bb.117:
	s_andn2_b64 vcc, exec, s[8:9]
	s_cbranch_vccnz .LBB39_119
; %bb.118:
	buffer_load_dword v97, v83, s[0:3], 0 offen
	ds_read_b32 v98, v82
	s_waitcnt vmcnt(0) lgkmcnt(0)
	v_mul_f32_e32 v97, v97, v98
	s_cbranch_execz .LBB39_120
	s_branch .LBB39_121
.LBB39_119:
                                        ; implicit-def: $vgpr97
.LBB39_120:
	ds_read_b32 v97, v82
.LBB39_121:
	s_and_saveexec_b64 s[12:13], s[6:7]
	s_cbranch_execz .LBB39_125
; %bb.122:
	v_mov_b32_e32 v98, 0
	v_add_u32_e32 v98, 0x6c, v98
	v_subrev_u32_e32 v99, 27, v0
	s_movk_i32 s14, 0x10c
	s_mov_b64 s[6:7], 0
.LBB39_123:                             ; =>This Inner Loop Header: Depth=1
	buffer_load_dword v100, v98, s[0:3], 0 offen
	v_mov_b32_e32 v101, s14
	ds_read_b32 v101, v101
	v_add_u32_e32 v99, -1, v99
	s_add_i32 s14, s14, 4
	v_cmp_eq_u32_e32 vcc, 0, v99
	v_add_u32_e32 v98, 4, v98
	s_or_b64 s[6:7], vcc, s[6:7]
	s_waitcnt vmcnt(0) lgkmcnt(0)
	v_fmac_f32_e32 v97, v100, v101
	s_andn2_b64 exec, exec, s[6:7]
	s_cbranch_execnz .LBB39_123
; %bb.124:
	s_or_b64 exec, exec, s[6:7]
.LBB39_125:
	s_or_b64 exec, exec, s[12:13]
	v_mov_b32_e32 v98, 0
	ds_read_b32 v98, v98 offset:104
	s_waitcnt lgkmcnt(0)
	v_mul_f32_e32 v97, v97, v98
	buffer_store_dword v97, off, s[0:3], 0 offset:104
.LBB39_126:
	s_or_b64 exec, exec, s[10:11]
	buffer_load_dword v97, off, s[0:3], 0 offset:100
	v_cmp_lt_u32_e64 s[6:7], 25, v0
	s_waitcnt vmcnt(0)
	ds_write_b32 v82, v97
	s_waitcnt lgkmcnt(0)
	; wave barrier
	s_waitcnt lgkmcnt(0)
	s_and_saveexec_b64 s[10:11], s[6:7]
	s_cbranch_execz .LBB39_136
; %bb.127:
	s_andn2_b64 vcc, exec, s[8:9]
	s_cbranch_vccnz .LBB39_129
; %bb.128:
	buffer_load_dword v97, v83, s[0:3], 0 offen
	ds_read_b32 v98, v82
	s_waitcnt vmcnt(0) lgkmcnt(0)
	v_mul_f32_e32 v97, v97, v98
	s_cbranch_execz .LBB39_130
	s_branch .LBB39_131
.LBB39_129:
                                        ; implicit-def: $vgpr97
.LBB39_130:
	ds_read_b32 v97, v82
.LBB39_131:
	s_and_saveexec_b64 s[12:13], s[4:5]
	s_cbranch_execz .LBB39_135
; %bb.132:
	v_subrev_u32_e32 v98, 26, v0
	s_movk_i32 s14, 0x108
	s_mov_b64 s[4:5], 0
.LBB39_133:                             ; =>This Inner Loop Header: Depth=1
	buffer_load_dword v99, v96, s[0:3], 0 offen
	v_mov_b32_e32 v100, s14
	ds_read_b32 v100, v100
	v_add_u32_e32 v98, -1, v98
	s_add_i32 s14, s14, 4
	v_cmp_eq_u32_e32 vcc, 0, v98
	v_add_u32_e32 v96, 4, v96
	s_or_b64 s[4:5], vcc, s[4:5]
	s_waitcnt vmcnt(0) lgkmcnt(0)
	v_fmac_f32_e32 v97, v99, v100
	s_andn2_b64 exec, exec, s[4:5]
	s_cbranch_execnz .LBB39_133
; %bb.134:
	s_or_b64 exec, exec, s[4:5]
.LBB39_135:
	s_or_b64 exec, exec, s[12:13]
	v_mov_b32_e32 v96, 0
	ds_read_b32 v96, v96 offset:100
	s_waitcnt lgkmcnt(0)
	v_mul_f32_e32 v96, v97, v96
	buffer_store_dword v96, off, s[0:3], 0 offset:100
.LBB39_136:
	s_or_b64 exec, exec, s[10:11]
	buffer_load_dword v96, off, s[0:3], 0 offset:96
	v_cmp_lt_u32_e64 s[4:5], 24, v0
	s_waitcnt vmcnt(0)
	ds_write_b32 v82, v96
	s_waitcnt lgkmcnt(0)
	; wave barrier
	s_waitcnt lgkmcnt(0)
	s_and_saveexec_b64 s[10:11], s[4:5]
	s_cbranch_execz .LBB39_146
; %bb.137:
	s_andn2_b64 vcc, exec, s[8:9]
	s_cbranch_vccnz .LBB39_139
; %bb.138:
	buffer_load_dword v96, v83, s[0:3], 0 offen
	ds_read_b32 v97, v82
	s_waitcnt vmcnt(0) lgkmcnt(0)
	v_mul_f32_e32 v96, v96, v97
	s_cbranch_execz .LBB39_140
	s_branch .LBB39_141
.LBB39_139:
                                        ; implicit-def: $vgpr96
.LBB39_140:
	ds_read_b32 v96, v82
.LBB39_141:
	s_and_saveexec_b64 s[12:13], s[6:7]
	s_cbranch_execz .LBB39_145
; %bb.142:
	v_mov_b32_e32 v97, 0
	v_add_u32_e32 v97, 0x64, v97
	v_subrev_u32_e32 v98, 25, v0
	s_movk_i32 s14, 0x104
	s_mov_b64 s[6:7], 0
.LBB39_143:                             ; =>This Inner Loop Header: Depth=1
	buffer_load_dword v99, v97, s[0:3], 0 offen
	v_mov_b32_e32 v100, s14
	ds_read_b32 v100, v100
	v_add_u32_e32 v98, -1, v98
	s_add_i32 s14, s14, 4
	v_cmp_eq_u32_e32 vcc, 0, v98
	v_add_u32_e32 v97, 4, v97
	s_or_b64 s[6:7], vcc, s[6:7]
	s_waitcnt vmcnt(0) lgkmcnt(0)
	v_fmac_f32_e32 v96, v99, v100
	s_andn2_b64 exec, exec, s[6:7]
	s_cbranch_execnz .LBB39_143
; %bb.144:
	s_or_b64 exec, exec, s[6:7]
.LBB39_145:
	s_or_b64 exec, exec, s[12:13]
	v_mov_b32_e32 v97, 0
	ds_read_b32 v97, v97 offset:96
	s_waitcnt lgkmcnt(0)
	v_mul_f32_e32 v96, v96, v97
	buffer_store_dword v96, off, s[0:3], 0 offset:96
.LBB39_146:
	s_or_b64 exec, exec, s[10:11]
	buffer_load_dword v96, off, s[0:3], 0 offset:92
	v_cmp_lt_u32_e64 s[6:7], 23, v0
	s_waitcnt vmcnt(0)
	ds_write_b32 v82, v96
	s_waitcnt lgkmcnt(0)
	; wave barrier
	s_waitcnt lgkmcnt(0)
	s_and_saveexec_b64 s[10:11], s[6:7]
	s_cbranch_execz .LBB39_156
; %bb.147:
	s_andn2_b64 vcc, exec, s[8:9]
	s_cbranch_vccnz .LBB39_149
; %bb.148:
	buffer_load_dword v96, v83, s[0:3], 0 offen
	ds_read_b32 v97, v82
	s_waitcnt vmcnt(0) lgkmcnt(0)
	v_mul_f32_e32 v96, v96, v97
	s_cbranch_execz .LBB39_150
	s_branch .LBB39_151
.LBB39_149:
                                        ; implicit-def: $vgpr96
.LBB39_150:
	ds_read_b32 v96, v82
.LBB39_151:
	s_and_saveexec_b64 s[12:13], s[4:5]
	s_cbranch_execz .LBB39_155
; %bb.152:
	v_subrev_u32_e32 v97, 24, v0
	s_movk_i32 s14, 0x100
	s_mov_b64 s[4:5], 0
.LBB39_153:                             ; =>This Inner Loop Header: Depth=1
	buffer_load_dword v98, v95, s[0:3], 0 offen
	v_mov_b32_e32 v99, s14
	ds_read_b32 v99, v99
	v_add_u32_e32 v97, -1, v97
	s_add_i32 s14, s14, 4
	v_cmp_eq_u32_e32 vcc, 0, v97
	v_add_u32_e32 v95, 4, v95
	s_or_b64 s[4:5], vcc, s[4:5]
	s_waitcnt vmcnt(0) lgkmcnt(0)
	v_fmac_f32_e32 v96, v98, v99
	s_andn2_b64 exec, exec, s[4:5]
	s_cbranch_execnz .LBB39_153
; %bb.154:
	s_or_b64 exec, exec, s[4:5]
.LBB39_155:
	s_or_b64 exec, exec, s[12:13]
	v_mov_b32_e32 v95, 0
	ds_read_b32 v95, v95 offset:92
	s_waitcnt lgkmcnt(0)
	v_mul_f32_e32 v95, v96, v95
	buffer_store_dword v95, off, s[0:3], 0 offset:92
.LBB39_156:
	s_or_b64 exec, exec, s[10:11]
	buffer_load_dword v95, off, s[0:3], 0 offset:88
	v_cmp_lt_u32_e64 s[4:5], 22, v0
	s_waitcnt vmcnt(0)
	ds_write_b32 v82, v95
	s_waitcnt lgkmcnt(0)
	; wave barrier
	s_waitcnt lgkmcnt(0)
	s_and_saveexec_b64 s[10:11], s[4:5]
	s_cbranch_execz .LBB39_166
; %bb.157:
	s_andn2_b64 vcc, exec, s[8:9]
	s_cbranch_vccnz .LBB39_159
; %bb.158:
	buffer_load_dword v95, v83, s[0:3], 0 offen
	ds_read_b32 v96, v82
	s_waitcnt vmcnt(0) lgkmcnt(0)
	v_mul_f32_e32 v95, v95, v96
	s_cbranch_execz .LBB39_160
	s_branch .LBB39_161
.LBB39_159:
                                        ; implicit-def: $vgpr95
.LBB39_160:
	ds_read_b32 v95, v82
.LBB39_161:
	s_and_saveexec_b64 s[12:13], s[6:7]
	s_cbranch_execz .LBB39_165
; %bb.162:
	v_mov_b32_e32 v96, 0
	v_add_u32_e32 v96, 0x5c, v96
	v_subrev_u32_e32 v97, 23, v0
	s_movk_i32 s14, 0xfc
	s_mov_b64 s[6:7], 0
.LBB39_163:                             ; =>This Inner Loop Header: Depth=1
	buffer_load_dword v98, v96, s[0:3], 0 offen
	v_mov_b32_e32 v99, s14
	ds_read_b32 v99, v99
	v_add_u32_e32 v97, -1, v97
	s_add_i32 s14, s14, 4
	v_cmp_eq_u32_e32 vcc, 0, v97
	v_add_u32_e32 v96, 4, v96
	s_or_b64 s[6:7], vcc, s[6:7]
	s_waitcnt vmcnt(0) lgkmcnt(0)
	v_fmac_f32_e32 v95, v98, v99
	s_andn2_b64 exec, exec, s[6:7]
	s_cbranch_execnz .LBB39_163
; %bb.164:
	s_or_b64 exec, exec, s[6:7]
.LBB39_165:
	s_or_b64 exec, exec, s[12:13]
	v_mov_b32_e32 v96, 0
	ds_read_b32 v96, v96 offset:88
	s_waitcnt lgkmcnt(0)
	v_mul_f32_e32 v95, v95, v96
	buffer_store_dword v95, off, s[0:3], 0 offset:88
.LBB39_166:
	s_or_b64 exec, exec, s[10:11]
	buffer_load_dword v95, off, s[0:3], 0 offset:84
	v_cmp_lt_u32_e64 s[6:7], 21, v0
	s_waitcnt vmcnt(0)
	ds_write_b32 v82, v95
	s_waitcnt lgkmcnt(0)
	; wave barrier
	s_waitcnt lgkmcnt(0)
	s_and_saveexec_b64 s[10:11], s[6:7]
	s_cbranch_execz .LBB39_176
; %bb.167:
	s_andn2_b64 vcc, exec, s[8:9]
	s_cbranch_vccnz .LBB39_169
; %bb.168:
	buffer_load_dword v95, v83, s[0:3], 0 offen
	ds_read_b32 v96, v82
	s_waitcnt vmcnt(0) lgkmcnt(0)
	v_mul_f32_e32 v95, v95, v96
	s_cbranch_execz .LBB39_170
	s_branch .LBB39_171
.LBB39_169:
                                        ; implicit-def: $vgpr95
.LBB39_170:
	ds_read_b32 v95, v82
.LBB39_171:
	s_and_saveexec_b64 s[12:13], s[4:5]
	s_cbranch_execz .LBB39_175
; %bb.172:
	v_subrev_u32_e32 v96, 22, v0
	s_movk_i32 s14, 0xf8
	s_mov_b64 s[4:5], 0
.LBB39_173:                             ; =>This Inner Loop Header: Depth=1
	buffer_load_dword v97, v94, s[0:3], 0 offen
	v_mov_b32_e32 v98, s14
	ds_read_b32 v98, v98
	v_add_u32_e32 v96, -1, v96
	s_add_i32 s14, s14, 4
	v_cmp_eq_u32_e32 vcc, 0, v96
	v_add_u32_e32 v94, 4, v94
	s_or_b64 s[4:5], vcc, s[4:5]
	s_waitcnt vmcnt(0) lgkmcnt(0)
	v_fmac_f32_e32 v95, v97, v98
	s_andn2_b64 exec, exec, s[4:5]
	s_cbranch_execnz .LBB39_173
; %bb.174:
	s_or_b64 exec, exec, s[4:5]
.LBB39_175:
	s_or_b64 exec, exec, s[12:13]
	v_mov_b32_e32 v94, 0
	ds_read_b32 v94, v94 offset:84
	s_waitcnt lgkmcnt(0)
	v_mul_f32_e32 v94, v95, v94
	buffer_store_dword v94, off, s[0:3], 0 offset:84
.LBB39_176:
	s_or_b64 exec, exec, s[10:11]
	buffer_load_dword v94, off, s[0:3], 0 offset:80
	v_cmp_lt_u32_e64 s[4:5], 20, v0
	s_waitcnt vmcnt(0)
	ds_write_b32 v82, v94
	s_waitcnt lgkmcnt(0)
	; wave barrier
	s_waitcnt lgkmcnt(0)
	s_and_saveexec_b64 s[10:11], s[4:5]
	s_cbranch_execz .LBB39_186
; %bb.177:
	s_andn2_b64 vcc, exec, s[8:9]
	s_cbranch_vccnz .LBB39_179
; %bb.178:
	buffer_load_dword v94, v83, s[0:3], 0 offen
	ds_read_b32 v95, v82
	s_waitcnt vmcnt(0) lgkmcnt(0)
	v_mul_f32_e32 v94, v94, v95
	s_cbranch_execz .LBB39_180
	s_branch .LBB39_181
.LBB39_179:
                                        ; implicit-def: $vgpr94
.LBB39_180:
	ds_read_b32 v94, v82
.LBB39_181:
	s_and_saveexec_b64 s[12:13], s[6:7]
	s_cbranch_execz .LBB39_185
; %bb.182:
	v_mov_b32_e32 v95, 0
	v_add_u32_e32 v95, 0x54, v95
	v_subrev_u32_e32 v96, 21, v0
	s_movk_i32 s14, 0xf4
	s_mov_b64 s[6:7], 0
.LBB39_183:                             ; =>This Inner Loop Header: Depth=1
	buffer_load_dword v97, v95, s[0:3], 0 offen
	v_mov_b32_e32 v98, s14
	ds_read_b32 v98, v98
	v_add_u32_e32 v96, -1, v96
	s_add_i32 s14, s14, 4
	v_cmp_eq_u32_e32 vcc, 0, v96
	v_add_u32_e32 v95, 4, v95
	s_or_b64 s[6:7], vcc, s[6:7]
	s_waitcnt vmcnt(0) lgkmcnt(0)
	v_fmac_f32_e32 v94, v97, v98
	s_andn2_b64 exec, exec, s[6:7]
	s_cbranch_execnz .LBB39_183
; %bb.184:
	s_or_b64 exec, exec, s[6:7]
.LBB39_185:
	s_or_b64 exec, exec, s[12:13]
	v_mov_b32_e32 v95, 0
	ds_read_b32 v95, v95 offset:80
	s_waitcnt lgkmcnt(0)
	v_mul_f32_e32 v94, v94, v95
	buffer_store_dword v94, off, s[0:3], 0 offset:80
.LBB39_186:
	s_or_b64 exec, exec, s[10:11]
	buffer_load_dword v94, off, s[0:3], 0 offset:76
	v_cmp_lt_u32_e64 s[6:7], 19, v0
	s_waitcnt vmcnt(0)
	ds_write_b32 v82, v94
	s_waitcnt lgkmcnt(0)
	; wave barrier
	s_waitcnt lgkmcnt(0)
	s_and_saveexec_b64 s[10:11], s[6:7]
	s_cbranch_execz .LBB39_196
; %bb.187:
	s_andn2_b64 vcc, exec, s[8:9]
	s_cbranch_vccnz .LBB39_189
; %bb.188:
	buffer_load_dword v94, v83, s[0:3], 0 offen
	ds_read_b32 v95, v82
	s_waitcnt vmcnt(0) lgkmcnt(0)
	v_mul_f32_e32 v94, v94, v95
	s_cbranch_execz .LBB39_190
	s_branch .LBB39_191
.LBB39_189:
                                        ; implicit-def: $vgpr94
.LBB39_190:
	ds_read_b32 v94, v82
.LBB39_191:
	s_and_saveexec_b64 s[12:13], s[4:5]
	s_cbranch_execz .LBB39_195
; %bb.192:
	v_subrev_u32_e32 v95, 20, v0
	s_movk_i32 s14, 0xf0
	s_mov_b64 s[4:5], 0
.LBB39_193:                             ; =>This Inner Loop Header: Depth=1
	buffer_load_dword v96, v93, s[0:3], 0 offen
	v_mov_b32_e32 v97, s14
	ds_read_b32 v97, v97
	v_add_u32_e32 v95, -1, v95
	s_add_i32 s14, s14, 4
	v_cmp_eq_u32_e32 vcc, 0, v95
	v_add_u32_e32 v93, 4, v93
	s_or_b64 s[4:5], vcc, s[4:5]
	s_waitcnt vmcnt(0) lgkmcnt(0)
	v_fmac_f32_e32 v94, v96, v97
	s_andn2_b64 exec, exec, s[4:5]
	s_cbranch_execnz .LBB39_193
; %bb.194:
	s_or_b64 exec, exec, s[4:5]
.LBB39_195:
	s_or_b64 exec, exec, s[12:13]
	v_mov_b32_e32 v93, 0
	ds_read_b32 v93, v93 offset:76
	s_waitcnt lgkmcnt(0)
	v_mul_f32_e32 v93, v94, v93
	buffer_store_dword v93, off, s[0:3], 0 offset:76
.LBB39_196:
	s_or_b64 exec, exec, s[10:11]
	buffer_load_dword v93, off, s[0:3], 0 offset:72
	v_cmp_lt_u32_e64 s[4:5], 18, v0
	s_waitcnt vmcnt(0)
	ds_write_b32 v82, v93
	s_waitcnt lgkmcnt(0)
	; wave barrier
	s_waitcnt lgkmcnt(0)
	s_and_saveexec_b64 s[10:11], s[4:5]
	s_cbranch_execz .LBB39_206
; %bb.197:
	s_andn2_b64 vcc, exec, s[8:9]
	s_cbranch_vccnz .LBB39_199
; %bb.198:
	buffer_load_dword v93, v83, s[0:3], 0 offen
	ds_read_b32 v94, v82
	s_waitcnt vmcnt(0) lgkmcnt(0)
	v_mul_f32_e32 v93, v93, v94
	s_cbranch_execz .LBB39_200
	s_branch .LBB39_201
.LBB39_199:
                                        ; implicit-def: $vgpr93
.LBB39_200:
	ds_read_b32 v93, v82
.LBB39_201:
	s_and_saveexec_b64 s[12:13], s[6:7]
	s_cbranch_execz .LBB39_205
; %bb.202:
	v_mov_b32_e32 v94, 0
	v_add_u32_e32 v94, 0x4c, v94
	v_subrev_u32_e32 v95, 19, v0
	s_movk_i32 s14, 0xec
	s_mov_b64 s[6:7], 0
.LBB39_203:                             ; =>This Inner Loop Header: Depth=1
	buffer_load_dword v96, v94, s[0:3], 0 offen
	v_mov_b32_e32 v97, s14
	ds_read_b32 v97, v97
	v_add_u32_e32 v95, -1, v95
	s_add_i32 s14, s14, 4
	v_cmp_eq_u32_e32 vcc, 0, v95
	v_add_u32_e32 v94, 4, v94
	s_or_b64 s[6:7], vcc, s[6:7]
	s_waitcnt vmcnt(0) lgkmcnt(0)
	v_fmac_f32_e32 v93, v96, v97
	s_andn2_b64 exec, exec, s[6:7]
	s_cbranch_execnz .LBB39_203
; %bb.204:
	s_or_b64 exec, exec, s[6:7]
.LBB39_205:
	s_or_b64 exec, exec, s[12:13]
	v_mov_b32_e32 v94, 0
	ds_read_b32 v94, v94 offset:72
	s_waitcnt lgkmcnt(0)
	v_mul_f32_e32 v93, v93, v94
	buffer_store_dword v93, off, s[0:3], 0 offset:72
.LBB39_206:
	s_or_b64 exec, exec, s[10:11]
	buffer_load_dword v93, off, s[0:3], 0 offset:68
	v_cmp_lt_u32_e64 s[6:7], 17, v0
	s_waitcnt vmcnt(0)
	ds_write_b32 v82, v93
	s_waitcnt lgkmcnt(0)
	; wave barrier
	s_waitcnt lgkmcnt(0)
	s_and_saveexec_b64 s[10:11], s[6:7]
	s_cbranch_execz .LBB39_216
; %bb.207:
	s_andn2_b64 vcc, exec, s[8:9]
	s_cbranch_vccnz .LBB39_209
; %bb.208:
	buffer_load_dword v93, v83, s[0:3], 0 offen
	ds_read_b32 v94, v82
	s_waitcnt vmcnt(0) lgkmcnt(0)
	v_mul_f32_e32 v93, v93, v94
	s_cbranch_execz .LBB39_210
	s_branch .LBB39_211
.LBB39_209:
                                        ; implicit-def: $vgpr93
.LBB39_210:
	ds_read_b32 v93, v82
.LBB39_211:
	s_and_saveexec_b64 s[12:13], s[4:5]
	s_cbranch_execz .LBB39_215
; %bb.212:
	v_subrev_u32_e32 v94, 18, v0
	s_movk_i32 s14, 0xe8
	s_mov_b64 s[4:5], 0
.LBB39_213:                             ; =>This Inner Loop Header: Depth=1
	buffer_load_dword v95, v92, s[0:3], 0 offen
	v_mov_b32_e32 v96, s14
	ds_read_b32 v96, v96
	v_add_u32_e32 v94, -1, v94
	s_add_i32 s14, s14, 4
	v_cmp_eq_u32_e32 vcc, 0, v94
	v_add_u32_e32 v92, 4, v92
	s_or_b64 s[4:5], vcc, s[4:5]
	s_waitcnt vmcnt(0) lgkmcnt(0)
	v_fmac_f32_e32 v93, v95, v96
	s_andn2_b64 exec, exec, s[4:5]
	s_cbranch_execnz .LBB39_213
; %bb.214:
	s_or_b64 exec, exec, s[4:5]
.LBB39_215:
	s_or_b64 exec, exec, s[12:13]
	v_mov_b32_e32 v92, 0
	ds_read_b32 v92, v92 offset:68
	s_waitcnt lgkmcnt(0)
	v_mul_f32_e32 v92, v93, v92
	buffer_store_dword v92, off, s[0:3], 0 offset:68
.LBB39_216:
	s_or_b64 exec, exec, s[10:11]
	buffer_load_dword v92, off, s[0:3], 0 offset:64
	v_cmp_lt_u32_e64 s[4:5], 16, v0
	s_waitcnt vmcnt(0)
	ds_write_b32 v82, v92
	s_waitcnt lgkmcnt(0)
	; wave barrier
	s_waitcnt lgkmcnt(0)
	s_and_saveexec_b64 s[10:11], s[4:5]
	s_cbranch_execz .LBB39_226
; %bb.217:
	s_andn2_b64 vcc, exec, s[8:9]
	s_cbranch_vccnz .LBB39_219
; %bb.218:
	buffer_load_dword v92, v83, s[0:3], 0 offen
	ds_read_b32 v93, v82
	s_waitcnt vmcnt(0) lgkmcnt(0)
	v_mul_f32_e32 v92, v92, v93
	s_cbranch_execz .LBB39_220
	s_branch .LBB39_221
.LBB39_219:
                                        ; implicit-def: $vgpr92
.LBB39_220:
	ds_read_b32 v92, v82
.LBB39_221:
	s_and_saveexec_b64 s[12:13], s[6:7]
	s_cbranch_execz .LBB39_225
; %bb.222:
	v_mov_b32_e32 v93, 0
	v_add_u32_e32 v93, 0x44, v93
	v_subrev_u32_e32 v94, 17, v0
	s_movk_i32 s14, 0xe4
	s_mov_b64 s[6:7], 0
.LBB39_223:                             ; =>This Inner Loop Header: Depth=1
	buffer_load_dword v95, v93, s[0:3], 0 offen
	v_mov_b32_e32 v96, s14
	ds_read_b32 v96, v96
	v_add_u32_e32 v94, -1, v94
	s_add_i32 s14, s14, 4
	v_cmp_eq_u32_e32 vcc, 0, v94
	v_add_u32_e32 v93, 4, v93
	s_or_b64 s[6:7], vcc, s[6:7]
	s_waitcnt vmcnt(0) lgkmcnt(0)
	v_fmac_f32_e32 v92, v95, v96
	s_andn2_b64 exec, exec, s[6:7]
	s_cbranch_execnz .LBB39_223
; %bb.224:
	s_or_b64 exec, exec, s[6:7]
.LBB39_225:
	s_or_b64 exec, exec, s[12:13]
	v_mov_b32_e32 v93, 0
	ds_read_b32 v93, v93 offset:64
	s_waitcnt lgkmcnt(0)
	v_mul_f32_e32 v92, v92, v93
	buffer_store_dword v92, off, s[0:3], 0 offset:64
.LBB39_226:
	s_or_b64 exec, exec, s[10:11]
	buffer_load_dword v92, off, s[0:3], 0 offset:60
	v_cmp_lt_u32_e64 s[6:7], 15, v0
	s_waitcnt vmcnt(0)
	ds_write_b32 v82, v92
	s_waitcnt lgkmcnt(0)
	; wave barrier
	s_waitcnt lgkmcnt(0)
	s_and_saveexec_b64 s[10:11], s[6:7]
	s_cbranch_execz .LBB39_236
; %bb.227:
	s_andn2_b64 vcc, exec, s[8:9]
	s_cbranch_vccnz .LBB39_229
; %bb.228:
	buffer_load_dword v92, v83, s[0:3], 0 offen
	ds_read_b32 v93, v82
	s_waitcnt vmcnt(0) lgkmcnt(0)
	v_mul_f32_e32 v92, v92, v93
	s_cbranch_execz .LBB39_230
	s_branch .LBB39_231
.LBB39_229:
                                        ; implicit-def: $vgpr92
.LBB39_230:
	ds_read_b32 v92, v82
.LBB39_231:
	s_and_saveexec_b64 s[12:13], s[4:5]
	s_cbranch_execz .LBB39_235
; %bb.232:
	v_add_u32_e32 v93, -16, v0
	s_movk_i32 s14, 0xe0
	s_mov_b64 s[4:5], 0
.LBB39_233:                             ; =>This Inner Loop Header: Depth=1
	buffer_load_dword v94, v91, s[0:3], 0 offen
	v_mov_b32_e32 v95, s14
	ds_read_b32 v95, v95
	v_add_u32_e32 v93, -1, v93
	s_add_i32 s14, s14, 4
	v_cmp_eq_u32_e32 vcc, 0, v93
	v_add_u32_e32 v91, 4, v91
	s_or_b64 s[4:5], vcc, s[4:5]
	s_waitcnt vmcnt(0) lgkmcnt(0)
	v_fmac_f32_e32 v92, v94, v95
	s_andn2_b64 exec, exec, s[4:5]
	s_cbranch_execnz .LBB39_233
; %bb.234:
	s_or_b64 exec, exec, s[4:5]
.LBB39_235:
	s_or_b64 exec, exec, s[12:13]
	v_mov_b32_e32 v91, 0
	ds_read_b32 v91, v91 offset:60
	s_waitcnt lgkmcnt(0)
	v_mul_f32_e32 v91, v92, v91
	buffer_store_dword v91, off, s[0:3], 0 offset:60
.LBB39_236:
	s_or_b64 exec, exec, s[10:11]
	buffer_load_dword v91, off, s[0:3], 0 offset:56
	v_cmp_lt_u32_e64 s[4:5], 14, v0
	s_waitcnt vmcnt(0)
	ds_write_b32 v82, v91
	s_waitcnt lgkmcnt(0)
	; wave barrier
	s_waitcnt lgkmcnt(0)
	s_and_saveexec_b64 s[10:11], s[4:5]
	s_cbranch_execz .LBB39_246
; %bb.237:
	s_andn2_b64 vcc, exec, s[8:9]
	s_cbranch_vccnz .LBB39_239
; %bb.238:
	buffer_load_dword v91, v83, s[0:3], 0 offen
	ds_read_b32 v92, v82
	s_waitcnt vmcnt(0) lgkmcnt(0)
	v_mul_f32_e32 v91, v91, v92
	s_cbranch_execz .LBB39_240
	s_branch .LBB39_241
.LBB39_239:
                                        ; implicit-def: $vgpr91
.LBB39_240:
	ds_read_b32 v91, v82
.LBB39_241:
	s_and_saveexec_b64 s[12:13], s[6:7]
	s_cbranch_execz .LBB39_245
; %bb.242:
	v_mov_b32_e32 v92, 0
	v_add_u32_e32 v92, 60, v92
	v_add_u32_e32 v93, -15, v0
	s_movk_i32 s14, 0xdc
	s_mov_b64 s[6:7], 0
.LBB39_243:                             ; =>This Inner Loop Header: Depth=1
	buffer_load_dword v94, v92, s[0:3], 0 offen
	v_mov_b32_e32 v95, s14
	ds_read_b32 v95, v95
	v_add_u32_e32 v93, -1, v93
	s_add_i32 s14, s14, 4
	v_cmp_eq_u32_e32 vcc, 0, v93
	v_add_u32_e32 v92, 4, v92
	s_or_b64 s[6:7], vcc, s[6:7]
	s_waitcnt vmcnt(0) lgkmcnt(0)
	v_fmac_f32_e32 v91, v94, v95
	s_andn2_b64 exec, exec, s[6:7]
	s_cbranch_execnz .LBB39_243
; %bb.244:
	s_or_b64 exec, exec, s[6:7]
.LBB39_245:
	s_or_b64 exec, exec, s[12:13]
	v_mov_b32_e32 v92, 0
	ds_read_b32 v92, v92 offset:56
	s_waitcnt lgkmcnt(0)
	v_mul_f32_e32 v91, v91, v92
	buffer_store_dword v91, off, s[0:3], 0 offset:56
.LBB39_246:
	s_or_b64 exec, exec, s[10:11]
	buffer_load_dword v91, off, s[0:3], 0 offset:52
	v_cmp_lt_u32_e64 s[6:7], 13, v0
	s_waitcnt vmcnt(0)
	ds_write_b32 v82, v91
	s_waitcnt lgkmcnt(0)
	; wave barrier
	s_waitcnt lgkmcnt(0)
	s_and_saveexec_b64 s[10:11], s[6:7]
	s_cbranch_execz .LBB39_256
; %bb.247:
	s_andn2_b64 vcc, exec, s[8:9]
	s_cbranch_vccnz .LBB39_249
; %bb.248:
	buffer_load_dword v91, v83, s[0:3], 0 offen
	ds_read_b32 v92, v82
	s_waitcnt vmcnt(0) lgkmcnt(0)
	v_mul_f32_e32 v91, v91, v92
	s_cbranch_execz .LBB39_250
	s_branch .LBB39_251
.LBB39_249:
                                        ; implicit-def: $vgpr91
.LBB39_250:
	ds_read_b32 v91, v82
.LBB39_251:
	s_and_saveexec_b64 s[12:13], s[4:5]
	s_cbranch_execz .LBB39_255
; %bb.252:
	v_add_u32_e32 v92, -14, v0
	s_movk_i32 s14, 0xd8
	s_mov_b64 s[4:5], 0
.LBB39_253:                             ; =>This Inner Loop Header: Depth=1
	buffer_load_dword v93, v90, s[0:3], 0 offen
	v_mov_b32_e32 v94, s14
	ds_read_b32 v94, v94
	v_add_u32_e32 v92, -1, v92
	s_add_i32 s14, s14, 4
	v_cmp_eq_u32_e32 vcc, 0, v92
	v_add_u32_e32 v90, 4, v90
	s_or_b64 s[4:5], vcc, s[4:5]
	s_waitcnt vmcnt(0) lgkmcnt(0)
	v_fmac_f32_e32 v91, v93, v94
	s_andn2_b64 exec, exec, s[4:5]
	s_cbranch_execnz .LBB39_253
; %bb.254:
	s_or_b64 exec, exec, s[4:5]
.LBB39_255:
	s_or_b64 exec, exec, s[12:13]
	v_mov_b32_e32 v90, 0
	ds_read_b32 v90, v90 offset:52
	s_waitcnt lgkmcnt(0)
	v_mul_f32_e32 v90, v91, v90
	buffer_store_dword v90, off, s[0:3], 0 offset:52
.LBB39_256:
	s_or_b64 exec, exec, s[10:11]
	buffer_load_dword v90, off, s[0:3], 0 offset:48
	v_cmp_lt_u32_e64 s[4:5], 12, v0
	s_waitcnt vmcnt(0)
	ds_write_b32 v82, v90
	s_waitcnt lgkmcnt(0)
	; wave barrier
	s_waitcnt lgkmcnt(0)
	s_and_saveexec_b64 s[10:11], s[4:5]
	s_cbranch_execz .LBB39_266
; %bb.257:
	s_andn2_b64 vcc, exec, s[8:9]
	s_cbranch_vccnz .LBB39_259
; %bb.258:
	buffer_load_dword v90, v83, s[0:3], 0 offen
	ds_read_b32 v91, v82
	s_waitcnt vmcnt(0) lgkmcnt(0)
	v_mul_f32_e32 v90, v90, v91
	s_cbranch_execz .LBB39_260
	s_branch .LBB39_261
.LBB39_259:
                                        ; implicit-def: $vgpr90
.LBB39_260:
	ds_read_b32 v90, v82
.LBB39_261:
	s_and_saveexec_b64 s[12:13], s[6:7]
	s_cbranch_execz .LBB39_265
; %bb.262:
	v_mov_b32_e32 v91, 0
	v_add_u32_e32 v91, 52, v91
	v_add_u32_e32 v92, -13, v0
	s_movk_i32 s14, 0xd4
	s_mov_b64 s[6:7], 0
.LBB39_263:                             ; =>This Inner Loop Header: Depth=1
	buffer_load_dword v93, v91, s[0:3], 0 offen
	v_mov_b32_e32 v94, s14
	ds_read_b32 v94, v94
	v_add_u32_e32 v92, -1, v92
	s_add_i32 s14, s14, 4
	v_cmp_eq_u32_e32 vcc, 0, v92
	v_add_u32_e32 v91, 4, v91
	s_or_b64 s[6:7], vcc, s[6:7]
	s_waitcnt vmcnt(0) lgkmcnt(0)
	v_fmac_f32_e32 v90, v93, v94
	s_andn2_b64 exec, exec, s[6:7]
	s_cbranch_execnz .LBB39_263
; %bb.264:
	s_or_b64 exec, exec, s[6:7]
.LBB39_265:
	s_or_b64 exec, exec, s[12:13]
	v_mov_b32_e32 v91, 0
	ds_read_b32 v91, v91 offset:48
	s_waitcnt lgkmcnt(0)
	v_mul_f32_e32 v90, v90, v91
	buffer_store_dword v90, off, s[0:3], 0 offset:48
.LBB39_266:
	s_or_b64 exec, exec, s[10:11]
	buffer_load_dword v90, off, s[0:3], 0 offset:44
	v_cmp_lt_u32_e64 s[6:7], 11, v0
	s_waitcnt vmcnt(0)
	ds_write_b32 v82, v90
	s_waitcnt lgkmcnt(0)
	; wave barrier
	s_waitcnt lgkmcnt(0)
	s_and_saveexec_b64 s[10:11], s[6:7]
	s_cbranch_execz .LBB39_276
; %bb.267:
	s_andn2_b64 vcc, exec, s[8:9]
	s_cbranch_vccnz .LBB39_269
; %bb.268:
	buffer_load_dword v90, v83, s[0:3], 0 offen
	ds_read_b32 v91, v82
	s_waitcnt vmcnt(0) lgkmcnt(0)
	v_mul_f32_e32 v90, v90, v91
	s_cbranch_execz .LBB39_270
	s_branch .LBB39_271
.LBB39_269:
                                        ; implicit-def: $vgpr90
.LBB39_270:
	ds_read_b32 v90, v82
.LBB39_271:
	s_and_saveexec_b64 s[12:13], s[4:5]
	s_cbranch_execz .LBB39_275
; %bb.272:
	v_add_u32_e32 v91, -12, v0
	s_movk_i32 s14, 0xd0
	s_mov_b64 s[4:5], 0
.LBB39_273:                             ; =>This Inner Loop Header: Depth=1
	buffer_load_dword v92, v89, s[0:3], 0 offen
	v_mov_b32_e32 v93, s14
	ds_read_b32 v93, v93
	v_add_u32_e32 v91, -1, v91
	s_add_i32 s14, s14, 4
	v_cmp_eq_u32_e32 vcc, 0, v91
	v_add_u32_e32 v89, 4, v89
	s_or_b64 s[4:5], vcc, s[4:5]
	s_waitcnt vmcnt(0) lgkmcnt(0)
	v_fmac_f32_e32 v90, v92, v93
	s_andn2_b64 exec, exec, s[4:5]
	s_cbranch_execnz .LBB39_273
; %bb.274:
	s_or_b64 exec, exec, s[4:5]
.LBB39_275:
	s_or_b64 exec, exec, s[12:13]
	v_mov_b32_e32 v89, 0
	ds_read_b32 v89, v89 offset:44
	s_waitcnt lgkmcnt(0)
	v_mul_f32_e32 v89, v90, v89
	buffer_store_dword v89, off, s[0:3], 0 offset:44
.LBB39_276:
	s_or_b64 exec, exec, s[10:11]
	buffer_load_dword v89, off, s[0:3], 0 offset:40
	v_cmp_lt_u32_e64 s[4:5], 10, v0
	s_waitcnt vmcnt(0)
	ds_write_b32 v82, v89
	s_waitcnt lgkmcnt(0)
	; wave barrier
	s_waitcnt lgkmcnt(0)
	s_and_saveexec_b64 s[10:11], s[4:5]
	s_cbranch_execz .LBB39_286
; %bb.277:
	s_andn2_b64 vcc, exec, s[8:9]
	s_cbranch_vccnz .LBB39_279
; %bb.278:
	buffer_load_dword v89, v83, s[0:3], 0 offen
	ds_read_b32 v90, v82
	s_waitcnt vmcnt(0) lgkmcnt(0)
	v_mul_f32_e32 v89, v89, v90
	s_cbranch_execz .LBB39_280
	s_branch .LBB39_281
.LBB39_279:
                                        ; implicit-def: $vgpr89
.LBB39_280:
	ds_read_b32 v89, v82
.LBB39_281:
	s_and_saveexec_b64 s[12:13], s[6:7]
	s_cbranch_execz .LBB39_285
; %bb.282:
	v_mov_b32_e32 v90, 0
	v_add_u32_e32 v90, 44, v90
	v_add_u32_e32 v91, -11, v0
	s_movk_i32 s14, 0xcc
	s_mov_b64 s[6:7], 0
.LBB39_283:                             ; =>This Inner Loop Header: Depth=1
	buffer_load_dword v92, v90, s[0:3], 0 offen
	v_mov_b32_e32 v93, s14
	ds_read_b32 v93, v93
	v_add_u32_e32 v91, -1, v91
	s_add_i32 s14, s14, 4
	v_cmp_eq_u32_e32 vcc, 0, v91
	v_add_u32_e32 v90, 4, v90
	s_or_b64 s[6:7], vcc, s[6:7]
	s_waitcnt vmcnt(0) lgkmcnt(0)
	v_fmac_f32_e32 v89, v92, v93
	s_andn2_b64 exec, exec, s[6:7]
	s_cbranch_execnz .LBB39_283
; %bb.284:
	s_or_b64 exec, exec, s[6:7]
.LBB39_285:
	s_or_b64 exec, exec, s[12:13]
	v_mov_b32_e32 v90, 0
	ds_read_b32 v90, v90 offset:40
	s_waitcnt lgkmcnt(0)
	v_mul_f32_e32 v89, v89, v90
	buffer_store_dword v89, off, s[0:3], 0 offset:40
.LBB39_286:
	s_or_b64 exec, exec, s[10:11]
	buffer_load_dword v89, off, s[0:3], 0 offset:36
	v_cmp_lt_u32_e64 s[6:7], 9, v0
	s_waitcnt vmcnt(0)
	ds_write_b32 v82, v89
	s_waitcnt lgkmcnt(0)
	; wave barrier
	s_waitcnt lgkmcnt(0)
	s_and_saveexec_b64 s[10:11], s[6:7]
	s_cbranch_execz .LBB39_296
; %bb.287:
	s_andn2_b64 vcc, exec, s[8:9]
	s_cbranch_vccnz .LBB39_289
; %bb.288:
	buffer_load_dword v89, v83, s[0:3], 0 offen
	ds_read_b32 v90, v82
	s_waitcnt vmcnt(0) lgkmcnt(0)
	v_mul_f32_e32 v89, v89, v90
	s_cbranch_execz .LBB39_290
	s_branch .LBB39_291
.LBB39_289:
                                        ; implicit-def: $vgpr89
.LBB39_290:
	ds_read_b32 v89, v82
.LBB39_291:
	s_and_saveexec_b64 s[12:13], s[4:5]
	s_cbranch_execz .LBB39_295
; %bb.292:
	v_add_u32_e32 v90, -10, v0
	s_movk_i32 s14, 0xc8
	s_mov_b64 s[4:5], 0
.LBB39_293:                             ; =>This Inner Loop Header: Depth=1
	buffer_load_dword v91, v88, s[0:3], 0 offen
	v_mov_b32_e32 v92, s14
	ds_read_b32 v92, v92
	v_add_u32_e32 v90, -1, v90
	s_add_i32 s14, s14, 4
	v_cmp_eq_u32_e32 vcc, 0, v90
	v_add_u32_e32 v88, 4, v88
	s_or_b64 s[4:5], vcc, s[4:5]
	s_waitcnt vmcnt(0) lgkmcnt(0)
	v_fmac_f32_e32 v89, v91, v92
	s_andn2_b64 exec, exec, s[4:5]
	s_cbranch_execnz .LBB39_293
; %bb.294:
	s_or_b64 exec, exec, s[4:5]
.LBB39_295:
	s_or_b64 exec, exec, s[12:13]
	v_mov_b32_e32 v88, 0
	ds_read_b32 v88, v88 offset:36
	s_waitcnt lgkmcnt(0)
	v_mul_f32_e32 v88, v89, v88
	buffer_store_dword v88, off, s[0:3], 0 offset:36
.LBB39_296:
	s_or_b64 exec, exec, s[10:11]
	buffer_load_dword v88, off, s[0:3], 0 offset:32
	v_cmp_lt_u32_e64 s[4:5], 8, v0
	s_waitcnt vmcnt(0)
	ds_write_b32 v82, v88
	s_waitcnt lgkmcnt(0)
	; wave barrier
	s_waitcnt lgkmcnt(0)
	s_and_saveexec_b64 s[10:11], s[4:5]
	s_cbranch_execz .LBB39_306
; %bb.297:
	s_andn2_b64 vcc, exec, s[8:9]
	s_cbranch_vccnz .LBB39_299
; %bb.298:
	buffer_load_dword v88, v83, s[0:3], 0 offen
	ds_read_b32 v89, v82
	s_waitcnt vmcnt(0) lgkmcnt(0)
	v_mul_f32_e32 v88, v88, v89
	s_cbranch_execz .LBB39_300
	s_branch .LBB39_301
.LBB39_299:
                                        ; implicit-def: $vgpr88
.LBB39_300:
	ds_read_b32 v88, v82
.LBB39_301:
	s_and_saveexec_b64 s[12:13], s[6:7]
	s_cbranch_execz .LBB39_305
; %bb.302:
	v_mov_b32_e32 v89, 0
	v_add_u32_e32 v89, 36, v89
	v_add_u32_e32 v90, -9, v0
	s_movk_i32 s14, 0xc4
	s_mov_b64 s[6:7], 0
.LBB39_303:                             ; =>This Inner Loop Header: Depth=1
	buffer_load_dword v91, v89, s[0:3], 0 offen
	v_mov_b32_e32 v92, s14
	ds_read_b32 v92, v92
	v_add_u32_e32 v90, -1, v90
	s_add_i32 s14, s14, 4
	v_cmp_eq_u32_e32 vcc, 0, v90
	v_add_u32_e32 v89, 4, v89
	s_or_b64 s[6:7], vcc, s[6:7]
	s_waitcnt vmcnt(0) lgkmcnt(0)
	v_fmac_f32_e32 v88, v91, v92
	s_andn2_b64 exec, exec, s[6:7]
	s_cbranch_execnz .LBB39_303
; %bb.304:
	s_or_b64 exec, exec, s[6:7]
.LBB39_305:
	s_or_b64 exec, exec, s[12:13]
	v_mov_b32_e32 v89, 0
	ds_read_b32 v89, v89 offset:32
	s_waitcnt lgkmcnt(0)
	v_mul_f32_e32 v88, v88, v89
	buffer_store_dword v88, off, s[0:3], 0 offset:32
.LBB39_306:
	s_or_b64 exec, exec, s[10:11]
	buffer_load_dword v88, off, s[0:3], 0 offset:28
	v_cmp_lt_u32_e64 s[6:7], 7, v0
	s_waitcnt vmcnt(0)
	ds_write_b32 v82, v88
	s_waitcnt lgkmcnt(0)
	; wave barrier
	s_waitcnt lgkmcnt(0)
	s_and_saveexec_b64 s[10:11], s[6:7]
	s_cbranch_execz .LBB39_316
; %bb.307:
	s_andn2_b64 vcc, exec, s[8:9]
	s_cbranch_vccnz .LBB39_309
; %bb.308:
	buffer_load_dword v88, v83, s[0:3], 0 offen
	ds_read_b32 v89, v82
	s_waitcnt vmcnt(0) lgkmcnt(0)
	v_mul_f32_e32 v88, v88, v89
	s_cbranch_execz .LBB39_310
	s_branch .LBB39_311
.LBB39_309:
                                        ; implicit-def: $vgpr88
.LBB39_310:
	ds_read_b32 v88, v82
.LBB39_311:
	s_and_saveexec_b64 s[12:13], s[4:5]
	s_cbranch_execz .LBB39_315
; %bb.312:
	v_add_u32_e32 v89, -8, v0
	s_movk_i32 s14, 0xc0
	s_mov_b64 s[4:5], 0
.LBB39_313:                             ; =>This Inner Loop Header: Depth=1
	buffer_load_dword v90, v87, s[0:3], 0 offen
	v_mov_b32_e32 v91, s14
	ds_read_b32 v91, v91
	v_add_u32_e32 v89, -1, v89
	s_add_i32 s14, s14, 4
	v_cmp_eq_u32_e32 vcc, 0, v89
	v_add_u32_e32 v87, 4, v87
	s_or_b64 s[4:5], vcc, s[4:5]
	s_waitcnt vmcnt(0) lgkmcnt(0)
	v_fmac_f32_e32 v88, v90, v91
	s_andn2_b64 exec, exec, s[4:5]
	s_cbranch_execnz .LBB39_313
; %bb.314:
	s_or_b64 exec, exec, s[4:5]
.LBB39_315:
	s_or_b64 exec, exec, s[12:13]
	v_mov_b32_e32 v87, 0
	ds_read_b32 v87, v87 offset:28
	s_waitcnt lgkmcnt(0)
	v_mul_f32_e32 v87, v88, v87
	buffer_store_dword v87, off, s[0:3], 0 offset:28
.LBB39_316:
	s_or_b64 exec, exec, s[10:11]
	buffer_load_dword v87, off, s[0:3], 0 offset:24
	v_cmp_lt_u32_e64 s[4:5], 6, v0
	s_waitcnt vmcnt(0)
	ds_write_b32 v82, v87
	s_waitcnt lgkmcnt(0)
	; wave barrier
	s_waitcnt lgkmcnt(0)
	s_and_saveexec_b64 s[10:11], s[4:5]
	s_cbranch_execz .LBB39_326
; %bb.317:
	s_andn2_b64 vcc, exec, s[8:9]
	s_cbranch_vccnz .LBB39_319
; %bb.318:
	buffer_load_dword v87, v83, s[0:3], 0 offen
	ds_read_b32 v88, v82
	s_waitcnt vmcnt(0) lgkmcnt(0)
	v_mul_f32_e32 v87, v87, v88
	s_cbranch_execz .LBB39_320
	s_branch .LBB39_321
.LBB39_319:
                                        ; implicit-def: $vgpr87
.LBB39_320:
	ds_read_b32 v87, v82
.LBB39_321:
	s_and_saveexec_b64 s[12:13], s[6:7]
	s_cbranch_execz .LBB39_325
; %bb.322:
	v_mov_b32_e32 v88, 0
	v_add_u32_e32 v88, 28, v88
	v_add_u32_e32 v89, -7, v0
	s_movk_i32 s14, 0xbc
	s_mov_b64 s[6:7], 0
.LBB39_323:                             ; =>This Inner Loop Header: Depth=1
	buffer_load_dword v90, v88, s[0:3], 0 offen
	v_mov_b32_e32 v91, s14
	ds_read_b32 v91, v91
	v_add_u32_e32 v89, -1, v89
	s_add_i32 s14, s14, 4
	v_cmp_eq_u32_e32 vcc, 0, v89
	v_add_u32_e32 v88, 4, v88
	s_or_b64 s[6:7], vcc, s[6:7]
	s_waitcnt vmcnt(0) lgkmcnt(0)
	v_fmac_f32_e32 v87, v90, v91
	s_andn2_b64 exec, exec, s[6:7]
	s_cbranch_execnz .LBB39_323
; %bb.324:
	s_or_b64 exec, exec, s[6:7]
.LBB39_325:
	s_or_b64 exec, exec, s[12:13]
	v_mov_b32_e32 v88, 0
	ds_read_b32 v88, v88 offset:24
	s_waitcnt lgkmcnt(0)
	v_mul_f32_e32 v87, v87, v88
	buffer_store_dword v87, off, s[0:3], 0 offset:24
.LBB39_326:
	s_or_b64 exec, exec, s[10:11]
	buffer_load_dword v87, off, s[0:3], 0 offset:20
	v_cmp_lt_u32_e64 s[6:7], 5, v0
	s_waitcnt vmcnt(0)
	ds_write_b32 v82, v87
	s_waitcnt lgkmcnt(0)
	; wave barrier
	s_waitcnt lgkmcnt(0)
	s_and_saveexec_b64 s[10:11], s[6:7]
	s_cbranch_execz .LBB39_336
; %bb.327:
	s_andn2_b64 vcc, exec, s[8:9]
	s_cbranch_vccnz .LBB39_329
; %bb.328:
	buffer_load_dword v87, v83, s[0:3], 0 offen
	ds_read_b32 v88, v82
	s_waitcnt vmcnt(0) lgkmcnt(0)
	v_mul_f32_e32 v87, v87, v88
	s_cbranch_execz .LBB39_330
	s_branch .LBB39_331
.LBB39_329:
                                        ; implicit-def: $vgpr87
.LBB39_330:
	ds_read_b32 v87, v82
.LBB39_331:
	s_and_saveexec_b64 s[12:13], s[4:5]
	s_cbranch_execz .LBB39_335
; %bb.332:
	v_add_u32_e32 v88, -6, v0
	s_movk_i32 s14, 0xb8
	s_mov_b64 s[4:5], 0
.LBB39_333:                             ; =>This Inner Loop Header: Depth=1
	buffer_load_dword v89, v86, s[0:3], 0 offen
	v_mov_b32_e32 v90, s14
	ds_read_b32 v90, v90
	v_add_u32_e32 v88, -1, v88
	s_add_i32 s14, s14, 4
	v_cmp_eq_u32_e32 vcc, 0, v88
	v_add_u32_e32 v86, 4, v86
	s_or_b64 s[4:5], vcc, s[4:5]
	s_waitcnt vmcnt(0) lgkmcnt(0)
	v_fmac_f32_e32 v87, v89, v90
	s_andn2_b64 exec, exec, s[4:5]
	s_cbranch_execnz .LBB39_333
; %bb.334:
	s_or_b64 exec, exec, s[4:5]
.LBB39_335:
	s_or_b64 exec, exec, s[12:13]
	v_mov_b32_e32 v86, 0
	ds_read_b32 v86, v86 offset:20
	s_waitcnt lgkmcnt(0)
	v_mul_f32_e32 v86, v87, v86
	buffer_store_dword v86, off, s[0:3], 0 offset:20
.LBB39_336:
	s_or_b64 exec, exec, s[10:11]
	buffer_load_dword v86, off, s[0:3], 0 offset:16
	v_cmp_lt_u32_e64 s[4:5], 4, v0
	s_waitcnt vmcnt(0)
	ds_write_b32 v82, v86
	s_waitcnt lgkmcnt(0)
	; wave barrier
	s_waitcnt lgkmcnt(0)
	s_and_saveexec_b64 s[10:11], s[4:5]
	s_cbranch_execz .LBB39_346
; %bb.337:
	s_andn2_b64 vcc, exec, s[8:9]
	s_cbranch_vccnz .LBB39_339
; %bb.338:
	buffer_load_dword v86, v83, s[0:3], 0 offen
	ds_read_b32 v87, v82
	s_waitcnt vmcnt(0) lgkmcnt(0)
	v_mul_f32_e32 v86, v86, v87
	s_cbranch_execz .LBB39_340
	s_branch .LBB39_341
.LBB39_339:
                                        ; implicit-def: $vgpr86
.LBB39_340:
	ds_read_b32 v86, v82
.LBB39_341:
	s_and_saveexec_b64 s[12:13], s[6:7]
	s_cbranch_execz .LBB39_345
; %bb.342:
	v_mov_b32_e32 v87, 0
	v_add_u32_e32 v87, 20, v87
	v_add_u32_e32 v88, -5, v0
	s_movk_i32 s14, 0xb4
	s_mov_b64 s[6:7], 0
.LBB39_343:                             ; =>This Inner Loop Header: Depth=1
	buffer_load_dword v89, v87, s[0:3], 0 offen
	v_mov_b32_e32 v90, s14
	ds_read_b32 v90, v90
	v_add_u32_e32 v88, -1, v88
	s_add_i32 s14, s14, 4
	v_cmp_eq_u32_e32 vcc, 0, v88
	v_add_u32_e32 v87, 4, v87
	s_or_b64 s[6:7], vcc, s[6:7]
	s_waitcnt vmcnt(0) lgkmcnt(0)
	v_fmac_f32_e32 v86, v89, v90
	s_andn2_b64 exec, exec, s[6:7]
	s_cbranch_execnz .LBB39_343
; %bb.344:
	s_or_b64 exec, exec, s[6:7]
.LBB39_345:
	s_or_b64 exec, exec, s[12:13]
	v_mov_b32_e32 v87, 0
	ds_read_b32 v87, v87 offset:16
	s_waitcnt lgkmcnt(0)
	v_mul_f32_e32 v86, v86, v87
	buffer_store_dword v86, off, s[0:3], 0 offset:16
.LBB39_346:
	s_or_b64 exec, exec, s[10:11]
	buffer_load_dword v86, off, s[0:3], 0 offset:12
	v_cmp_lt_u32_e64 s[6:7], 3, v0
	s_waitcnt vmcnt(0)
	ds_write_b32 v82, v86
	s_waitcnt lgkmcnt(0)
	; wave barrier
	s_waitcnt lgkmcnt(0)
	s_and_saveexec_b64 s[10:11], s[6:7]
	s_cbranch_execz .LBB39_356
; %bb.347:
	s_andn2_b64 vcc, exec, s[8:9]
	s_cbranch_vccnz .LBB39_349
; %bb.348:
	buffer_load_dword v86, v83, s[0:3], 0 offen
	ds_read_b32 v87, v82
	s_waitcnt vmcnt(0) lgkmcnt(0)
	v_mul_f32_e32 v86, v86, v87
	s_cbranch_execz .LBB39_350
	s_branch .LBB39_351
.LBB39_349:
                                        ; implicit-def: $vgpr86
.LBB39_350:
	ds_read_b32 v86, v82
.LBB39_351:
	s_and_saveexec_b64 s[12:13], s[4:5]
	s_cbranch_execz .LBB39_355
; %bb.352:
	v_add_u32_e32 v87, -4, v0
	s_movk_i32 s14, 0xb0
	s_mov_b64 s[4:5], 0
.LBB39_353:                             ; =>This Inner Loop Header: Depth=1
	buffer_load_dword v88, v85, s[0:3], 0 offen
	v_mov_b32_e32 v89, s14
	ds_read_b32 v89, v89
	v_add_u32_e32 v87, -1, v87
	s_add_i32 s14, s14, 4
	v_cmp_eq_u32_e32 vcc, 0, v87
	v_add_u32_e32 v85, 4, v85
	s_or_b64 s[4:5], vcc, s[4:5]
	s_waitcnt vmcnt(0) lgkmcnt(0)
	v_fmac_f32_e32 v86, v88, v89
	s_andn2_b64 exec, exec, s[4:5]
	s_cbranch_execnz .LBB39_353
; %bb.354:
	s_or_b64 exec, exec, s[4:5]
.LBB39_355:
	s_or_b64 exec, exec, s[12:13]
	v_mov_b32_e32 v85, 0
	ds_read_b32 v85, v85 offset:12
	s_waitcnt lgkmcnt(0)
	v_mul_f32_e32 v85, v86, v85
	buffer_store_dword v85, off, s[0:3], 0 offset:12
.LBB39_356:
	s_or_b64 exec, exec, s[10:11]
	buffer_load_dword v85, off, s[0:3], 0 offset:8
	v_cmp_lt_u32_e64 s[4:5], 2, v0
	s_waitcnt vmcnt(0)
	ds_write_b32 v82, v85
	s_waitcnt lgkmcnt(0)
	; wave barrier
	s_waitcnt lgkmcnt(0)
	s_and_saveexec_b64 s[10:11], s[4:5]
	s_cbranch_execz .LBB39_366
; %bb.357:
	s_andn2_b64 vcc, exec, s[8:9]
	s_cbranch_vccnz .LBB39_359
; %bb.358:
	buffer_load_dword v85, v83, s[0:3], 0 offen
	ds_read_b32 v86, v82
	s_waitcnt vmcnt(0) lgkmcnt(0)
	v_mul_f32_e32 v85, v85, v86
	s_cbranch_execz .LBB39_360
	s_branch .LBB39_361
.LBB39_359:
                                        ; implicit-def: $vgpr85
.LBB39_360:
	ds_read_b32 v85, v82
.LBB39_361:
	s_and_saveexec_b64 s[12:13], s[6:7]
	s_cbranch_execz .LBB39_365
; %bb.362:
	v_mov_b32_e32 v86, 0
	v_or_b32_e32 v86, 12, v86
	v_add_u32_e32 v87, -3, v0
	s_movk_i32 s14, 0xac
	s_mov_b64 s[6:7], 0
.LBB39_363:                             ; =>This Inner Loop Header: Depth=1
	buffer_load_dword v88, v86, s[0:3], 0 offen
	v_mov_b32_e32 v89, s14
	ds_read_b32 v89, v89
	v_add_u32_e32 v87, -1, v87
	s_add_i32 s14, s14, 4
	v_cmp_eq_u32_e32 vcc, 0, v87
	v_add_u32_e32 v86, 4, v86
	s_or_b64 s[6:7], vcc, s[6:7]
	s_waitcnt vmcnt(0) lgkmcnt(0)
	v_fmac_f32_e32 v85, v88, v89
	s_andn2_b64 exec, exec, s[6:7]
	s_cbranch_execnz .LBB39_363
; %bb.364:
	s_or_b64 exec, exec, s[6:7]
.LBB39_365:
	s_or_b64 exec, exec, s[12:13]
	v_mov_b32_e32 v86, 0
	ds_read_b32 v86, v86 offset:8
	s_waitcnt lgkmcnt(0)
	v_mul_f32_e32 v85, v85, v86
	buffer_store_dword v85, off, s[0:3], 0 offset:8
.LBB39_366:
	s_or_b64 exec, exec, s[10:11]
	buffer_load_dword v85, off, s[0:3], 0 offset:4
	v_cmp_lt_u32_e64 s[6:7], 1, v0
	s_waitcnt vmcnt(0)
	ds_write_b32 v82, v85
	s_waitcnt lgkmcnt(0)
	; wave barrier
	s_waitcnt lgkmcnt(0)
	s_and_saveexec_b64 s[10:11], s[6:7]
	s_cbranch_execz .LBB39_376
; %bb.367:
	s_andn2_b64 vcc, exec, s[8:9]
	s_cbranch_vccnz .LBB39_369
; %bb.368:
	buffer_load_dword v85, v83, s[0:3], 0 offen
	ds_read_b32 v86, v82
	s_waitcnt vmcnt(0) lgkmcnt(0)
	v_mul_f32_e32 v85, v85, v86
	s_cbranch_execz .LBB39_370
	s_branch .LBB39_371
.LBB39_369:
                                        ; implicit-def: $vgpr85
.LBB39_370:
	ds_read_b32 v85, v82
.LBB39_371:
	s_and_saveexec_b64 s[12:13], s[4:5]
	s_cbranch_execz .LBB39_375
; %bb.372:
	v_add_u32_e32 v86, -2, v0
	s_movk_i32 s14, 0xa8
	s_mov_b64 s[4:5], 0
.LBB39_373:                             ; =>This Inner Loop Header: Depth=1
	buffer_load_dword v87, v84, s[0:3], 0 offen
	v_mov_b32_e32 v88, s14
	ds_read_b32 v88, v88
	v_add_u32_e32 v86, -1, v86
	s_add_i32 s14, s14, 4
	v_cmp_eq_u32_e32 vcc, 0, v86
	v_add_u32_e32 v84, 4, v84
	s_or_b64 s[4:5], vcc, s[4:5]
	s_waitcnt vmcnt(0) lgkmcnt(0)
	v_fmac_f32_e32 v85, v87, v88
	s_andn2_b64 exec, exec, s[4:5]
	s_cbranch_execnz .LBB39_373
; %bb.374:
	s_or_b64 exec, exec, s[4:5]
.LBB39_375:
	s_or_b64 exec, exec, s[12:13]
	v_mov_b32_e32 v84, 0
	ds_read_b32 v84, v84 offset:4
	s_waitcnt lgkmcnt(0)
	v_mul_f32_e32 v84, v85, v84
	buffer_store_dword v84, off, s[0:3], 0 offset:4
.LBB39_376:
	s_or_b64 exec, exec, s[10:11]
	buffer_load_dword v84, off, s[0:3], 0
	v_cmp_ne_u32_e32 vcc, 0, v0
	s_waitcnt vmcnt(0)
	ds_write_b32 v82, v84
	s_waitcnt lgkmcnt(0)
	; wave barrier
	s_waitcnt lgkmcnt(0)
	s_and_saveexec_b64 s[4:5], vcc
	s_cbranch_execz .LBB39_386
; %bb.377:
	s_andn2_b64 vcc, exec, s[8:9]
	s_cbranch_vccnz .LBB39_379
; %bb.378:
	buffer_load_dword v84, v83, s[0:3], 0 offen
	ds_read_b32 v85, v82
	s_waitcnt vmcnt(0) lgkmcnt(0)
	v_mul_f32_e32 v84, v84, v85
	s_cbranch_execz .LBB39_380
	s_branch .LBB39_381
.LBB39_379:
                                        ; implicit-def: $vgpr84
.LBB39_380:
	ds_read_b32 v84, v82
.LBB39_381:
	s_and_saveexec_b64 s[10:11], s[6:7]
	s_cbranch_execz .LBB39_385
; %bb.382:
	v_mov_b32_e32 v85, 0
	v_or_b32_e32 v85, 4, v85
	v_add_u32_e32 v86, -1, v0
	s_movk_i32 s12, 0xa4
	s_mov_b64 s[6:7], 0
.LBB39_383:                             ; =>This Inner Loop Header: Depth=1
	buffer_load_dword v87, v85, s[0:3], 0 offen
	v_mov_b32_e32 v88, s12
	ds_read_b32 v88, v88
	v_add_u32_e32 v86, -1, v86
	s_add_i32 s12, s12, 4
	v_cmp_eq_u32_e32 vcc, 0, v86
	v_add_u32_e32 v85, 4, v85
	s_or_b64 s[6:7], vcc, s[6:7]
	s_waitcnt vmcnt(0) lgkmcnt(0)
	v_fmac_f32_e32 v84, v87, v88
	s_andn2_b64 exec, exec, s[6:7]
	s_cbranch_execnz .LBB39_383
; %bb.384:
	s_or_b64 exec, exec, s[6:7]
.LBB39_385:
	s_or_b64 exec, exec, s[10:11]
	v_mov_b32_e32 v85, 0
	ds_read_b32 v85, v85
	s_waitcnt lgkmcnt(0)
	v_mul_f32_e32 v84, v84, v85
	buffer_store_dword v84, off, s[0:3], 0
.LBB39_386:
	s_or_b64 exec, exec, s[4:5]
	s_mov_b64 s[4:5], 0
.LBB39_387:
	s_and_b64 vcc, exec, s[4:5]
	s_cbranch_vccz .LBB39_771
; %bb.388:
	buffer_load_dword v84, off, s[0:3], 0 offset:4
	v_cmp_eq_u32_e64 s[6:7], 0, v0
	s_waitcnt vmcnt(0)
	ds_write_b32 v82, v84
	s_waitcnt lgkmcnt(0)
	; wave barrier
	s_waitcnt lgkmcnt(0)
	s_and_saveexec_b64 s[4:5], s[6:7]
	s_cbranch_execz .LBB39_394
; %bb.389:
	s_and_b64 vcc, exec, s[8:9]
	s_cbranch_vccz .LBB39_391
; %bb.390:
	buffer_load_dword v84, v83, s[0:3], 0 offen
	ds_read_b32 v85, v82
	s_waitcnt vmcnt(0) lgkmcnt(0)
	v_mul_f32_e32 v84, v84, v85
	s_cbranch_execz .LBB39_392
	s_branch .LBB39_393
.LBB39_391:
                                        ; implicit-def: $vgpr84
.LBB39_392:
	ds_read_b32 v84, v82
.LBB39_393:
	v_mov_b32_e32 v85, 0
	ds_read_b32 v85, v85 offset:4
	s_waitcnt lgkmcnt(0)
	v_mul_f32_e32 v84, v84, v85
	buffer_store_dword v84, off, s[0:3], 0 offset:4
.LBB39_394:
	s_or_b64 exec, exec, s[4:5]
	buffer_load_dword v84, off, s[0:3], 0 offset:8
	v_cndmask_b32_e64 v85, 0, 1, s[8:9]
	v_cmp_gt_u32_e32 vcc, 2, v0
	v_cmp_ne_u32_e64 s[4:5], 1, v85
	s_waitcnt vmcnt(0)
	ds_write_b32 v82, v84
	s_waitcnt lgkmcnt(0)
	; wave barrier
	s_waitcnt lgkmcnt(0)
	s_and_saveexec_b64 s[8:9], vcc
	s_cbranch_execz .LBB39_402
; %bb.395:
	s_and_b64 vcc, exec, s[4:5]
	s_cbranch_vccnz .LBB39_397
; %bb.396:
	buffer_load_dword v84, v83, s[0:3], 0 offen
	ds_read_b32 v85, v82
	s_waitcnt vmcnt(0) lgkmcnt(0)
	v_mul_f32_e32 v84, v84, v85
	s_cbranch_execz .LBB39_398
	s_branch .LBB39_399
.LBB39_397:
                                        ; implicit-def: $vgpr84
.LBB39_398:
	ds_read_b32 v84, v82
.LBB39_399:
	s_and_saveexec_b64 s[10:11], s[6:7]
	s_cbranch_execz .LBB39_401
; %bb.400:
	buffer_load_dword v85, v83, s[0:3], 0 offen offset:4
	ds_read_b32 v86, v82 offset:4
	s_waitcnt vmcnt(0) lgkmcnt(0)
	v_fmac_f32_e32 v84, v85, v86
.LBB39_401:
	s_or_b64 exec, exec, s[10:11]
	v_mov_b32_e32 v85, 0
	ds_read_b32 v85, v85 offset:8
	s_waitcnt lgkmcnt(0)
	v_mul_f32_e32 v84, v84, v85
	buffer_store_dword v84, off, s[0:3], 0 offset:8
.LBB39_402:
	s_or_b64 exec, exec, s[8:9]
	buffer_load_dword v84, off, s[0:3], 0 offset:12
	v_cmp_gt_u32_e32 vcc, 3, v0
	s_waitcnt vmcnt(0)
	ds_write_b32 v82, v84
	s_waitcnt lgkmcnt(0)
	; wave barrier
	s_waitcnt lgkmcnt(0)
	s_and_saveexec_b64 s[8:9], vcc
	s_cbranch_execz .LBB39_410
; %bb.403:
	s_and_b64 vcc, exec, s[4:5]
	s_cbranch_vccnz .LBB39_405
; %bb.404:
	buffer_load_dword v84, v83, s[0:3], 0 offen
	ds_read_b32 v85, v82
	s_waitcnt vmcnt(0) lgkmcnt(0)
	v_mul_f32_e32 v84, v84, v85
	s_cbranch_execz .LBB39_406
	s_branch .LBB39_407
.LBB39_405:
                                        ; implicit-def: $vgpr84
.LBB39_406:
	ds_read_b32 v84, v82
.LBB39_407:
	v_cmp_ne_u32_e32 vcc, 2, v0
	s_and_saveexec_b64 s[10:11], vcc
	s_cbranch_execz .LBB39_409
; %bb.408:
	buffer_load_dword v85, v83, s[0:3], 0 offen offset:4
	buffer_load_dword v86, off, s[0:3], 0 offset:8
	v_mov_b32_e32 v87, 0
	ds_read_b32 v88, v82 offset:4
	ds_read_b32 v87, v87 offset:168
	s_waitcnt vmcnt(1) lgkmcnt(1)
	v_fmac_f32_e32 v84, v85, v88
	s_waitcnt vmcnt(0) lgkmcnt(0)
	v_fma_f32 v85, v86, v87, v84
	v_cndmask_b32_e64 v84, v84, v85, s[6:7]
.LBB39_409:
	s_or_b64 exec, exec, s[10:11]
	v_mov_b32_e32 v85, 0
	ds_read_b32 v85, v85 offset:12
	s_waitcnt lgkmcnt(0)
	v_mul_f32_e32 v84, v84, v85
	buffer_store_dword v84, off, s[0:3], 0 offset:12
.LBB39_410:
	s_or_b64 exec, exec, s[8:9]
	buffer_load_dword v84, off, s[0:3], 0 offset:16
	v_cmp_gt_u32_e32 vcc, 4, v0
	s_waitcnt vmcnt(0)
	ds_write_b32 v82, v84
	s_waitcnt lgkmcnt(0)
	; wave barrier
	s_waitcnt lgkmcnt(0)
	s_and_saveexec_b64 s[6:7], vcc
	s_cbranch_execz .LBB39_420
; %bb.411:
	s_and_b64 vcc, exec, s[4:5]
	s_cbranch_vccnz .LBB39_413
; %bb.412:
	buffer_load_dword v84, v83, s[0:3], 0 offen
	ds_read_b32 v85, v82
	s_waitcnt vmcnt(0) lgkmcnt(0)
	v_mul_f32_e32 v84, v84, v85
	s_cbranch_execz .LBB39_414
	s_branch .LBB39_415
.LBB39_413:
                                        ; implicit-def: $vgpr84
.LBB39_414:
	ds_read_b32 v84, v82
.LBB39_415:
	v_cmp_ne_u32_e32 vcc, 3, v0
	s_and_saveexec_b64 s[8:9], vcc
	s_cbranch_execz .LBB39_419
; %bb.416:
	v_mov_b32_e32 v86, 0
	v_add_u32_e32 v85, 0xa4, v1
	v_add3_u32 v86, v1, v86, 4
	s_mov_b64 s[10:11], 0
	v_mov_b32_e32 v87, v0
.LBB39_417:                             ; =>This Inner Loop Header: Depth=1
	buffer_load_dword v88, v86, s[0:3], 0 offen
	ds_read_b32 v89, v85
	v_add_u32_e32 v87, 1, v87
	v_cmp_lt_u32_e32 vcc, 2, v87
	v_add_u32_e32 v85, 4, v85
	v_add_u32_e32 v86, 4, v86
	s_or_b64 s[10:11], vcc, s[10:11]
	s_waitcnt vmcnt(0) lgkmcnt(0)
	v_fmac_f32_e32 v84, v88, v89
	s_andn2_b64 exec, exec, s[10:11]
	s_cbranch_execnz .LBB39_417
; %bb.418:
	s_or_b64 exec, exec, s[10:11]
.LBB39_419:
	s_or_b64 exec, exec, s[8:9]
	v_mov_b32_e32 v85, 0
	ds_read_b32 v85, v85 offset:16
	s_waitcnt lgkmcnt(0)
	v_mul_f32_e32 v84, v84, v85
	buffer_store_dword v84, off, s[0:3], 0 offset:16
.LBB39_420:
	s_or_b64 exec, exec, s[6:7]
	buffer_load_dword v84, off, s[0:3], 0 offset:20
	v_cmp_gt_u32_e32 vcc, 5, v0
	s_waitcnt vmcnt(0)
	ds_write_b32 v82, v84
	s_waitcnt lgkmcnt(0)
	; wave barrier
	s_waitcnt lgkmcnt(0)
	s_and_saveexec_b64 s[6:7], vcc
	s_cbranch_execz .LBB39_430
; %bb.421:
	s_and_b64 vcc, exec, s[4:5]
	s_cbranch_vccnz .LBB39_423
; %bb.422:
	buffer_load_dword v84, v83, s[0:3], 0 offen
	ds_read_b32 v85, v82
	s_waitcnt vmcnt(0) lgkmcnt(0)
	v_mul_f32_e32 v84, v84, v85
	s_cbranch_execz .LBB39_424
	s_branch .LBB39_425
.LBB39_423:
                                        ; implicit-def: $vgpr84
.LBB39_424:
	ds_read_b32 v84, v82
.LBB39_425:
	v_cmp_ne_u32_e32 vcc, 4, v0
	s_and_saveexec_b64 s[8:9], vcc
	s_cbranch_execz .LBB39_429
; %bb.426:
	v_mov_b32_e32 v86, 0
	v_add_u32_e32 v85, 0xa4, v1
	v_add3_u32 v86, v1, v86, 4
	s_mov_b64 s[10:11], 0
	v_mov_b32_e32 v87, v0
.LBB39_427:                             ; =>This Inner Loop Header: Depth=1
	buffer_load_dword v88, v86, s[0:3], 0 offen
	ds_read_b32 v89, v85
	v_add_u32_e32 v87, 1, v87
	v_cmp_lt_u32_e32 vcc, 3, v87
	v_add_u32_e32 v85, 4, v85
	v_add_u32_e32 v86, 4, v86
	s_or_b64 s[10:11], vcc, s[10:11]
	s_waitcnt vmcnt(0) lgkmcnt(0)
	v_fmac_f32_e32 v84, v88, v89
	s_andn2_b64 exec, exec, s[10:11]
	s_cbranch_execnz .LBB39_427
; %bb.428:
	s_or_b64 exec, exec, s[10:11]
.LBB39_429:
	s_or_b64 exec, exec, s[8:9]
	v_mov_b32_e32 v85, 0
	ds_read_b32 v85, v85 offset:20
	s_waitcnt lgkmcnt(0)
	v_mul_f32_e32 v84, v84, v85
	buffer_store_dword v84, off, s[0:3], 0 offset:20
.LBB39_430:
	;; [unrolled: 56-line block ×34, first 2 shown]
	s_or_b64 exec, exec, s[6:7]
	buffer_load_dword v84, off, s[0:3], 0 offset:152
	v_cmp_gt_u32_e64 s[6:7], 38, v0
	s_waitcnt vmcnt(0)
	ds_write_b32 v82, v84
	s_waitcnt lgkmcnt(0)
	; wave barrier
	s_waitcnt lgkmcnt(0)
	s_and_saveexec_b64 s[8:9], s[6:7]
	s_cbranch_execz .LBB39_760
; %bb.751:
	s_and_b64 vcc, exec, s[4:5]
	s_cbranch_vccnz .LBB39_753
; %bb.752:
	buffer_load_dword v84, v83, s[0:3], 0 offen
	ds_read_b32 v85, v82
	s_waitcnt vmcnt(0) lgkmcnt(0)
	v_mul_f32_e32 v84, v84, v85
	s_cbranch_execz .LBB39_754
	s_branch .LBB39_755
.LBB39_753:
                                        ; implicit-def: $vgpr84
.LBB39_754:
	ds_read_b32 v84, v82
.LBB39_755:
	v_cmp_ne_u32_e32 vcc, 37, v0
	s_and_saveexec_b64 s[10:11], vcc
	s_cbranch_execz .LBB39_759
; %bb.756:
	v_mov_b32_e32 v86, 0
	v_add_u32_e32 v85, 0xa4, v1
	v_add3_u32 v86, v1, v86, 4
	s_mov_b64 s[12:13], 0
	v_mov_b32_e32 v87, v0
.LBB39_757:                             ; =>This Inner Loop Header: Depth=1
	buffer_load_dword v88, v86, s[0:3], 0 offen
	ds_read_b32 v89, v85
	v_add_u32_e32 v87, 1, v87
	v_cmp_lt_u32_e32 vcc, 36, v87
	v_add_u32_e32 v85, 4, v85
	v_add_u32_e32 v86, 4, v86
	s_or_b64 s[12:13], vcc, s[12:13]
	s_waitcnt vmcnt(0) lgkmcnt(0)
	v_fmac_f32_e32 v84, v88, v89
	s_andn2_b64 exec, exec, s[12:13]
	s_cbranch_execnz .LBB39_757
; %bb.758:
	s_or_b64 exec, exec, s[12:13]
.LBB39_759:
	s_or_b64 exec, exec, s[10:11]
	v_mov_b32_e32 v85, 0
	ds_read_b32 v85, v85 offset:152
	s_waitcnt lgkmcnt(0)
	v_mul_f32_e32 v84, v84, v85
	buffer_store_dword v84, off, s[0:3], 0 offset:152
.LBB39_760:
	s_or_b64 exec, exec, s[8:9]
	buffer_load_dword v84, off, s[0:3], 0 offset:156
	v_cmp_ne_u32_e32 vcc, 39, v0
	s_waitcnt vmcnt(0)
	ds_write_b32 v82, v84
	s_waitcnt lgkmcnt(0)
	; wave barrier
	s_waitcnt lgkmcnt(0)
	s_and_saveexec_b64 s[8:9], vcc
	s_cbranch_execz .LBB39_770
; %bb.761:
	s_and_b64 vcc, exec, s[4:5]
	s_cbranch_vccnz .LBB39_763
; %bb.762:
	buffer_load_dword v83, v83, s[0:3], 0 offen
	ds_read_b32 v84, v82
	s_waitcnt vmcnt(0) lgkmcnt(0)
	v_mul_f32_e32 v83, v83, v84
	s_cbranch_execz .LBB39_764
	s_branch .LBB39_765
.LBB39_763:
                                        ; implicit-def: $vgpr83
.LBB39_764:
	ds_read_b32 v83, v82
.LBB39_765:
	s_and_saveexec_b64 s[4:5], s[6:7]
	s_cbranch_execz .LBB39_769
; %bb.766:
	v_mov_b32_e32 v84, 0
	v_add_u32_e32 v82, 0xa4, v1
	v_add3_u32 v1, v1, v84, 4
	s_mov_b64 s[6:7], 0
.LBB39_767:                             ; =>This Inner Loop Header: Depth=1
	buffer_load_dword v84, v1, s[0:3], 0 offen
	ds_read_b32 v85, v82
	v_add_u32_e32 v0, 1, v0
	v_cmp_lt_u32_e32 vcc, 37, v0
	v_add_u32_e32 v82, 4, v82
	v_add_u32_e32 v1, 4, v1
	s_or_b64 s[6:7], vcc, s[6:7]
	s_waitcnt vmcnt(0) lgkmcnt(0)
	v_fmac_f32_e32 v83, v84, v85
	s_andn2_b64 exec, exec, s[6:7]
	s_cbranch_execnz .LBB39_767
; %bb.768:
	s_or_b64 exec, exec, s[6:7]
.LBB39_769:
	s_or_b64 exec, exec, s[4:5]
	v_mov_b32_e32 v0, 0
	ds_read_b32 v0, v0 offset:156
	s_waitcnt lgkmcnt(0)
	v_mul_f32_e32 v0, v83, v0
	buffer_store_dword v0, off, s[0:3], 0 offset:156
.LBB39_770:
	s_or_b64 exec, exec, s[8:9]
.LBB39_771:
	buffer_load_dword v0, off, s[0:3], 0
	buffer_load_dword v1, off, s[0:3], 0 offset:4
	buffer_load_dword v82, off, s[0:3], 0 offset:8
	buffer_load_dword v83, off, s[0:3], 0 offset:12
	buffer_load_dword v84, off, s[0:3], 0 offset:16
	buffer_load_dword v85, off, s[0:3], 0 offset:20
	buffer_load_dword v86, off, s[0:3], 0 offset:24
	buffer_load_dword v87, off, s[0:3], 0 offset:28
	buffer_load_dword v88, off, s[0:3], 0 offset:32
	buffer_load_dword v89, off, s[0:3], 0 offset:36
	buffer_load_dword v90, off, s[0:3], 0 offset:40
	buffer_load_dword v91, off, s[0:3], 0 offset:44
	buffer_load_dword v92, off, s[0:3], 0 offset:48
	buffer_load_dword v93, off, s[0:3], 0 offset:52
	buffer_load_dword v94, off, s[0:3], 0 offset:56
	buffer_load_dword v95, off, s[0:3], 0 offset:60
	buffer_load_dword v96, off, s[0:3], 0 offset:64
	buffer_load_dword v97, off, s[0:3], 0 offset:68
	buffer_load_dword v98, off, s[0:3], 0 offset:72
	buffer_load_dword v99, off, s[0:3], 0 offset:76
	buffer_load_dword v100, off, s[0:3], 0 offset:80
	buffer_load_dword v101, off, s[0:3], 0 offset:84
	buffer_load_dword v102, off, s[0:3], 0 offset:88
	buffer_load_dword v103, off, s[0:3], 0 offset:92
	buffer_load_dword v104, off, s[0:3], 0 offset:96
	buffer_load_dword v105, off, s[0:3], 0 offset:100
	buffer_load_dword v106, off, s[0:3], 0 offset:104
	buffer_load_dword v107, off, s[0:3], 0 offset:108
	buffer_load_dword v108, off, s[0:3], 0 offset:112
	buffer_load_dword v109, off, s[0:3], 0 offset:116
	buffer_load_dword v110, off, s[0:3], 0 offset:120
	buffer_load_dword v111, off, s[0:3], 0 offset:124
	buffer_load_dword v112, off, s[0:3], 0 offset:128
	buffer_load_dword v113, off, s[0:3], 0 offset:132
	buffer_load_dword v114, off, s[0:3], 0 offset:136
	buffer_load_dword v115, off, s[0:3], 0 offset:140
	buffer_load_dword v116, off, s[0:3], 0 offset:144
	buffer_load_dword v117, off, s[0:3], 0 offset:148
	buffer_load_dword v118, off, s[0:3], 0 offset:152
	buffer_load_dword v119, off, s[0:3], 0 offset:156
	s_waitcnt vmcnt(39)
	global_store_dword v[76:77], v0, off
	s_waitcnt vmcnt(39)
	global_store_dword v[78:79], v1, off
	;; [unrolled: 2-line block ×40, first 2 shown]
.LBB39_772:
	s_endpgm
	.section	.rodata,"a",@progbits
	.p2align	6, 0x0
	.amdhsa_kernel _ZN9rocsolver6v33100L18trti2_kernel_smallILi40EfPfEEv13rocblas_fill_17rocblas_diagonal_T1_iil
		.amdhsa_group_segment_fixed_size 320
		.amdhsa_private_segment_fixed_size 176
		.amdhsa_kernarg_size 32
		.amdhsa_user_sgpr_count 8
		.amdhsa_user_sgpr_private_segment_buffer 1
		.amdhsa_user_sgpr_dispatch_ptr 0
		.amdhsa_user_sgpr_queue_ptr 0
		.amdhsa_user_sgpr_kernarg_segment_ptr 1
		.amdhsa_user_sgpr_dispatch_id 0
		.amdhsa_user_sgpr_flat_scratch_init 1
		.amdhsa_user_sgpr_kernarg_preload_length 0
		.amdhsa_user_sgpr_kernarg_preload_offset 0
		.amdhsa_user_sgpr_private_segment_size 0
		.amdhsa_uses_dynamic_stack 0
		.amdhsa_system_sgpr_private_segment_wavefront_offset 1
		.amdhsa_system_sgpr_workgroup_id_x 1
		.amdhsa_system_sgpr_workgroup_id_y 0
		.amdhsa_system_sgpr_workgroup_id_z 0
		.amdhsa_system_sgpr_workgroup_info 0
		.amdhsa_system_vgpr_workitem_id 0
		.amdhsa_next_free_vgpr 122
		.amdhsa_next_free_sgpr 20
		.amdhsa_accum_offset 124
		.amdhsa_reserve_vcc 1
		.amdhsa_reserve_flat_scratch 0
		.amdhsa_float_round_mode_32 0
		.amdhsa_float_round_mode_16_64 0
		.amdhsa_float_denorm_mode_32 3
		.amdhsa_float_denorm_mode_16_64 3
		.amdhsa_dx10_clamp 1
		.amdhsa_ieee_mode 1
		.amdhsa_fp16_overflow 0
		.amdhsa_tg_split 0
		.amdhsa_exception_fp_ieee_invalid_op 0
		.amdhsa_exception_fp_denorm_src 0
		.amdhsa_exception_fp_ieee_div_zero 0
		.amdhsa_exception_fp_ieee_overflow 0
		.amdhsa_exception_fp_ieee_underflow 0
		.amdhsa_exception_fp_ieee_inexact 0
		.amdhsa_exception_int_div_zero 0
	.end_amdhsa_kernel
	.section	.text._ZN9rocsolver6v33100L18trti2_kernel_smallILi40EfPfEEv13rocblas_fill_17rocblas_diagonal_T1_iil,"axG",@progbits,_ZN9rocsolver6v33100L18trti2_kernel_smallILi40EfPfEEv13rocblas_fill_17rocblas_diagonal_T1_iil,comdat
.Lfunc_end39:
	.size	_ZN9rocsolver6v33100L18trti2_kernel_smallILi40EfPfEEv13rocblas_fill_17rocblas_diagonal_T1_iil, .Lfunc_end39-_ZN9rocsolver6v33100L18trti2_kernel_smallILi40EfPfEEv13rocblas_fill_17rocblas_diagonal_T1_iil
                                        ; -- End function
	.section	.AMDGPU.csdata,"",@progbits
; Kernel info:
; codeLenInByte = 19436
; NumSgprs: 24
; NumVgprs: 122
; NumAgprs: 0
; TotalNumVgprs: 122
; ScratchSize: 176
; MemoryBound: 0
; FloatMode: 240
; IeeeMode: 1
; LDSByteSize: 320 bytes/workgroup (compile time only)
; SGPRBlocks: 2
; VGPRBlocks: 15
; NumSGPRsForWavesPerEU: 24
; NumVGPRsForWavesPerEU: 122
; AccumOffset: 124
; Occupancy: 4
; WaveLimiterHint : 0
; COMPUTE_PGM_RSRC2:SCRATCH_EN: 1
; COMPUTE_PGM_RSRC2:USER_SGPR: 8
; COMPUTE_PGM_RSRC2:TRAP_HANDLER: 0
; COMPUTE_PGM_RSRC2:TGID_X_EN: 1
; COMPUTE_PGM_RSRC2:TGID_Y_EN: 0
; COMPUTE_PGM_RSRC2:TGID_Z_EN: 0
; COMPUTE_PGM_RSRC2:TIDIG_COMP_CNT: 0
; COMPUTE_PGM_RSRC3_GFX90A:ACCUM_OFFSET: 30
; COMPUTE_PGM_RSRC3_GFX90A:TG_SPLIT: 0
	.section	.text._ZN9rocsolver6v33100L18trti2_kernel_smallILi41EfPfEEv13rocblas_fill_17rocblas_diagonal_T1_iil,"axG",@progbits,_ZN9rocsolver6v33100L18trti2_kernel_smallILi41EfPfEEv13rocblas_fill_17rocblas_diagonal_T1_iil,comdat
	.globl	_ZN9rocsolver6v33100L18trti2_kernel_smallILi41EfPfEEv13rocblas_fill_17rocblas_diagonal_T1_iil ; -- Begin function _ZN9rocsolver6v33100L18trti2_kernel_smallILi41EfPfEEv13rocblas_fill_17rocblas_diagonal_T1_iil
	.p2align	8
	.type	_ZN9rocsolver6v33100L18trti2_kernel_smallILi41EfPfEEv13rocblas_fill_17rocblas_diagonal_T1_iil,@function
_ZN9rocsolver6v33100L18trti2_kernel_smallILi41EfPfEEv13rocblas_fill_17rocblas_diagonal_T1_iil: ; @_ZN9rocsolver6v33100L18trti2_kernel_smallILi41EfPfEEv13rocblas_fill_17rocblas_diagonal_T1_iil
; %bb.0:
	s_add_u32 s0, s0, s9
	s_addc_u32 s1, s1, 0
	v_cmp_gt_u32_e32 vcc, 41, v0
	s_and_saveexec_b64 s[6:7], vcc
	s_cbranch_execz .LBB40_792
; %bb.1:
	s_load_dwordx8 s[12:19], s[4:5], 0x0
	s_ashr_i32 s6, s8, 31
	s_waitcnt lgkmcnt(0)
	s_mul_i32 s7, s8, s19
	s_mul_hi_u32 s9, s8, s18
	s_add_i32 s7, s9, s7
	s_mul_i32 s6, s6, s18
	s_add_i32 s7, s7, s6
	s_mul_i32 s6, s8, s18
	s_ashr_i32 s5, s16, 31
	s_lshl_b64 s[6:7], s[6:7], 2
	s_mov_b32 s4, s16
	s_add_u32 s6, s14, s6
	s_addc_u32 s7, s15, s7
	s_lshl_b64 s[4:5], s[4:5], 2
	s_add_u32 s4, s6, s4
	s_addc_u32 s5, s7, s5
	s_add_i32 s6, s17, s17
	v_add_u32_e32 v4, s6, v0
	v_ashrrev_i32_e32 v5, 31, v4
	v_lshlrev_b64 v[2:3], 2, v[4:5]
	v_add_u32_e32 v6, s17, v4
	v_mov_b32_e32 v1, s5
	v_add_co_u32_e32 v2, vcc, s4, v2
	v_ashrrev_i32_e32 v7, 31, v6
	v_addc_co_u32_e32 v3, vcc, v1, v3, vcc
	v_lshlrev_b64 v[4:5], 2, v[6:7]
	v_add_u32_e32 v8, s17, v6
	v_add_co_u32_e32 v4, vcc, s4, v4
	v_ashrrev_i32_e32 v9, 31, v8
	v_addc_co_u32_e32 v5, vcc, v1, v5, vcc
	v_lshlrev_b64 v[6:7], 2, v[8:9]
	v_add_u32_e32 v10, s17, v8
	;; [unrolled: 5-line block ×33, first 2 shown]
	v_add_co_u32_e32 v68, vcc, s4, v68
	v_ashrrev_i32_e32 v73, 31, v72
	v_addc_co_u32_e32 v69, vcc, v1, v69, vcc
	v_lshlrev_b64 v[70:71], 2, v[72:73]
	v_add_co_u32_e32 v70, vcc, s4, v70
	v_addc_co_u32_e32 v71, vcc, v1, v71, vcc
	v_lshlrev_b32_e32 v1, 2, v0
	global_load_dword v84, v1, s[4:5]
	v_add_u32_e32 v74, s17, v72
	v_ashrrev_i32_e32 v75, 31, v74
	v_lshlrev_b64 v[72:73], 2, v[74:75]
	v_mov_b32_e32 v76, s5
	v_add_co_u32_e32 v72, vcc, s4, v72
	v_addc_co_u32_e32 v73, vcc, v76, v73, vcc
	v_add_u32_e32 v76, s17, v74
	v_ashrrev_i32_e32 v77, 31, v76
	v_lshlrev_b64 v[74:75], 2, v[76:77]
	v_mov_b32_e32 v78, s5
	v_add_co_u32_e32 v74, vcc, s4, v74
	v_addc_co_u32_e32 v75, vcc, v78, v75, vcc
	v_add_u32_e32 v78, s17, v76
	v_ashrrev_i32_e32 v79, 31, v78
	v_lshlrev_b64 v[76:77], 2, v[78:79]
	v_mov_b32_e32 v80, s5
	v_add_co_u32_e32 v76, vcc, s4, v76
	v_add_u32_e32 v78, s17, v78
	v_addc_co_u32_e32 v77, vcc, v80, v77, vcc
	v_ashrrev_i32_e32 v79, 31, v78
	v_lshlrev_b64 v[82:83], 2, v[78:79]
	v_mov_b32_e32 v79, s5
	v_add_co_u32_e32 v78, vcc, s4, v1
	s_ashr_i32 s7, s17, 31
	s_mov_b32 s6, s17
	v_addc_co_u32_e32 v79, vcc, 0, v79, vcc
	s_lshl_b64 s[6:7], s[6:7], 2
	v_mov_b32_e32 v81, s7
	v_add_co_u32_e32 v80, vcc, s6, v78
	v_addc_co_u32_e32 v81, vcc, v79, v81, vcc
	v_mov_b32_e32 v85, s5
	v_add_co_u32_e32 v82, vcc, s4, v82
	global_load_dword v86, v[80:81], off
	global_load_dword v87, v[6:7], off
	;; [unrolled: 1-line block ×32, first 2 shown]
	v_addc_co_u32_e32 v83, vcc, v85, v83, vcc
	global_load_dword v85, v[64:65], off
	global_load_dword v118, v[82:83], off
	global_load_dword v119, v[74:75], off
	global_load_dword v120, v[70:71], off
	global_load_dword v121, v[68:69], off
	global_load_dword v122, v[66:67], off
	global_load_dword v123, v[72:73], off
	s_cmpk_lg_i32 s13, 0x84
	s_cselect_b64 s[10:11], -1, 0
	s_cmpk_eq_i32 s13, 0x84
	s_waitcnt vmcnt(39)
	buffer_store_dword v84, off, s[0:3], 0
	global_load_dword v84, v[76:77], off
	s_waitcnt vmcnt(40)
	buffer_store_dword v86, off, s[0:3], 0 offset:4
	s_waitcnt vmcnt(35)
	buffer_store_dword v92, off, s[0:3], 0 offset:12
	;; [unrolled: 2-line block ×3, first 2 shown]
	buffer_store_dword v87, off, s[0:3], 0 offset:16
	buffer_store_dword v88, off, s[0:3], 0 offset:20
	buffer_store_dword v89, off, s[0:3], 0 offset:24
	buffer_store_dword v90, off, s[0:3], 0 offset:28
	buffer_store_dword v91, off, s[0:3], 0 offset:32
	s_waitcnt vmcnt(40)
	buffer_store_dword v94, off, s[0:3], 0 offset:36
	s_waitcnt vmcnt(35)
	buffer_store_dword v100, off, s[0:3], 0 offset:44
	;; [unrolled: 2-line block ×3, first 2 shown]
	buffer_store_dword v95, off, s[0:3], 0 offset:48
	buffer_store_dword v96, off, s[0:3], 0 offset:52
	;; [unrolled: 1-line block ×5, first 2 shown]
	s_waitcnt vmcnt(40)
	buffer_store_dword v102, off, s[0:3], 0 offset:68
	s_waitcnt vmcnt(40)
	buffer_store_dword v103, off, s[0:3], 0 offset:72
	s_waitcnt vmcnt(40)
	buffer_store_dword v104, off, s[0:3], 0 offset:76
	s_waitcnt vmcnt(37)
	buffer_store_dword v108, off, s[0:3], 0 offset:84
	s_waitcnt vmcnt(37)
	buffer_store_dword v109, off, s[0:3], 0 offset:80
	buffer_store_dword v106, off, s[0:3], 0 offset:92
	buffer_store_dword v107, off, s[0:3], 0 offset:88
	s_waitcnt vmcnt(39)
	buffer_store_dword v110, off, s[0:3], 0 offset:100
	buffer_store_dword v105, off, s[0:3], 0 offset:96
	s_waitcnt vmcnt(35)
	buffer_store_dword v116, off, s[0:3], 0 offset:108
	s_waitcnt vmcnt(35)
	buffer_store_dword v117, off, s[0:3], 0 offset:104
	buffer_store_dword v114, off, s[0:3], 0 offset:116
	;; [unrolled: 1-line block ×5, first 2 shown]
	s_waitcnt vmcnt(39)
	buffer_store_dword v85, off, s[0:3], 0 offset:132
	buffer_store_dword v111, off, s[0:3], 0 offset:128
	s_waitcnt vmcnt(37)
	buffer_store_dword v121, off, s[0:3], 0 offset:140
	s_waitcnt vmcnt(37)
	;; [unrolled: 2-line block ×3, first 2 shown]
	buffer_store_dword v123, off, s[0:3], 0 offset:148
	buffer_store_dword v120, off, s[0:3], 0 offset:144
	s_waitcnt vmcnt(37)
	buffer_store_dword v84, off, s[0:3], 0 offset:156
	buffer_store_dword v119, off, s[0:3], 0 offset:152
	;; [unrolled: 1-line block ×3, first 2 shown]
	v_mov_b32_e32 v104, 0
	v_mov_b32_e32 v84, -1.0
	s_cbranch_scc1 .LBB40_3
; %bb.2:
	v_lshl_add_u32 v84, v0, 2, v104
	buffer_load_dword v85, v84, s[0:3], 0 offen
	s_waitcnt vmcnt(0)
	v_div_scale_f32 v86, s[4:5], v85, v85, 1.0
	v_rcp_f32_e32 v87, v86
	v_div_scale_f32 v88, vcc, 1.0, v85, 1.0
	v_fma_f32 v89, -v86, v87, 1.0
	v_fmac_f32_e32 v87, v89, v87
	v_mul_f32_e32 v89, v88, v87
	v_fma_f32 v90, -v86, v89, v88
	v_fmac_f32_e32 v89, v90, v87
	v_fma_f32 v86, -v86, v89, v88
	v_div_fmas_f32 v86, v86, v87, v89
	v_div_fixup_f32 v85, v86, v85, 1.0
	buffer_store_dword v85, v84, s[0:3], 0 offen
	v_xor_b32_e32 v84, 0x80000000, v85
.LBB40_3:
	ds_write_b32 v1, v84
	s_cmpk_eq_i32 s12, 0x79
	v_add_u32_e32 v84, 0xb0, v1
	v_add_u32_e32 v85, 0, v1
	s_mov_b64 s[4:5], -1
	s_cbranch_scc1 .LBB40_397
; %bb.4:
	buffer_load_dword v86, off, s[0:3], 0 offset:156
	v_cmp_eq_u32_e64 s[4:5], 40, v0
	s_waitcnt vmcnt(0)
	ds_write_b32 v84, v86
	s_waitcnt lgkmcnt(0)
	; wave barrier
	s_waitcnt lgkmcnt(0)
	s_and_saveexec_b64 s[6:7], s[4:5]
	s_cbranch_execz .LBB40_10
; %bb.5:
	s_and_b64 vcc, exec, s[10:11]
	s_cbranch_vccz .LBB40_7
; %bb.6:
	buffer_load_dword v86, v85, s[0:3], 0 offen
	ds_read_b32 v87, v84
	s_waitcnt vmcnt(0) lgkmcnt(0)
	v_mul_f32_e32 v86, v86, v87
	s_cbranch_execz .LBB40_8
	s_branch .LBB40_9
.LBB40_7:
                                        ; implicit-def: $vgpr86
.LBB40_8:
	ds_read_b32 v86, v84
.LBB40_9:
	v_mov_b32_e32 v87, 0
	ds_read_b32 v87, v87 offset:156
	s_waitcnt lgkmcnt(0)
	v_mul_f32_e32 v86, v86, v87
	buffer_store_dword v86, off, s[0:3], 0 offset:156
.LBB40_10:
	s_or_b64 exec, exec, s[6:7]
	buffer_load_dword v105, off, s[0:3], 0 offset:152
	v_or_b32_e32 v86, 8, v104
	v_add_u32_e32 v87, 16, v104
	v_add_u32_e32 v88, 24, v104
	v_add_u32_e32 v89, 32, v104
	v_add_u32_e32 v90, 40, v104
	v_add_u32_e32 v91, 48, v104
	v_add_u32_e32 v92, 56, v104
	v_add_u32_e32 v93, 64, v104
	v_add_u32_e32 v94, 0x48, v104
	v_add_u32_e32 v95, 0x50, v104
	v_add_u32_e32 v96, 0x58, v104
	v_add_u32_e32 v97, 0x60, v104
	v_add_u32_e32 v98, 0x68, v104
	v_add_u32_e32 v99, 0x70, v104
	v_add_u32_e32 v100, 0x78, v104
	v_add_u32_e32 v101, 0x80, v104
	v_add_u32_e32 v102, 0x88, v104
	v_add_u32_e32 v103, 0x90, v104
	v_add_u32_e32 v104, 0x98, v104
	v_cmp_lt_u32_e64 s[8:9], 38, v0
	s_waitcnt vmcnt(0)
	ds_write_b32 v84, v105
	s_waitcnt lgkmcnt(0)
	; wave barrier
	s_waitcnt lgkmcnt(0)
	s_and_saveexec_b64 s[6:7], s[8:9]
	s_cbranch_execz .LBB40_16
; %bb.11:
	s_andn2_b64 vcc, exec, s[10:11]
	s_cbranch_vccnz .LBB40_13
; %bb.12:
	buffer_load_dword v105, v85, s[0:3], 0 offen
	ds_read_b32 v106, v84
	s_waitcnt vmcnt(0) lgkmcnt(0)
	v_mul_f32_e32 v105, v105, v106
	s_cbranch_execz .LBB40_14
	s_branch .LBB40_15
.LBB40_13:
                                        ; implicit-def: $vgpr105
.LBB40_14:
	ds_read_b32 v105, v84
.LBB40_15:
	buffer_load_dword v108, off, s[0:3], 0 offset:156
	v_mov_b32_e32 v106, 0
	ds_read2_b32 v[106:107], v106 offset0:38 offset1:83
	s_waitcnt vmcnt(0) lgkmcnt(0)
	v_fma_f32 v107, v108, v107, v105
	v_cndmask_b32_e64 v105, v105, v107, s[4:5]
	v_mul_f32_e32 v105, v105, v106
	buffer_store_dword v105, off, s[0:3], 0 offset:152
.LBB40_16:
	s_or_b64 exec, exec, s[6:7]
	buffer_load_dword v105, off, s[0:3], 0 offset:148
	v_cmp_lt_u32_e64 s[6:7], 37, v0
	s_waitcnt vmcnt(0)
	ds_write_b32 v84, v105
	s_waitcnt lgkmcnt(0)
	; wave barrier
	s_waitcnt lgkmcnt(0)
	s_and_saveexec_b64 s[4:5], s[6:7]
	s_cbranch_execz .LBB40_26
; %bb.17:
	s_andn2_b64 vcc, exec, s[10:11]
	s_cbranch_vccnz .LBB40_19
; %bb.18:
	buffer_load_dword v105, v85, s[0:3], 0 offen
	ds_read_b32 v106, v84
	s_waitcnt vmcnt(0) lgkmcnt(0)
	v_mul_f32_e32 v105, v105, v106
	s_cbranch_execz .LBB40_20
	s_branch .LBB40_21
.LBB40_19:
                                        ; implicit-def: $vgpr105
.LBB40_20:
	ds_read_b32 v105, v84
.LBB40_21:
	s_and_saveexec_b64 s[12:13], s[8:9]
	s_cbranch_execz .LBB40_25
; %bb.22:
	v_subrev_u32_e32 v106, 38, v0
	s_movk_i32 s14, 0x148
	s_mov_b64 s[8:9], 0
.LBB40_23:                              ; =>This Inner Loop Header: Depth=1
	buffer_load_dword v107, v104, s[0:3], 0 offen
	v_mov_b32_e32 v108, s14
	ds_read_b32 v108, v108
	v_add_u32_e32 v106, -1, v106
	s_add_i32 s14, s14, 4
	v_cmp_eq_u32_e32 vcc, 0, v106
	v_add_u32_e32 v104, 4, v104
	s_or_b64 s[8:9], vcc, s[8:9]
	s_waitcnt vmcnt(0) lgkmcnt(0)
	v_fmac_f32_e32 v105, v107, v108
	s_andn2_b64 exec, exec, s[8:9]
	s_cbranch_execnz .LBB40_23
; %bb.24:
	s_or_b64 exec, exec, s[8:9]
.LBB40_25:
	s_or_b64 exec, exec, s[12:13]
	v_mov_b32_e32 v104, 0
	ds_read_b32 v104, v104 offset:148
	s_waitcnt lgkmcnt(0)
	v_mul_f32_e32 v104, v105, v104
	buffer_store_dword v104, off, s[0:3], 0 offset:148
.LBB40_26:
	s_or_b64 exec, exec, s[4:5]
	buffer_load_dword v104, off, s[0:3], 0 offset:144
	v_cmp_lt_u32_e64 s[4:5], 36, v0
	s_waitcnt vmcnt(0)
	ds_write_b32 v84, v104
	s_waitcnt lgkmcnt(0)
	; wave barrier
	s_waitcnt lgkmcnt(0)
	s_and_saveexec_b64 s[8:9], s[4:5]
	s_cbranch_execz .LBB40_36
; %bb.27:
	s_andn2_b64 vcc, exec, s[10:11]
	s_cbranch_vccnz .LBB40_29
; %bb.28:
	buffer_load_dword v104, v85, s[0:3], 0 offen
	ds_read_b32 v105, v84
	s_waitcnt vmcnt(0) lgkmcnt(0)
	v_mul_f32_e32 v104, v104, v105
	s_cbranch_execz .LBB40_30
	s_branch .LBB40_31
.LBB40_29:
                                        ; implicit-def: $vgpr104
.LBB40_30:
	ds_read_b32 v104, v84
.LBB40_31:
	s_and_saveexec_b64 s[12:13], s[6:7]
	s_cbranch_execz .LBB40_35
; %bb.32:
	v_mov_b32_e32 v105, 0
	v_add_u32_e32 v105, 0x94, v105
	v_subrev_u32_e32 v106, 37, v0
	s_movk_i32 s14, 0x144
	s_mov_b64 s[6:7], 0
.LBB40_33:                              ; =>This Inner Loop Header: Depth=1
	buffer_load_dword v107, v105, s[0:3], 0 offen
	v_mov_b32_e32 v108, s14
	ds_read_b32 v108, v108
	v_add_u32_e32 v106, -1, v106
	s_add_i32 s14, s14, 4
	v_cmp_eq_u32_e32 vcc, 0, v106
	v_add_u32_e32 v105, 4, v105
	s_or_b64 s[6:7], vcc, s[6:7]
	s_waitcnt vmcnt(0) lgkmcnt(0)
	v_fmac_f32_e32 v104, v107, v108
	s_andn2_b64 exec, exec, s[6:7]
	s_cbranch_execnz .LBB40_33
; %bb.34:
	s_or_b64 exec, exec, s[6:7]
.LBB40_35:
	s_or_b64 exec, exec, s[12:13]
	v_mov_b32_e32 v105, 0
	ds_read_b32 v105, v105 offset:144
	s_waitcnt lgkmcnt(0)
	v_mul_f32_e32 v104, v104, v105
	buffer_store_dword v104, off, s[0:3], 0 offset:144
.LBB40_36:
	s_or_b64 exec, exec, s[8:9]
	buffer_load_dword v104, off, s[0:3], 0 offset:140
	v_cmp_lt_u32_e64 s[6:7], 35, v0
	s_waitcnt vmcnt(0)
	ds_write_b32 v84, v104
	s_waitcnt lgkmcnt(0)
	; wave barrier
	s_waitcnt lgkmcnt(0)
	s_and_saveexec_b64 s[8:9], s[6:7]
	s_cbranch_execz .LBB40_46
; %bb.37:
	s_andn2_b64 vcc, exec, s[10:11]
	s_cbranch_vccnz .LBB40_39
; %bb.38:
	buffer_load_dword v104, v85, s[0:3], 0 offen
	ds_read_b32 v105, v84
	s_waitcnt vmcnt(0) lgkmcnt(0)
	v_mul_f32_e32 v104, v104, v105
	s_cbranch_execz .LBB40_40
	s_branch .LBB40_41
.LBB40_39:
                                        ; implicit-def: $vgpr104
.LBB40_40:
	ds_read_b32 v104, v84
.LBB40_41:
	s_and_saveexec_b64 s[12:13], s[4:5]
	s_cbranch_execz .LBB40_45
; %bb.42:
	v_subrev_u32_e32 v105, 36, v0
	s_movk_i32 s14, 0x140
	s_mov_b64 s[4:5], 0
.LBB40_43:                              ; =>This Inner Loop Header: Depth=1
	buffer_load_dword v106, v103, s[0:3], 0 offen
	v_mov_b32_e32 v107, s14
	ds_read_b32 v107, v107
	v_add_u32_e32 v105, -1, v105
	s_add_i32 s14, s14, 4
	v_cmp_eq_u32_e32 vcc, 0, v105
	v_add_u32_e32 v103, 4, v103
	s_or_b64 s[4:5], vcc, s[4:5]
	s_waitcnt vmcnt(0) lgkmcnt(0)
	v_fmac_f32_e32 v104, v106, v107
	s_andn2_b64 exec, exec, s[4:5]
	s_cbranch_execnz .LBB40_43
; %bb.44:
	s_or_b64 exec, exec, s[4:5]
.LBB40_45:
	s_or_b64 exec, exec, s[12:13]
	v_mov_b32_e32 v103, 0
	ds_read_b32 v103, v103 offset:140
	s_waitcnt lgkmcnt(0)
	v_mul_f32_e32 v103, v104, v103
	buffer_store_dword v103, off, s[0:3], 0 offset:140
.LBB40_46:
	s_or_b64 exec, exec, s[8:9]
	buffer_load_dword v103, off, s[0:3], 0 offset:136
	v_cmp_lt_u32_e64 s[4:5], 34, v0
	s_waitcnt vmcnt(0)
	ds_write_b32 v84, v103
	s_waitcnt lgkmcnt(0)
	; wave barrier
	s_waitcnt lgkmcnt(0)
	s_and_saveexec_b64 s[8:9], s[4:5]
	s_cbranch_execz .LBB40_56
; %bb.47:
	s_andn2_b64 vcc, exec, s[10:11]
	s_cbranch_vccnz .LBB40_49
; %bb.48:
	buffer_load_dword v103, v85, s[0:3], 0 offen
	ds_read_b32 v104, v84
	s_waitcnt vmcnt(0) lgkmcnt(0)
	v_mul_f32_e32 v103, v103, v104
	s_cbranch_execz .LBB40_50
	s_branch .LBB40_51
.LBB40_49:
                                        ; implicit-def: $vgpr103
.LBB40_50:
	ds_read_b32 v103, v84
.LBB40_51:
	s_and_saveexec_b64 s[12:13], s[6:7]
	s_cbranch_execz .LBB40_55
; %bb.52:
	v_mov_b32_e32 v104, 0
	v_add_u32_e32 v104, 0x8c, v104
	v_subrev_u32_e32 v105, 35, v0
	s_movk_i32 s14, 0x13c
	s_mov_b64 s[6:7], 0
.LBB40_53:                              ; =>This Inner Loop Header: Depth=1
	buffer_load_dword v106, v104, s[0:3], 0 offen
	v_mov_b32_e32 v107, s14
	ds_read_b32 v107, v107
	v_add_u32_e32 v105, -1, v105
	s_add_i32 s14, s14, 4
	v_cmp_eq_u32_e32 vcc, 0, v105
	v_add_u32_e32 v104, 4, v104
	s_or_b64 s[6:7], vcc, s[6:7]
	s_waitcnt vmcnt(0) lgkmcnt(0)
	v_fmac_f32_e32 v103, v106, v107
	s_andn2_b64 exec, exec, s[6:7]
	s_cbranch_execnz .LBB40_53
; %bb.54:
	s_or_b64 exec, exec, s[6:7]
.LBB40_55:
	s_or_b64 exec, exec, s[12:13]
	v_mov_b32_e32 v104, 0
	ds_read_b32 v104, v104 offset:136
	s_waitcnt lgkmcnt(0)
	v_mul_f32_e32 v103, v103, v104
	buffer_store_dword v103, off, s[0:3], 0 offset:136
.LBB40_56:
	s_or_b64 exec, exec, s[8:9]
	buffer_load_dword v103, off, s[0:3], 0 offset:132
	v_cmp_lt_u32_e64 s[6:7], 33, v0
	s_waitcnt vmcnt(0)
	ds_write_b32 v84, v103
	s_waitcnt lgkmcnt(0)
	; wave barrier
	s_waitcnt lgkmcnt(0)
	s_and_saveexec_b64 s[8:9], s[6:7]
	s_cbranch_execz .LBB40_66
; %bb.57:
	s_andn2_b64 vcc, exec, s[10:11]
	s_cbranch_vccnz .LBB40_59
; %bb.58:
	buffer_load_dword v103, v85, s[0:3], 0 offen
	ds_read_b32 v104, v84
	s_waitcnt vmcnt(0) lgkmcnt(0)
	v_mul_f32_e32 v103, v103, v104
	s_cbranch_execz .LBB40_60
	s_branch .LBB40_61
.LBB40_59:
                                        ; implicit-def: $vgpr103
.LBB40_60:
	ds_read_b32 v103, v84
.LBB40_61:
	s_and_saveexec_b64 s[12:13], s[4:5]
	s_cbranch_execz .LBB40_65
; %bb.62:
	v_subrev_u32_e32 v104, 34, v0
	s_movk_i32 s14, 0x138
	s_mov_b64 s[4:5], 0
.LBB40_63:                              ; =>This Inner Loop Header: Depth=1
	buffer_load_dword v105, v102, s[0:3], 0 offen
	v_mov_b32_e32 v106, s14
	ds_read_b32 v106, v106
	v_add_u32_e32 v104, -1, v104
	s_add_i32 s14, s14, 4
	v_cmp_eq_u32_e32 vcc, 0, v104
	v_add_u32_e32 v102, 4, v102
	s_or_b64 s[4:5], vcc, s[4:5]
	s_waitcnt vmcnt(0) lgkmcnt(0)
	v_fmac_f32_e32 v103, v105, v106
	s_andn2_b64 exec, exec, s[4:5]
	s_cbranch_execnz .LBB40_63
; %bb.64:
	s_or_b64 exec, exec, s[4:5]
.LBB40_65:
	s_or_b64 exec, exec, s[12:13]
	v_mov_b32_e32 v102, 0
	ds_read_b32 v102, v102 offset:132
	s_waitcnt lgkmcnt(0)
	v_mul_f32_e32 v102, v103, v102
	buffer_store_dword v102, off, s[0:3], 0 offset:132
.LBB40_66:
	s_or_b64 exec, exec, s[8:9]
	buffer_load_dword v102, off, s[0:3], 0 offset:128
	v_cmp_lt_u32_e64 s[4:5], 32, v0
	s_waitcnt vmcnt(0)
	ds_write_b32 v84, v102
	s_waitcnt lgkmcnt(0)
	; wave barrier
	s_waitcnt lgkmcnt(0)
	s_and_saveexec_b64 s[8:9], s[4:5]
	s_cbranch_execz .LBB40_76
; %bb.67:
	s_andn2_b64 vcc, exec, s[10:11]
	s_cbranch_vccnz .LBB40_69
; %bb.68:
	buffer_load_dword v102, v85, s[0:3], 0 offen
	ds_read_b32 v103, v84
	s_waitcnt vmcnt(0) lgkmcnt(0)
	v_mul_f32_e32 v102, v102, v103
	s_cbranch_execz .LBB40_70
	s_branch .LBB40_71
.LBB40_69:
                                        ; implicit-def: $vgpr102
.LBB40_70:
	ds_read_b32 v102, v84
.LBB40_71:
	s_and_saveexec_b64 s[12:13], s[6:7]
	s_cbranch_execz .LBB40_75
; %bb.72:
	v_mov_b32_e32 v103, 0
	v_add_u32_e32 v103, 0x84, v103
	v_subrev_u32_e32 v104, 33, v0
	s_movk_i32 s14, 0x134
	s_mov_b64 s[6:7], 0
.LBB40_73:                              ; =>This Inner Loop Header: Depth=1
	buffer_load_dword v105, v103, s[0:3], 0 offen
	v_mov_b32_e32 v106, s14
	ds_read_b32 v106, v106
	v_add_u32_e32 v104, -1, v104
	s_add_i32 s14, s14, 4
	v_cmp_eq_u32_e32 vcc, 0, v104
	v_add_u32_e32 v103, 4, v103
	s_or_b64 s[6:7], vcc, s[6:7]
	s_waitcnt vmcnt(0) lgkmcnt(0)
	v_fmac_f32_e32 v102, v105, v106
	s_andn2_b64 exec, exec, s[6:7]
	s_cbranch_execnz .LBB40_73
; %bb.74:
	s_or_b64 exec, exec, s[6:7]
.LBB40_75:
	s_or_b64 exec, exec, s[12:13]
	v_mov_b32_e32 v103, 0
	ds_read_b32 v103, v103 offset:128
	s_waitcnt lgkmcnt(0)
	v_mul_f32_e32 v102, v102, v103
	buffer_store_dword v102, off, s[0:3], 0 offset:128
.LBB40_76:
	s_or_b64 exec, exec, s[8:9]
	buffer_load_dword v102, off, s[0:3], 0 offset:124
	v_cmp_lt_u32_e64 s[6:7], 31, v0
	s_waitcnt vmcnt(0)
	ds_write_b32 v84, v102
	s_waitcnt lgkmcnt(0)
	; wave barrier
	s_waitcnt lgkmcnt(0)
	s_and_saveexec_b64 s[8:9], s[6:7]
	s_cbranch_execz .LBB40_86
; %bb.77:
	s_andn2_b64 vcc, exec, s[10:11]
	s_cbranch_vccnz .LBB40_79
; %bb.78:
	buffer_load_dword v102, v85, s[0:3], 0 offen
	ds_read_b32 v103, v84
	s_waitcnt vmcnt(0) lgkmcnt(0)
	v_mul_f32_e32 v102, v102, v103
	s_cbranch_execz .LBB40_80
	s_branch .LBB40_81
.LBB40_79:
                                        ; implicit-def: $vgpr102
.LBB40_80:
	ds_read_b32 v102, v84
.LBB40_81:
	s_and_saveexec_b64 s[12:13], s[4:5]
	s_cbranch_execz .LBB40_85
; %bb.82:
	v_subrev_u32_e32 v103, 32, v0
	s_movk_i32 s14, 0x130
	s_mov_b64 s[4:5], 0
.LBB40_83:                              ; =>This Inner Loop Header: Depth=1
	buffer_load_dword v104, v101, s[0:3], 0 offen
	v_mov_b32_e32 v105, s14
	ds_read_b32 v105, v105
	v_add_u32_e32 v103, -1, v103
	s_add_i32 s14, s14, 4
	v_cmp_eq_u32_e32 vcc, 0, v103
	v_add_u32_e32 v101, 4, v101
	s_or_b64 s[4:5], vcc, s[4:5]
	s_waitcnt vmcnt(0) lgkmcnt(0)
	v_fmac_f32_e32 v102, v104, v105
	s_andn2_b64 exec, exec, s[4:5]
	s_cbranch_execnz .LBB40_83
; %bb.84:
	s_or_b64 exec, exec, s[4:5]
.LBB40_85:
	s_or_b64 exec, exec, s[12:13]
	v_mov_b32_e32 v101, 0
	ds_read_b32 v101, v101 offset:124
	s_waitcnt lgkmcnt(0)
	v_mul_f32_e32 v101, v102, v101
	buffer_store_dword v101, off, s[0:3], 0 offset:124
.LBB40_86:
	s_or_b64 exec, exec, s[8:9]
	buffer_load_dword v101, off, s[0:3], 0 offset:120
	v_cmp_lt_u32_e64 s[4:5], 30, v0
	s_waitcnt vmcnt(0)
	ds_write_b32 v84, v101
	s_waitcnt lgkmcnt(0)
	; wave barrier
	s_waitcnt lgkmcnt(0)
	s_and_saveexec_b64 s[8:9], s[4:5]
	s_cbranch_execz .LBB40_96
; %bb.87:
	s_andn2_b64 vcc, exec, s[10:11]
	s_cbranch_vccnz .LBB40_89
; %bb.88:
	buffer_load_dword v101, v85, s[0:3], 0 offen
	ds_read_b32 v102, v84
	s_waitcnt vmcnt(0) lgkmcnt(0)
	v_mul_f32_e32 v101, v101, v102
	s_cbranch_execz .LBB40_90
	s_branch .LBB40_91
.LBB40_89:
                                        ; implicit-def: $vgpr101
.LBB40_90:
	ds_read_b32 v101, v84
.LBB40_91:
	s_and_saveexec_b64 s[12:13], s[6:7]
	s_cbranch_execz .LBB40_95
; %bb.92:
	v_mov_b32_e32 v102, 0
	v_add_u32_e32 v102, 0x7c, v102
	v_subrev_u32_e32 v103, 31, v0
	s_movk_i32 s14, 0x12c
	s_mov_b64 s[6:7], 0
.LBB40_93:                              ; =>This Inner Loop Header: Depth=1
	buffer_load_dword v104, v102, s[0:3], 0 offen
	v_mov_b32_e32 v105, s14
	ds_read_b32 v105, v105
	v_add_u32_e32 v103, -1, v103
	s_add_i32 s14, s14, 4
	v_cmp_eq_u32_e32 vcc, 0, v103
	v_add_u32_e32 v102, 4, v102
	s_or_b64 s[6:7], vcc, s[6:7]
	s_waitcnt vmcnt(0) lgkmcnt(0)
	v_fmac_f32_e32 v101, v104, v105
	s_andn2_b64 exec, exec, s[6:7]
	s_cbranch_execnz .LBB40_93
; %bb.94:
	s_or_b64 exec, exec, s[6:7]
.LBB40_95:
	s_or_b64 exec, exec, s[12:13]
	v_mov_b32_e32 v102, 0
	ds_read_b32 v102, v102 offset:120
	s_waitcnt lgkmcnt(0)
	v_mul_f32_e32 v101, v101, v102
	buffer_store_dword v101, off, s[0:3], 0 offset:120
.LBB40_96:
	s_or_b64 exec, exec, s[8:9]
	buffer_load_dword v101, off, s[0:3], 0 offset:116
	v_cmp_lt_u32_e64 s[6:7], 29, v0
	s_waitcnt vmcnt(0)
	ds_write_b32 v84, v101
	s_waitcnt lgkmcnt(0)
	; wave barrier
	s_waitcnt lgkmcnt(0)
	s_and_saveexec_b64 s[8:9], s[6:7]
	s_cbranch_execz .LBB40_106
; %bb.97:
	s_andn2_b64 vcc, exec, s[10:11]
	s_cbranch_vccnz .LBB40_99
; %bb.98:
	buffer_load_dword v101, v85, s[0:3], 0 offen
	ds_read_b32 v102, v84
	s_waitcnt vmcnt(0) lgkmcnt(0)
	v_mul_f32_e32 v101, v101, v102
	s_cbranch_execz .LBB40_100
	s_branch .LBB40_101
.LBB40_99:
                                        ; implicit-def: $vgpr101
.LBB40_100:
	ds_read_b32 v101, v84
.LBB40_101:
	s_and_saveexec_b64 s[12:13], s[4:5]
	s_cbranch_execz .LBB40_105
; %bb.102:
	v_subrev_u32_e32 v102, 30, v0
	s_movk_i32 s14, 0x128
	s_mov_b64 s[4:5], 0
.LBB40_103:                             ; =>This Inner Loop Header: Depth=1
	buffer_load_dword v103, v100, s[0:3], 0 offen
	v_mov_b32_e32 v104, s14
	ds_read_b32 v104, v104
	v_add_u32_e32 v102, -1, v102
	s_add_i32 s14, s14, 4
	v_cmp_eq_u32_e32 vcc, 0, v102
	v_add_u32_e32 v100, 4, v100
	s_or_b64 s[4:5], vcc, s[4:5]
	s_waitcnt vmcnt(0) lgkmcnt(0)
	v_fmac_f32_e32 v101, v103, v104
	s_andn2_b64 exec, exec, s[4:5]
	s_cbranch_execnz .LBB40_103
; %bb.104:
	s_or_b64 exec, exec, s[4:5]
.LBB40_105:
	s_or_b64 exec, exec, s[12:13]
	v_mov_b32_e32 v100, 0
	ds_read_b32 v100, v100 offset:116
	s_waitcnt lgkmcnt(0)
	v_mul_f32_e32 v100, v101, v100
	buffer_store_dword v100, off, s[0:3], 0 offset:116
.LBB40_106:
	s_or_b64 exec, exec, s[8:9]
	buffer_load_dword v100, off, s[0:3], 0 offset:112
	v_cmp_lt_u32_e64 s[4:5], 28, v0
	s_waitcnt vmcnt(0)
	ds_write_b32 v84, v100
	s_waitcnt lgkmcnt(0)
	; wave barrier
	s_waitcnt lgkmcnt(0)
	s_and_saveexec_b64 s[8:9], s[4:5]
	s_cbranch_execz .LBB40_116
; %bb.107:
	s_andn2_b64 vcc, exec, s[10:11]
	s_cbranch_vccnz .LBB40_109
; %bb.108:
	buffer_load_dword v100, v85, s[0:3], 0 offen
	ds_read_b32 v101, v84
	s_waitcnt vmcnt(0) lgkmcnt(0)
	v_mul_f32_e32 v100, v100, v101
	s_cbranch_execz .LBB40_110
	s_branch .LBB40_111
.LBB40_109:
                                        ; implicit-def: $vgpr100
.LBB40_110:
	ds_read_b32 v100, v84
.LBB40_111:
	s_and_saveexec_b64 s[12:13], s[6:7]
	s_cbranch_execz .LBB40_115
; %bb.112:
	v_mov_b32_e32 v101, 0
	v_add_u32_e32 v101, 0x74, v101
	v_subrev_u32_e32 v102, 29, v0
	s_movk_i32 s14, 0x124
	s_mov_b64 s[6:7], 0
.LBB40_113:                             ; =>This Inner Loop Header: Depth=1
	buffer_load_dword v103, v101, s[0:3], 0 offen
	v_mov_b32_e32 v104, s14
	ds_read_b32 v104, v104
	v_add_u32_e32 v102, -1, v102
	s_add_i32 s14, s14, 4
	v_cmp_eq_u32_e32 vcc, 0, v102
	v_add_u32_e32 v101, 4, v101
	s_or_b64 s[6:7], vcc, s[6:7]
	s_waitcnt vmcnt(0) lgkmcnt(0)
	v_fmac_f32_e32 v100, v103, v104
	s_andn2_b64 exec, exec, s[6:7]
	s_cbranch_execnz .LBB40_113
; %bb.114:
	s_or_b64 exec, exec, s[6:7]
.LBB40_115:
	s_or_b64 exec, exec, s[12:13]
	v_mov_b32_e32 v101, 0
	ds_read_b32 v101, v101 offset:112
	s_waitcnt lgkmcnt(0)
	v_mul_f32_e32 v100, v100, v101
	buffer_store_dword v100, off, s[0:3], 0 offset:112
.LBB40_116:
	s_or_b64 exec, exec, s[8:9]
	buffer_load_dword v100, off, s[0:3], 0 offset:108
	v_cmp_lt_u32_e64 s[6:7], 27, v0
	s_waitcnt vmcnt(0)
	ds_write_b32 v84, v100
	s_waitcnt lgkmcnt(0)
	; wave barrier
	s_waitcnt lgkmcnt(0)
	s_and_saveexec_b64 s[8:9], s[6:7]
	s_cbranch_execz .LBB40_126
; %bb.117:
	s_andn2_b64 vcc, exec, s[10:11]
	s_cbranch_vccnz .LBB40_119
; %bb.118:
	buffer_load_dword v100, v85, s[0:3], 0 offen
	ds_read_b32 v101, v84
	s_waitcnt vmcnt(0) lgkmcnt(0)
	v_mul_f32_e32 v100, v100, v101
	s_cbranch_execz .LBB40_120
	s_branch .LBB40_121
.LBB40_119:
                                        ; implicit-def: $vgpr100
.LBB40_120:
	ds_read_b32 v100, v84
.LBB40_121:
	s_and_saveexec_b64 s[12:13], s[4:5]
	s_cbranch_execz .LBB40_125
; %bb.122:
	v_subrev_u32_e32 v101, 28, v0
	s_movk_i32 s14, 0x120
	s_mov_b64 s[4:5], 0
.LBB40_123:                             ; =>This Inner Loop Header: Depth=1
	buffer_load_dword v102, v99, s[0:3], 0 offen
	v_mov_b32_e32 v103, s14
	ds_read_b32 v103, v103
	v_add_u32_e32 v101, -1, v101
	s_add_i32 s14, s14, 4
	v_cmp_eq_u32_e32 vcc, 0, v101
	v_add_u32_e32 v99, 4, v99
	s_or_b64 s[4:5], vcc, s[4:5]
	s_waitcnt vmcnt(0) lgkmcnt(0)
	v_fmac_f32_e32 v100, v102, v103
	s_andn2_b64 exec, exec, s[4:5]
	s_cbranch_execnz .LBB40_123
; %bb.124:
	s_or_b64 exec, exec, s[4:5]
.LBB40_125:
	s_or_b64 exec, exec, s[12:13]
	v_mov_b32_e32 v99, 0
	ds_read_b32 v99, v99 offset:108
	s_waitcnt lgkmcnt(0)
	v_mul_f32_e32 v99, v100, v99
	buffer_store_dword v99, off, s[0:3], 0 offset:108
.LBB40_126:
	s_or_b64 exec, exec, s[8:9]
	buffer_load_dword v99, off, s[0:3], 0 offset:104
	v_cmp_lt_u32_e64 s[4:5], 26, v0
	s_waitcnt vmcnt(0)
	ds_write_b32 v84, v99
	s_waitcnt lgkmcnt(0)
	; wave barrier
	s_waitcnt lgkmcnt(0)
	s_and_saveexec_b64 s[8:9], s[4:5]
	s_cbranch_execz .LBB40_136
; %bb.127:
	s_andn2_b64 vcc, exec, s[10:11]
	s_cbranch_vccnz .LBB40_129
; %bb.128:
	buffer_load_dword v99, v85, s[0:3], 0 offen
	ds_read_b32 v100, v84
	s_waitcnt vmcnt(0) lgkmcnt(0)
	v_mul_f32_e32 v99, v99, v100
	s_cbranch_execz .LBB40_130
	s_branch .LBB40_131
.LBB40_129:
                                        ; implicit-def: $vgpr99
.LBB40_130:
	ds_read_b32 v99, v84
.LBB40_131:
	s_and_saveexec_b64 s[12:13], s[6:7]
	s_cbranch_execz .LBB40_135
; %bb.132:
	v_mov_b32_e32 v100, 0
	v_add_u32_e32 v100, 0x6c, v100
	v_subrev_u32_e32 v101, 27, v0
	s_movk_i32 s14, 0x11c
	s_mov_b64 s[6:7], 0
.LBB40_133:                             ; =>This Inner Loop Header: Depth=1
	buffer_load_dword v102, v100, s[0:3], 0 offen
	v_mov_b32_e32 v103, s14
	ds_read_b32 v103, v103
	v_add_u32_e32 v101, -1, v101
	s_add_i32 s14, s14, 4
	v_cmp_eq_u32_e32 vcc, 0, v101
	v_add_u32_e32 v100, 4, v100
	s_or_b64 s[6:7], vcc, s[6:7]
	s_waitcnt vmcnt(0) lgkmcnt(0)
	v_fmac_f32_e32 v99, v102, v103
	s_andn2_b64 exec, exec, s[6:7]
	s_cbranch_execnz .LBB40_133
; %bb.134:
	s_or_b64 exec, exec, s[6:7]
.LBB40_135:
	s_or_b64 exec, exec, s[12:13]
	v_mov_b32_e32 v100, 0
	ds_read_b32 v100, v100 offset:104
	s_waitcnt lgkmcnt(0)
	v_mul_f32_e32 v99, v99, v100
	buffer_store_dword v99, off, s[0:3], 0 offset:104
.LBB40_136:
	s_or_b64 exec, exec, s[8:9]
	buffer_load_dword v99, off, s[0:3], 0 offset:100
	v_cmp_lt_u32_e64 s[6:7], 25, v0
	s_waitcnt vmcnt(0)
	ds_write_b32 v84, v99
	s_waitcnt lgkmcnt(0)
	; wave barrier
	s_waitcnt lgkmcnt(0)
	s_and_saveexec_b64 s[8:9], s[6:7]
	s_cbranch_execz .LBB40_146
; %bb.137:
	s_andn2_b64 vcc, exec, s[10:11]
	s_cbranch_vccnz .LBB40_139
; %bb.138:
	buffer_load_dword v99, v85, s[0:3], 0 offen
	ds_read_b32 v100, v84
	s_waitcnt vmcnt(0) lgkmcnt(0)
	v_mul_f32_e32 v99, v99, v100
	s_cbranch_execz .LBB40_140
	s_branch .LBB40_141
.LBB40_139:
                                        ; implicit-def: $vgpr99
.LBB40_140:
	ds_read_b32 v99, v84
.LBB40_141:
	s_and_saveexec_b64 s[12:13], s[4:5]
	s_cbranch_execz .LBB40_145
; %bb.142:
	v_subrev_u32_e32 v100, 26, v0
	s_movk_i32 s14, 0x118
	s_mov_b64 s[4:5], 0
.LBB40_143:                             ; =>This Inner Loop Header: Depth=1
	buffer_load_dword v101, v98, s[0:3], 0 offen
	v_mov_b32_e32 v102, s14
	ds_read_b32 v102, v102
	v_add_u32_e32 v100, -1, v100
	s_add_i32 s14, s14, 4
	v_cmp_eq_u32_e32 vcc, 0, v100
	v_add_u32_e32 v98, 4, v98
	s_or_b64 s[4:5], vcc, s[4:5]
	s_waitcnt vmcnt(0) lgkmcnt(0)
	v_fmac_f32_e32 v99, v101, v102
	s_andn2_b64 exec, exec, s[4:5]
	s_cbranch_execnz .LBB40_143
; %bb.144:
	s_or_b64 exec, exec, s[4:5]
.LBB40_145:
	s_or_b64 exec, exec, s[12:13]
	v_mov_b32_e32 v98, 0
	ds_read_b32 v98, v98 offset:100
	s_waitcnt lgkmcnt(0)
	v_mul_f32_e32 v98, v99, v98
	buffer_store_dword v98, off, s[0:3], 0 offset:100
.LBB40_146:
	s_or_b64 exec, exec, s[8:9]
	buffer_load_dword v98, off, s[0:3], 0 offset:96
	v_cmp_lt_u32_e64 s[4:5], 24, v0
	s_waitcnt vmcnt(0)
	ds_write_b32 v84, v98
	s_waitcnt lgkmcnt(0)
	; wave barrier
	s_waitcnt lgkmcnt(0)
	s_and_saveexec_b64 s[8:9], s[4:5]
	s_cbranch_execz .LBB40_156
; %bb.147:
	s_andn2_b64 vcc, exec, s[10:11]
	s_cbranch_vccnz .LBB40_149
; %bb.148:
	buffer_load_dword v98, v85, s[0:3], 0 offen
	ds_read_b32 v99, v84
	s_waitcnt vmcnt(0) lgkmcnt(0)
	v_mul_f32_e32 v98, v98, v99
	s_cbranch_execz .LBB40_150
	s_branch .LBB40_151
.LBB40_149:
                                        ; implicit-def: $vgpr98
.LBB40_150:
	ds_read_b32 v98, v84
.LBB40_151:
	s_and_saveexec_b64 s[12:13], s[6:7]
	s_cbranch_execz .LBB40_155
; %bb.152:
	v_mov_b32_e32 v99, 0
	v_add_u32_e32 v99, 0x64, v99
	v_subrev_u32_e32 v100, 25, v0
	s_movk_i32 s14, 0x114
	s_mov_b64 s[6:7], 0
.LBB40_153:                             ; =>This Inner Loop Header: Depth=1
	buffer_load_dword v101, v99, s[0:3], 0 offen
	v_mov_b32_e32 v102, s14
	ds_read_b32 v102, v102
	v_add_u32_e32 v100, -1, v100
	s_add_i32 s14, s14, 4
	v_cmp_eq_u32_e32 vcc, 0, v100
	v_add_u32_e32 v99, 4, v99
	s_or_b64 s[6:7], vcc, s[6:7]
	s_waitcnt vmcnt(0) lgkmcnt(0)
	v_fmac_f32_e32 v98, v101, v102
	s_andn2_b64 exec, exec, s[6:7]
	s_cbranch_execnz .LBB40_153
; %bb.154:
	s_or_b64 exec, exec, s[6:7]
.LBB40_155:
	s_or_b64 exec, exec, s[12:13]
	v_mov_b32_e32 v99, 0
	ds_read_b32 v99, v99 offset:96
	s_waitcnt lgkmcnt(0)
	v_mul_f32_e32 v98, v98, v99
	buffer_store_dword v98, off, s[0:3], 0 offset:96
.LBB40_156:
	s_or_b64 exec, exec, s[8:9]
	buffer_load_dword v98, off, s[0:3], 0 offset:92
	v_cmp_lt_u32_e64 s[6:7], 23, v0
	s_waitcnt vmcnt(0)
	ds_write_b32 v84, v98
	s_waitcnt lgkmcnt(0)
	; wave barrier
	s_waitcnt lgkmcnt(0)
	s_and_saveexec_b64 s[8:9], s[6:7]
	s_cbranch_execz .LBB40_166
; %bb.157:
	s_andn2_b64 vcc, exec, s[10:11]
	s_cbranch_vccnz .LBB40_159
; %bb.158:
	buffer_load_dword v98, v85, s[0:3], 0 offen
	ds_read_b32 v99, v84
	s_waitcnt vmcnt(0) lgkmcnt(0)
	v_mul_f32_e32 v98, v98, v99
	s_cbranch_execz .LBB40_160
	s_branch .LBB40_161
.LBB40_159:
                                        ; implicit-def: $vgpr98
.LBB40_160:
	ds_read_b32 v98, v84
.LBB40_161:
	s_and_saveexec_b64 s[12:13], s[4:5]
	s_cbranch_execz .LBB40_165
; %bb.162:
	v_subrev_u32_e32 v99, 24, v0
	s_movk_i32 s14, 0x110
	s_mov_b64 s[4:5], 0
.LBB40_163:                             ; =>This Inner Loop Header: Depth=1
	buffer_load_dword v100, v97, s[0:3], 0 offen
	v_mov_b32_e32 v101, s14
	ds_read_b32 v101, v101
	v_add_u32_e32 v99, -1, v99
	s_add_i32 s14, s14, 4
	v_cmp_eq_u32_e32 vcc, 0, v99
	v_add_u32_e32 v97, 4, v97
	s_or_b64 s[4:5], vcc, s[4:5]
	s_waitcnt vmcnt(0) lgkmcnt(0)
	v_fmac_f32_e32 v98, v100, v101
	s_andn2_b64 exec, exec, s[4:5]
	s_cbranch_execnz .LBB40_163
; %bb.164:
	s_or_b64 exec, exec, s[4:5]
.LBB40_165:
	s_or_b64 exec, exec, s[12:13]
	v_mov_b32_e32 v97, 0
	ds_read_b32 v97, v97 offset:92
	s_waitcnt lgkmcnt(0)
	v_mul_f32_e32 v97, v98, v97
	buffer_store_dword v97, off, s[0:3], 0 offset:92
.LBB40_166:
	s_or_b64 exec, exec, s[8:9]
	buffer_load_dword v97, off, s[0:3], 0 offset:88
	v_cmp_lt_u32_e64 s[4:5], 22, v0
	s_waitcnt vmcnt(0)
	ds_write_b32 v84, v97
	s_waitcnt lgkmcnt(0)
	; wave barrier
	s_waitcnt lgkmcnt(0)
	s_and_saveexec_b64 s[8:9], s[4:5]
	s_cbranch_execz .LBB40_176
; %bb.167:
	s_andn2_b64 vcc, exec, s[10:11]
	s_cbranch_vccnz .LBB40_169
; %bb.168:
	buffer_load_dword v97, v85, s[0:3], 0 offen
	ds_read_b32 v98, v84
	s_waitcnt vmcnt(0) lgkmcnt(0)
	v_mul_f32_e32 v97, v97, v98
	s_cbranch_execz .LBB40_170
	s_branch .LBB40_171
.LBB40_169:
                                        ; implicit-def: $vgpr97
.LBB40_170:
	ds_read_b32 v97, v84
.LBB40_171:
	s_and_saveexec_b64 s[12:13], s[6:7]
	s_cbranch_execz .LBB40_175
; %bb.172:
	v_mov_b32_e32 v98, 0
	v_add_u32_e32 v98, 0x5c, v98
	v_subrev_u32_e32 v99, 23, v0
	s_movk_i32 s14, 0x10c
	s_mov_b64 s[6:7], 0
.LBB40_173:                             ; =>This Inner Loop Header: Depth=1
	buffer_load_dword v100, v98, s[0:3], 0 offen
	v_mov_b32_e32 v101, s14
	ds_read_b32 v101, v101
	v_add_u32_e32 v99, -1, v99
	s_add_i32 s14, s14, 4
	v_cmp_eq_u32_e32 vcc, 0, v99
	v_add_u32_e32 v98, 4, v98
	s_or_b64 s[6:7], vcc, s[6:7]
	s_waitcnt vmcnt(0) lgkmcnt(0)
	v_fmac_f32_e32 v97, v100, v101
	s_andn2_b64 exec, exec, s[6:7]
	s_cbranch_execnz .LBB40_173
; %bb.174:
	s_or_b64 exec, exec, s[6:7]
.LBB40_175:
	s_or_b64 exec, exec, s[12:13]
	v_mov_b32_e32 v98, 0
	ds_read_b32 v98, v98 offset:88
	s_waitcnt lgkmcnt(0)
	v_mul_f32_e32 v97, v97, v98
	buffer_store_dword v97, off, s[0:3], 0 offset:88
.LBB40_176:
	s_or_b64 exec, exec, s[8:9]
	buffer_load_dword v97, off, s[0:3], 0 offset:84
	v_cmp_lt_u32_e64 s[6:7], 21, v0
	s_waitcnt vmcnt(0)
	ds_write_b32 v84, v97
	s_waitcnt lgkmcnt(0)
	; wave barrier
	s_waitcnt lgkmcnt(0)
	s_and_saveexec_b64 s[8:9], s[6:7]
	s_cbranch_execz .LBB40_186
; %bb.177:
	s_andn2_b64 vcc, exec, s[10:11]
	s_cbranch_vccnz .LBB40_179
; %bb.178:
	buffer_load_dword v97, v85, s[0:3], 0 offen
	ds_read_b32 v98, v84
	s_waitcnt vmcnt(0) lgkmcnt(0)
	v_mul_f32_e32 v97, v97, v98
	s_cbranch_execz .LBB40_180
	s_branch .LBB40_181
.LBB40_179:
                                        ; implicit-def: $vgpr97
.LBB40_180:
	ds_read_b32 v97, v84
.LBB40_181:
	s_and_saveexec_b64 s[12:13], s[4:5]
	s_cbranch_execz .LBB40_185
; %bb.182:
	v_subrev_u32_e32 v98, 22, v0
	s_movk_i32 s14, 0x108
	s_mov_b64 s[4:5], 0
.LBB40_183:                             ; =>This Inner Loop Header: Depth=1
	buffer_load_dword v99, v96, s[0:3], 0 offen
	v_mov_b32_e32 v100, s14
	ds_read_b32 v100, v100
	v_add_u32_e32 v98, -1, v98
	s_add_i32 s14, s14, 4
	v_cmp_eq_u32_e32 vcc, 0, v98
	v_add_u32_e32 v96, 4, v96
	s_or_b64 s[4:5], vcc, s[4:5]
	s_waitcnt vmcnt(0) lgkmcnt(0)
	v_fmac_f32_e32 v97, v99, v100
	s_andn2_b64 exec, exec, s[4:5]
	s_cbranch_execnz .LBB40_183
; %bb.184:
	s_or_b64 exec, exec, s[4:5]
.LBB40_185:
	s_or_b64 exec, exec, s[12:13]
	v_mov_b32_e32 v96, 0
	ds_read_b32 v96, v96 offset:84
	s_waitcnt lgkmcnt(0)
	v_mul_f32_e32 v96, v97, v96
	buffer_store_dword v96, off, s[0:3], 0 offset:84
.LBB40_186:
	s_or_b64 exec, exec, s[8:9]
	buffer_load_dword v96, off, s[0:3], 0 offset:80
	v_cmp_lt_u32_e64 s[4:5], 20, v0
	s_waitcnt vmcnt(0)
	ds_write_b32 v84, v96
	s_waitcnt lgkmcnt(0)
	; wave barrier
	s_waitcnt lgkmcnt(0)
	s_and_saveexec_b64 s[8:9], s[4:5]
	s_cbranch_execz .LBB40_196
; %bb.187:
	s_andn2_b64 vcc, exec, s[10:11]
	s_cbranch_vccnz .LBB40_189
; %bb.188:
	buffer_load_dword v96, v85, s[0:3], 0 offen
	ds_read_b32 v97, v84
	s_waitcnt vmcnt(0) lgkmcnt(0)
	v_mul_f32_e32 v96, v96, v97
	s_cbranch_execz .LBB40_190
	s_branch .LBB40_191
.LBB40_189:
                                        ; implicit-def: $vgpr96
.LBB40_190:
	ds_read_b32 v96, v84
.LBB40_191:
	s_and_saveexec_b64 s[12:13], s[6:7]
	s_cbranch_execz .LBB40_195
; %bb.192:
	v_mov_b32_e32 v97, 0
	v_add_u32_e32 v97, 0x54, v97
	v_subrev_u32_e32 v98, 21, v0
	s_movk_i32 s14, 0x104
	s_mov_b64 s[6:7], 0
.LBB40_193:                             ; =>This Inner Loop Header: Depth=1
	buffer_load_dword v99, v97, s[0:3], 0 offen
	v_mov_b32_e32 v100, s14
	ds_read_b32 v100, v100
	v_add_u32_e32 v98, -1, v98
	s_add_i32 s14, s14, 4
	v_cmp_eq_u32_e32 vcc, 0, v98
	v_add_u32_e32 v97, 4, v97
	s_or_b64 s[6:7], vcc, s[6:7]
	s_waitcnt vmcnt(0) lgkmcnt(0)
	v_fmac_f32_e32 v96, v99, v100
	s_andn2_b64 exec, exec, s[6:7]
	s_cbranch_execnz .LBB40_193
; %bb.194:
	s_or_b64 exec, exec, s[6:7]
.LBB40_195:
	s_or_b64 exec, exec, s[12:13]
	v_mov_b32_e32 v97, 0
	ds_read_b32 v97, v97 offset:80
	s_waitcnt lgkmcnt(0)
	v_mul_f32_e32 v96, v96, v97
	buffer_store_dword v96, off, s[0:3], 0 offset:80
.LBB40_196:
	s_or_b64 exec, exec, s[8:9]
	buffer_load_dword v96, off, s[0:3], 0 offset:76
	v_cmp_lt_u32_e64 s[6:7], 19, v0
	s_waitcnt vmcnt(0)
	ds_write_b32 v84, v96
	s_waitcnt lgkmcnt(0)
	; wave barrier
	s_waitcnt lgkmcnt(0)
	s_and_saveexec_b64 s[8:9], s[6:7]
	s_cbranch_execz .LBB40_206
; %bb.197:
	s_andn2_b64 vcc, exec, s[10:11]
	s_cbranch_vccnz .LBB40_199
; %bb.198:
	buffer_load_dword v96, v85, s[0:3], 0 offen
	ds_read_b32 v97, v84
	s_waitcnt vmcnt(0) lgkmcnt(0)
	v_mul_f32_e32 v96, v96, v97
	s_cbranch_execz .LBB40_200
	s_branch .LBB40_201
.LBB40_199:
                                        ; implicit-def: $vgpr96
.LBB40_200:
	ds_read_b32 v96, v84
.LBB40_201:
	s_and_saveexec_b64 s[12:13], s[4:5]
	s_cbranch_execz .LBB40_205
; %bb.202:
	v_subrev_u32_e32 v97, 20, v0
	s_movk_i32 s14, 0x100
	s_mov_b64 s[4:5], 0
.LBB40_203:                             ; =>This Inner Loop Header: Depth=1
	buffer_load_dword v98, v95, s[0:3], 0 offen
	v_mov_b32_e32 v99, s14
	ds_read_b32 v99, v99
	v_add_u32_e32 v97, -1, v97
	s_add_i32 s14, s14, 4
	v_cmp_eq_u32_e32 vcc, 0, v97
	v_add_u32_e32 v95, 4, v95
	s_or_b64 s[4:5], vcc, s[4:5]
	s_waitcnt vmcnt(0) lgkmcnt(0)
	v_fmac_f32_e32 v96, v98, v99
	s_andn2_b64 exec, exec, s[4:5]
	s_cbranch_execnz .LBB40_203
; %bb.204:
	s_or_b64 exec, exec, s[4:5]
.LBB40_205:
	s_or_b64 exec, exec, s[12:13]
	v_mov_b32_e32 v95, 0
	ds_read_b32 v95, v95 offset:76
	s_waitcnt lgkmcnt(0)
	v_mul_f32_e32 v95, v96, v95
	buffer_store_dword v95, off, s[0:3], 0 offset:76
.LBB40_206:
	s_or_b64 exec, exec, s[8:9]
	buffer_load_dword v95, off, s[0:3], 0 offset:72
	v_cmp_lt_u32_e64 s[4:5], 18, v0
	s_waitcnt vmcnt(0)
	ds_write_b32 v84, v95
	s_waitcnt lgkmcnt(0)
	; wave barrier
	s_waitcnt lgkmcnt(0)
	s_and_saveexec_b64 s[8:9], s[4:5]
	s_cbranch_execz .LBB40_216
; %bb.207:
	s_andn2_b64 vcc, exec, s[10:11]
	s_cbranch_vccnz .LBB40_209
; %bb.208:
	buffer_load_dword v95, v85, s[0:3], 0 offen
	ds_read_b32 v96, v84
	s_waitcnt vmcnt(0) lgkmcnt(0)
	v_mul_f32_e32 v95, v95, v96
	s_cbranch_execz .LBB40_210
	s_branch .LBB40_211
.LBB40_209:
                                        ; implicit-def: $vgpr95
.LBB40_210:
	ds_read_b32 v95, v84
.LBB40_211:
	s_and_saveexec_b64 s[12:13], s[6:7]
	s_cbranch_execz .LBB40_215
; %bb.212:
	v_mov_b32_e32 v96, 0
	v_add_u32_e32 v96, 0x4c, v96
	v_subrev_u32_e32 v97, 19, v0
	s_movk_i32 s14, 0xfc
	s_mov_b64 s[6:7], 0
.LBB40_213:                             ; =>This Inner Loop Header: Depth=1
	buffer_load_dword v98, v96, s[0:3], 0 offen
	v_mov_b32_e32 v99, s14
	ds_read_b32 v99, v99
	v_add_u32_e32 v97, -1, v97
	s_add_i32 s14, s14, 4
	v_cmp_eq_u32_e32 vcc, 0, v97
	v_add_u32_e32 v96, 4, v96
	s_or_b64 s[6:7], vcc, s[6:7]
	s_waitcnt vmcnt(0) lgkmcnt(0)
	v_fmac_f32_e32 v95, v98, v99
	s_andn2_b64 exec, exec, s[6:7]
	s_cbranch_execnz .LBB40_213
; %bb.214:
	s_or_b64 exec, exec, s[6:7]
.LBB40_215:
	s_or_b64 exec, exec, s[12:13]
	v_mov_b32_e32 v96, 0
	ds_read_b32 v96, v96 offset:72
	s_waitcnt lgkmcnt(0)
	v_mul_f32_e32 v95, v95, v96
	buffer_store_dword v95, off, s[0:3], 0 offset:72
.LBB40_216:
	s_or_b64 exec, exec, s[8:9]
	buffer_load_dword v95, off, s[0:3], 0 offset:68
	v_cmp_lt_u32_e64 s[6:7], 17, v0
	s_waitcnt vmcnt(0)
	ds_write_b32 v84, v95
	s_waitcnt lgkmcnt(0)
	; wave barrier
	s_waitcnt lgkmcnt(0)
	s_and_saveexec_b64 s[8:9], s[6:7]
	s_cbranch_execz .LBB40_226
; %bb.217:
	s_andn2_b64 vcc, exec, s[10:11]
	s_cbranch_vccnz .LBB40_219
; %bb.218:
	buffer_load_dword v95, v85, s[0:3], 0 offen
	ds_read_b32 v96, v84
	s_waitcnt vmcnt(0) lgkmcnt(0)
	v_mul_f32_e32 v95, v95, v96
	s_cbranch_execz .LBB40_220
	s_branch .LBB40_221
.LBB40_219:
                                        ; implicit-def: $vgpr95
.LBB40_220:
	ds_read_b32 v95, v84
.LBB40_221:
	s_and_saveexec_b64 s[12:13], s[4:5]
	s_cbranch_execz .LBB40_225
; %bb.222:
	v_subrev_u32_e32 v96, 18, v0
	s_movk_i32 s14, 0xf8
	s_mov_b64 s[4:5], 0
.LBB40_223:                             ; =>This Inner Loop Header: Depth=1
	buffer_load_dword v97, v94, s[0:3], 0 offen
	v_mov_b32_e32 v98, s14
	ds_read_b32 v98, v98
	v_add_u32_e32 v96, -1, v96
	s_add_i32 s14, s14, 4
	v_cmp_eq_u32_e32 vcc, 0, v96
	v_add_u32_e32 v94, 4, v94
	s_or_b64 s[4:5], vcc, s[4:5]
	s_waitcnt vmcnt(0) lgkmcnt(0)
	v_fmac_f32_e32 v95, v97, v98
	s_andn2_b64 exec, exec, s[4:5]
	s_cbranch_execnz .LBB40_223
; %bb.224:
	s_or_b64 exec, exec, s[4:5]
.LBB40_225:
	s_or_b64 exec, exec, s[12:13]
	v_mov_b32_e32 v94, 0
	ds_read_b32 v94, v94 offset:68
	s_waitcnt lgkmcnt(0)
	v_mul_f32_e32 v94, v95, v94
	buffer_store_dword v94, off, s[0:3], 0 offset:68
.LBB40_226:
	s_or_b64 exec, exec, s[8:9]
	buffer_load_dword v94, off, s[0:3], 0 offset:64
	v_cmp_lt_u32_e64 s[4:5], 16, v0
	s_waitcnt vmcnt(0)
	ds_write_b32 v84, v94
	s_waitcnt lgkmcnt(0)
	; wave barrier
	s_waitcnt lgkmcnt(0)
	s_and_saveexec_b64 s[8:9], s[4:5]
	s_cbranch_execz .LBB40_236
; %bb.227:
	s_andn2_b64 vcc, exec, s[10:11]
	s_cbranch_vccnz .LBB40_229
; %bb.228:
	buffer_load_dword v94, v85, s[0:3], 0 offen
	ds_read_b32 v95, v84
	s_waitcnt vmcnt(0) lgkmcnt(0)
	v_mul_f32_e32 v94, v94, v95
	s_cbranch_execz .LBB40_230
	s_branch .LBB40_231
.LBB40_229:
                                        ; implicit-def: $vgpr94
.LBB40_230:
	ds_read_b32 v94, v84
.LBB40_231:
	s_and_saveexec_b64 s[12:13], s[6:7]
	s_cbranch_execz .LBB40_235
; %bb.232:
	v_mov_b32_e32 v95, 0
	v_add_u32_e32 v95, 0x44, v95
	v_subrev_u32_e32 v96, 17, v0
	s_movk_i32 s14, 0xf4
	s_mov_b64 s[6:7], 0
.LBB40_233:                             ; =>This Inner Loop Header: Depth=1
	buffer_load_dword v97, v95, s[0:3], 0 offen
	v_mov_b32_e32 v98, s14
	ds_read_b32 v98, v98
	v_add_u32_e32 v96, -1, v96
	s_add_i32 s14, s14, 4
	v_cmp_eq_u32_e32 vcc, 0, v96
	v_add_u32_e32 v95, 4, v95
	s_or_b64 s[6:7], vcc, s[6:7]
	s_waitcnt vmcnt(0) lgkmcnt(0)
	v_fmac_f32_e32 v94, v97, v98
	s_andn2_b64 exec, exec, s[6:7]
	s_cbranch_execnz .LBB40_233
; %bb.234:
	s_or_b64 exec, exec, s[6:7]
.LBB40_235:
	s_or_b64 exec, exec, s[12:13]
	v_mov_b32_e32 v95, 0
	ds_read_b32 v95, v95 offset:64
	s_waitcnt lgkmcnt(0)
	v_mul_f32_e32 v94, v94, v95
	buffer_store_dword v94, off, s[0:3], 0 offset:64
.LBB40_236:
	s_or_b64 exec, exec, s[8:9]
	buffer_load_dword v94, off, s[0:3], 0 offset:60
	v_cmp_lt_u32_e64 s[6:7], 15, v0
	s_waitcnt vmcnt(0)
	ds_write_b32 v84, v94
	s_waitcnt lgkmcnt(0)
	; wave barrier
	s_waitcnt lgkmcnt(0)
	s_and_saveexec_b64 s[8:9], s[6:7]
	s_cbranch_execz .LBB40_246
; %bb.237:
	s_andn2_b64 vcc, exec, s[10:11]
	s_cbranch_vccnz .LBB40_239
; %bb.238:
	buffer_load_dword v94, v85, s[0:3], 0 offen
	ds_read_b32 v95, v84
	s_waitcnt vmcnt(0) lgkmcnt(0)
	v_mul_f32_e32 v94, v94, v95
	s_cbranch_execz .LBB40_240
	s_branch .LBB40_241
.LBB40_239:
                                        ; implicit-def: $vgpr94
.LBB40_240:
	ds_read_b32 v94, v84
.LBB40_241:
	s_and_saveexec_b64 s[12:13], s[4:5]
	s_cbranch_execz .LBB40_245
; %bb.242:
	v_add_u32_e32 v95, -16, v0
	s_movk_i32 s14, 0xf0
	s_mov_b64 s[4:5], 0
.LBB40_243:                             ; =>This Inner Loop Header: Depth=1
	buffer_load_dword v96, v93, s[0:3], 0 offen
	v_mov_b32_e32 v97, s14
	ds_read_b32 v97, v97
	v_add_u32_e32 v95, -1, v95
	s_add_i32 s14, s14, 4
	v_cmp_eq_u32_e32 vcc, 0, v95
	v_add_u32_e32 v93, 4, v93
	s_or_b64 s[4:5], vcc, s[4:5]
	s_waitcnt vmcnt(0) lgkmcnt(0)
	v_fmac_f32_e32 v94, v96, v97
	s_andn2_b64 exec, exec, s[4:5]
	s_cbranch_execnz .LBB40_243
; %bb.244:
	s_or_b64 exec, exec, s[4:5]
.LBB40_245:
	s_or_b64 exec, exec, s[12:13]
	v_mov_b32_e32 v93, 0
	ds_read_b32 v93, v93 offset:60
	s_waitcnt lgkmcnt(0)
	v_mul_f32_e32 v93, v94, v93
	buffer_store_dword v93, off, s[0:3], 0 offset:60
.LBB40_246:
	s_or_b64 exec, exec, s[8:9]
	buffer_load_dword v93, off, s[0:3], 0 offset:56
	v_cmp_lt_u32_e64 s[4:5], 14, v0
	s_waitcnt vmcnt(0)
	ds_write_b32 v84, v93
	s_waitcnt lgkmcnt(0)
	; wave barrier
	s_waitcnt lgkmcnt(0)
	s_and_saveexec_b64 s[8:9], s[4:5]
	s_cbranch_execz .LBB40_256
; %bb.247:
	s_andn2_b64 vcc, exec, s[10:11]
	s_cbranch_vccnz .LBB40_249
; %bb.248:
	buffer_load_dword v93, v85, s[0:3], 0 offen
	ds_read_b32 v94, v84
	s_waitcnt vmcnt(0) lgkmcnt(0)
	v_mul_f32_e32 v93, v93, v94
	s_cbranch_execz .LBB40_250
	s_branch .LBB40_251
.LBB40_249:
                                        ; implicit-def: $vgpr93
.LBB40_250:
	ds_read_b32 v93, v84
.LBB40_251:
	s_and_saveexec_b64 s[12:13], s[6:7]
	s_cbranch_execz .LBB40_255
; %bb.252:
	v_mov_b32_e32 v94, 0
	v_add_u32_e32 v94, 60, v94
	v_add_u32_e32 v95, -15, v0
	s_movk_i32 s14, 0xec
	s_mov_b64 s[6:7], 0
.LBB40_253:                             ; =>This Inner Loop Header: Depth=1
	buffer_load_dword v96, v94, s[0:3], 0 offen
	v_mov_b32_e32 v97, s14
	ds_read_b32 v97, v97
	v_add_u32_e32 v95, -1, v95
	s_add_i32 s14, s14, 4
	v_cmp_eq_u32_e32 vcc, 0, v95
	v_add_u32_e32 v94, 4, v94
	s_or_b64 s[6:7], vcc, s[6:7]
	s_waitcnt vmcnt(0) lgkmcnt(0)
	v_fmac_f32_e32 v93, v96, v97
	s_andn2_b64 exec, exec, s[6:7]
	s_cbranch_execnz .LBB40_253
; %bb.254:
	s_or_b64 exec, exec, s[6:7]
.LBB40_255:
	s_or_b64 exec, exec, s[12:13]
	v_mov_b32_e32 v94, 0
	ds_read_b32 v94, v94 offset:56
	s_waitcnt lgkmcnt(0)
	v_mul_f32_e32 v93, v93, v94
	buffer_store_dword v93, off, s[0:3], 0 offset:56
.LBB40_256:
	s_or_b64 exec, exec, s[8:9]
	buffer_load_dword v93, off, s[0:3], 0 offset:52
	v_cmp_lt_u32_e64 s[6:7], 13, v0
	s_waitcnt vmcnt(0)
	ds_write_b32 v84, v93
	s_waitcnt lgkmcnt(0)
	; wave barrier
	s_waitcnt lgkmcnt(0)
	s_and_saveexec_b64 s[8:9], s[6:7]
	s_cbranch_execz .LBB40_266
; %bb.257:
	s_andn2_b64 vcc, exec, s[10:11]
	s_cbranch_vccnz .LBB40_259
; %bb.258:
	buffer_load_dword v93, v85, s[0:3], 0 offen
	ds_read_b32 v94, v84
	s_waitcnt vmcnt(0) lgkmcnt(0)
	v_mul_f32_e32 v93, v93, v94
	s_cbranch_execz .LBB40_260
	s_branch .LBB40_261
.LBB40_259:
                                        ; implicit-def: $vgpr93
.LBB40_260:
	ds_read_b32 v93, v84
.LBB40_261:
	s_and_saveexec_b64 s[12:13], s[4:5]
	s_cbranch_execz .LBB40_265
; %bb.262:
	v_add_u32_e32 v94, -14, v0
	s_movk_i32 s14, 0xe8
	s_mov_b64 s[4:5], 0
.LBB40_263:                             ; =>This Inner Loop Header: Depth=1
	buffer_load_dword v95, v92, s[0:3], 0 offen
	v_mov_b32_e32 v96, s14
	ds_read_b32 v96, v96
	v_add_u32_e32 v94, -1, v94
	s_add_i32 s14, s14, 4
	v_cmp_eq_u32_e32 vcc, 0, v94
	v_add_u32_e32 v92, 4, v92
	s_or_b64 s[4:5], vcc, s[4:5]
	s_waitcnt vmcnt(0) lgkmcnt(0)
	v_fmac_f32_e32 v93, v95, v96
	s_andn2_b64 exec, exec, s[4:5]
	s_cbranch_execnz .LBB40_263
; %bb.264:
	s_or_b64 exec, exec, s[4:5]
.LBB40_265:
	s_or_b64 exec, exec, s[12:13]
	v_mov_b32_e32 v92, 0
	ds_read_b32 v92, v92 offset:52
	s_waitcnt lgkmcnt(0)
	v_mul_f32_e32 v92, v93, v92
	buffer_store_dword v92, off, s[0:3], 0 offset:52
.LBB40_266:
	s_or_b64 exec, exec, s[8:9]
	buffer_load_dword v92, off, s[0:3], 0 offset:48
	v_cmp_lt_u32_e64 s[4:5], 12, v0
	s_waitcnt vmcnt(0)
	ds_write_b32 v84, v92
	s_waitcnt lgkmcnt(0)
	; wave barrier
	s_waitcnt lgkmcnt(0)
	s_and_saveexec_b64 s[8:9], s[4:5]
	s_cbranch_execz .LBB40_276
; %bb.267:
	s_andn2_b64 vcc, exec, s[10:11]
	s_cbranch_vccnz .LBB40_269
; %bb.268:
	buffer_load_dword v92, v85, s[0:3], 0 offen
	ds_read_b32 v93, v84
	s_waitcnt vmcnt(0) lgkmcnt(0)
	v_mul_f32_e32 v92, v92, v93
	s_cbranch_execz .LBB40_270
	s_branch .LBB40_271
.LBB40_269:
                                        ; implicit-def: $vgpr92
.LBB40_270:
	ds_read_b32 v92, v84
.LBB40_271:
	s_and_saveexec_b64 s[12:13], s[6:7]
	s_cbranch_execz .LBB40_275
; %bb.272:
	v_mov_b32_e32 v93, 0
	v_add_u32_e32 v93, 52, v93
	v_add_u32_e32 v94, -13, v0
	s_movk_i32 s14, 0xe4
	s_mov_b64 s[6:7], 0
.LBB40_273:                             ; =>This Inner Loop Header: Depth=1
	buffer_load_dword v95, v93, s[0:3], 0 offen
	v_mov_b32_e32 v96, s14
	ds_read_b32 v96, v96
	v_add_u32_e32 v94, -1, v94
	s_add_i32 s14, s14, 4
	v_cmp_eq_u32_e32 vcc, 0, v94
	v_add_u32_e32 v93, 4, v93
	s_or_b64 s[6:7], vcc, s[6:7]
	s_waitcnt vmcnt(0) lgkmcnt(0)
	v_fmac_f32_e32 v92, v95, v96
	s_andn2_b64 exec, exec, s[6:7]
	s_cbranch_execnz .LBB40_273
; %bb.274:
	s_or_b64 exec, exec, s[6:7]
.LBB40_275:
	s_or_b64 exec, exec, s[12:13]
	v_mov_b32_e32 v93, 0
	ds_read_b32 v93, v93 offset:48
	s_waitcnt lgkmcnt(0)
	v_mul_f32_e32 v92, v92, v93
	buffer_store_dword v92, off, s[0:3], 0 offset:48
.LBB40_276:
	s_or_b64 exec, exec, s[8:9]
	buffer_load_dword v92, off, s[0:3], 0 offset:44
	v_cmp_lt_u32_e64 s[6:7], 11, v0
	s_waitcnt vmcnt(0)
	ds_write_b32 v84, v92
	s_waitcnt lgkmcnt(0)
	; wave barrier
	s_waitcnt lgkmcnt(0)
	s_and_saveexec_b64 s[8:9], s[6:7]
	s_cbranch_execz .LBB40_286
; %bb.277:
	s_andn2_b64 vcc, exec, s[10:11]
	s_cbranch_vccnz .LBB40_279
; %bb.278:
	buffer_load_dword v92, v85, s[0:3], 0 offen
	ds_read_b32 v93, v84
	s_waitcnt vmcnt(0) lgkmcnt(0)
	v_mul_f32_e32 v92, v92, v93
	s_cbranch_execz .LBB40_280
	s_branch .LBB40_281
.LBB40_279:
                                        ; implicit-def: $vgpr92
.LBB40_280:
	ds_read_b32 v92, v84
.LBB40_281:
	s_and_saveexec_b64 s[12:13], s[4:5]
	s_cbranch_execz .LBB40_285
; %bb.282:
	v_add_u32_e32 v93, -12, v0
	s_movk_i32 s14, 0xe0
	s_mov_b64 s[4:5], 0
.LBB40_283:                             ; =>This Inner Loop Header: Depth=1
	buffer_load_dword v94, v91, s[0:3], 0 offen
	v_mov_b32_e32 v95, s14
	ds_read_b32 v95, v95
	v_add_u32_e32 v93, -1, v93
	s_add_i32 s14, s14, 4
	v_cmp_eq_u32_e32 vcc, 0, v93
	v_add_u32_e32 v91, 4, v91
	s_or_b64 s[4:5], vcc, s[4:5]
	s_waitcnt vmcnt(0) lgkmcnt(0)
	v_fmac_f32_e32 v92, v94, v95
	s_andn2_b64 exec, exec, s[4:5]
	s_cbranch_execnz .LBB40_283
; %bb.284:
	s_or_b64 exec, exec, s[4:5]
.LBB40_285:
	s_or_b64 exec, exec, s[12:13]
	v_mov_b32_e32 v91, 0
	ds_read_b32 v91, v91 offset:44
	s_waitcnt lgkmcnt(0)
	v_mul_f32_e32 v91, v92, v91
	buffer_store_dword v91, off, s[0:3], 0 offset:44
.LBB40_286:
	s_or_b64 exec, exec, s[8:9]
	buffer_load_dword v91, off, s[0:3], 0 offset:40
	v_cmp_lt_u32_e64 s[4:5], 10, v0
	s_waitcnt vmcnt(0)
	ds_write_b32 v84, v91
	s_waitcnt lgkmcnt(0)
	; wave barrier
	s_waitcnt lgkmcnt(0)
	s_and_saveexec_b64 s[8:9], s[4:5]
	s_cbranch_execz .LBB40_296
; %bb.287:
	s_andn2_b64 vcc, exec, s[10:11]
	s_cbranch_vccnz .LBB40_289
; %bb.288:
	buffer_load_dword v91, v85, s[0:3], 0 offen
	ds_read_b32 v92, v84
	s_waitcnt vmcnt(0) lgkmcnt(0)
	v_mul_f32_e32 v91, v91, v92
	s_cbranch_execz .LBB40_290
	s_branch .LBB40_291
.LBB40_289:
                                        ; implicit-def: $vgpr91
.LBB40_290:
	ds_read_b32 v91, v84
.LBB40_291:
	s_and_saveexec_b64 s[12:13], s[6:7]
	s_cbranch_execz .LBB40_295
; %bb.292:
	v_mov_b32_e32 v92, 0
	v_add_u32_e32 v92, 44, v92
	v_add_u32_e32 v93, -11, v0
	s_movk_i32 s14, 0xdc
	s_mov_b64 s[6:7], 0
.LBB40_293:                             ; =>This Inner Loop Header: Depth=1
	buffer_load_dword v94, v92, s[0:3], 0 offen
	v_mov_b32_e32 v95, s14
	ds_read_b32 v95, v95
	v_add_u32_e32 v93, -1, v93
	s_add_i32 s14, s14, 4
	v_cmp_eq_u32_e32 vcc, 0, v93
	v_add_u32_e32 v92, 4, v92
	s_or_b64 s[6:7], vcc, s[6:7]
	s_waitcnt vmcnt(0) lgkmcnt(0)
	v_fmac_f32_e32 v91, v94, v95
	s_andn2_b64 exec, exec, s[6:7]
	s_cbranch_execnz .LBB40_293
; %bb.294:
	s_or_b64 exec, exec, s[6:7]
.LBB40_295:
	s_or_b64 exec, exec, s[12:13]
	v_mov_b32_e32 v92, 0
	ds_read_b32 v92, v92 offset:40
	s_waitcnt lgkmcnt(0)
	v_mul_f32_e32 v91, v91, v92
	buffer_store_dword v91, off, s[0:3], 0 offset:40
.LBB40_296:
	s_or_b64 exec, exec, s[8:9]
	buffer_load_dword v91, off, s[0:3], 0 offset:36
	v_cmp_lt_u32_e64 s[6:7], 9, v0
	s_waitcnt vmcnt(0)
	ds_write_b32 v84, v91
	s_waitcnt lgkmcnt(0)
	; wave barrier
	s_waitcnt lgkmcnt(0)
	s_and_saveexec_b64 s[8:9], s[6:7]
	s_cbranch_execz .LBB40_306
; %bb.297:
	s_andn2_b64 vcc, exec, s[10:11]
	s_cbranch_vccnz .LBB40_299
; %bb.298:
	buffer_load_dword v91, v85, s[0:3], 0 offen
	ds_read_b32 v92, v84
	s_waitcnt vmcnt(0) lgkmcnt(0)
	v_mul_f32_e32 v91, v91, v92
	s_cbranch_execz .LBB40_300
	s_branch .LBB40_301
.LBB40_299:
                                        ; implicit-def: $vgpr91
.LBB40_300:
	ds_read_b32 v91, v84
.LBB40_301:
	s_and_saveexec_b64 s[12:13], s[4:5]
	s_cbranch_execz .LBB40_305
; %bb.302:
	v_add_u32_e32 v92, -10, v0
	s_movk_i32 s14, 0xd8
	s_mov_b64 s[4:5], 0
.LBB40_303:                             ; =>This Inner Loop Header: Depth=1
	buffer_load_dword v93, v90, s[0:3], 0 offen
	v_mov_b32_e32 v94, s14
	ds_read_b32 v94, v94
	v_add_u32_e32 v92, -1, v92
	s_add_i32 s14, s14, 4
	v_cmp_eq_u32_e32 vcc, 0, v92
	v_add_u32_e32 v90, 4, v90
	s_or_b64 s[4:5], vcc, s[4:5]
	s_waitcnt vmcnt(0) lgkmcnt(0)
	v_fmac_f32_e32 v91, v93, v94
	s_andn2_b64 exec, exec, s[4:5]
	s_cbranch_execnz .LBB40_303
; %bb.304:
	s_or_b64 exec, exec, s[4:5]
.LBB40_305:
	s_or_b64 exec, exec, s[12:13]
	v_mov_b32_e32 v90, 0
	ds_read_b32 v90, v90 offset:36
	s_waitcnt lgkmcnt(0)
	v_mul_f32_e32 v90, v91, v90
	buffer_store_dword v90, off, s[0:3], 0 offset:36
.LBB40_306:
	s_or_b64 exec, exec, s[8:9]
	buffer_load_dword v90, off, s[0:3], 0 offset:32
	v_cmp_lt_u32_e64 s[4:5], 8, v0
	s_waitcnt vmcnt(0)
	ds_write_b32 v84, v90
	s_waitcnt lgkmcnt(0)
	; wave barrier
	s_waitcnt lgkmcnt(0)
	s_and_saveexec_b64 s[8:9], s[4:5]
	s_cbranch_execz .LBB40_316
; %bb.307:
	s_andn2_b64 vcc, exec, s[10:11]
	s_cbranch_vccnz .LBB40_309
; %bb.308:
	buffer_load_dword v90, v85, s[0:3], 0 offen
	ds_read_b32 v91, v84
	s_waitcnt vmcnt(0) lgkmcnt(0)
	v_mul_f32_e32 v90, v90, v91
	s_cbranch_execz .LBB40_310
	s_branch .LBB40_311
.LBB40_309:
                                        ; implicit-def: $vgpr90
.LBB40_310:
	ds_read_b32 v90, v84
.LBB40_311:
	s_and_saveexec_b64 s[12:13], s[6:7]
	s_cbranch_execz .LBB40_315
; %bb.312:
	v_mov_b32_e32 v91, 0
	v_add_u32_e32 v91, 36, v91
	v_add_u32_e32 v92, -9, v0
	s_movk_i32 s14, 0xd4
	s_mov_b64 s[6:7], 0
.LBB40_313:                             ; =>This Inner Loop Header: Depth=1
	buffer_load_dword v93, v91, s[0:3], 0 offen
	v_mov_b32_e32 v94, s14
	ds_read_b32 v94, v94
	v_add_u32_e32 v92, -1, v92
	s_add_i32 s14, s14, 4
	v_cmp_eq_u32_e32 vcc, 0, v92
	v_add_u32_e32 v91, 4, v91
	s_or_b64 s[6:7], vcc, s[6:7]
	s_waitcnt vmcnt(0) lgkmcnt(0)
	v_fmac_f32_e32 v90, v93, v94
	s_andn2_b64 exec, exec, s[6:7]
	s_cbranch_execnz .LBB40_313
; %bb.314:
	s_or_b64 exec, exec, s[6:7]
.LBB40_315:
	s_or_b64 exec, exec, s[12:13]
	v_mov_b32_e32 v91, 0
	ds_read_b32 v91, v91 offset:32
	s_waitcnt lgkmcnt(0)
	v_mul_f32_e32 v90, v90, v91
	buffer_store_dword v90, off, s[0:3], 0 offset:32
.LBB40_316:
	s_or_b64 exec, exec, s[8:9]
	buffer_load_dword v90, off, s[0:3], 0 offset:28
	v_cmp_lt_u32_e64 s[6:7], 7, v0
	s_waitcnt vmcnt(0)
	ds_write_b32 v84, v90
	s_waitcnt lgkmcnt(0)
	; wave barrier
	s_waitcnt lgkmcnt(0)
	s_and_saveexec_b64 s[8:9], s[6:7]
	s_cbranch_execz .LBB40_326
; %bb.317:
	s_andn2_b64 vcc, exec, s[10:11]
	s_cbranch_vccnz .LBB40_319
; %bb.318:
	buffer_load_dword v90, v85, s[0:3], 0 offen
	ds_read_b32 v91, v84
	s_waitcnt vmcnt(0) lgkmcnt(0)
	v_mul_f32_e32 v90, v90, v91
	s_cbranch_execz .LBB40_320
	s_branch .LBB40_321
.LBB40_319:
                                        ; implicit-def: $vgpr90
.LBB40_320:
	ds_read_b32 v90, v84
.LBB40_321:
	s_and_saveexec_b64 s[12:13], s[4:5]
	s_cbranch_execz .LBB40_325
; %bb.322:
	v_add_u32_e32 v91, -8, v0
	s_movk_i32 s14, 0xd0
	s_mov_b64 s[4:5], 0
.LBB40_323:                             ; =>This Inner Loop Header: Depth=1
	buffer_load_dword v92, v89, s[0:3], 0 offen
	v_mov_b32_e32 v93, s14
	ds_read_b32 v93, v93
	v_add_u32_e32 v91, -1, v91
	s_add_i32 s14, s14, 4
	v_cmp_eq_u32_e32 vcc, 0, v91
	v_add_u32_e32 v89, 4, v89
	s_or_b64 s[4:5], vcc, s[4:5]
	s_waitcnt vmcnt(0) lgkmcnt(0)
	v_fmac_f32_e32 v90, v92, v93
	s_andn2_b64 exec, exec, s[4:5]
	s_cbranch_execnz .LBB40_323
; %bb.324:
	s_or_b64 exec, exec, s[4:5]
.LBB40_325:
	s_or_b64 exec, exec, s[12:13]
	v_mov_b32_e32 v89, 0
	ds_read_b32 v89, v89 offset:28
	s_waitcnt lgkmcnt(0)
	v_mul_f32_e32 v89, v90, v89
	buffer_store_dword v89, off, s[0:3], 0 offset:28
.LBB40_326:
	s_or_b64 exec, exec, s[8:9]
	buffer_load_dword v89, off, s[0:3], 0 offset:24
	v_cmp_lt_u32_e64 s[4:5], 6, v0
	s_waitcnt vmcnt(0)
	ds_write_b32 v84, v89
	s_waitcnt lgkmcnt(0)
	; wave barrier
	s_waitcnt lgkmcnt(0)
	s_and_saveexec_b64 s[8:9], s[4:5]
	s_cbranch_execz .LBB40_336
; %bb.327:
	s_andn2_b64 vcc, exec, s[10:11]
	s_cbranch_vccnz .LBB40_329
; %bb.328:
	buffer_load_dword v89, v85, s[0:3], 0 offen
	ds_read_b32 v90, v84
	s_waitcnt vmcnt(0) lgkmcnt(0)
	v_mul_f32_e32 v89, v89, v90
	s_cbranch_execz .LBB40_330
	s_branch .LBB40_331
.LBB40_329:
                                        ; implicit-def: $vgpr89
.LBB40_330:
	ds_read_b32 v89, v84
.LBB40_331:
	s_and_saveexec_b64 s[12:13], s[6:7]
	s_cbranch_execz .LBB40_335
; %bb.332:
	v_mov_b32_e32 v90, 0
	v_add_u32_e32 v90, 28, v90
	v_add_u32_e32 v91, -7, v0
	s_movk_i32 s14, 0xcc
	s_mov_b64 s[6:7], 0
.LBB40_333:                             ; =>This Inner Loop Header: Depth=1
	buffer_load_dword v92, v90, s[0:3], 0 offen
	v_mov_b32_e32 v93, s14
	ds_read_b32 v93, v93
	v_add_u32_e32 v91, -1, v91
	s_add_i32 s14, s14, 4
	v_cmp_eq_u32_e32 vcc, 0, v91
	v_add_u32_e32 v90, 4, v90
	s_or_b64 s[6:7], vcc, s[6:7]
	s_waitcnt vmcnt(0) lgkmcnt(0)
	v_fmac_f32_e32 v89, v92, v93
	s_andn2_b64 exec, exec, s[6:7]
	s_cbranch_execnz .LBB40_333
; %bb.334:
	s_or_b64 exec, exec, s[6:7]
.LBB40_335:
	s_or_b64 exec, exec, s[12:13]
	v_mov_b32_e32 v90, 0
	ds_read_b32 v90, v90 offset:24
	s_waitcnt lgkmcnt(0)
	v_mul_f32_e32 v89, v89, v90
	buffer_store_dword v89, off, s[0:3], 0 offset:24
.LBB40_336:
	s_or_b64 exec, exec, s[8:9]
	buffer_load_dword v89, off, s[0:3], 0 offset:20
	v_cmp_lt_u32_e64 s[6:7], 5, v0
	s_waitcnt vmcnt(0)
	ds_write_b32 v84, v89
	s_waitcnt lgkmcnt(0)
	; wave barrier
	s_waitcnt lgkmcnt(0)
	s_and_saveexec_b64 s[8:9], s[6:7]
	s_cbranch_execz .LBB40_346
; %bb.337:
	s_andn2_b64 vcc, exec, s[10:11]
	s_cbranch_vccnz .LBB40_339
; %bb.338:
	buffer_load_dword v89, v85, s[0:3], 0 offen
	ds_read_b32 v90, v84
	s_waitcnt vmcnt(0) lgkmcnt(0)
	v_mul_f32_e32 v89, v89, v90
	s_cbranch_execz .LBB40_340
	s_branch .LBB40_341
.LBB40_339:
                                        ; implicit-def: $vgpr89
.LBB40_340:
	ds_read_b32 v89, v84
.LBB40_341:
	s_and_saveexec_b64 s[12:13], s[4:5]
	s_cbranch_execz .LBB40_345
; %bb.342:
	v_add_u32_e32 v90, -6, v0
	s_movk_i32 s14, 0xc8
	s_mov_b64 s[4:5], 0
.LBB40_343:                             ; =>This Inner Loop Header: Depth=1
	buffer_load_dword v91, v88, s[0:3], 0 offen
	v_mov_b32_e32 v92, s14
	ds_read_b32 v92, v92
	v_add_u32_e32 v90, -1, v90
	s_add_i32 s14, s14, 4
	v_cmp_eq_u32_e32 vcc, 0, v90
	v_add_u32_e32 v88, 4, v88
	s_or_b64 s[4:5], vcc, s[4:5]
	s_waitcnt vmcnt(0) lgkmcnt(0)
	v_fmac_f32_e32 v89, v91, v92
	s_andn2_b64 exec, exec, s[4:5]
	s_cbranch_execnz .LBB40_343
; %bb.344:
	s_or_b64 exec, exec, s[4:5]
.LBB40_345:
	s_or_b64 exec, exec, s[12:13]
	v_mov_b32_e32 v88, 0
	ds_read_b32 v88, v88 offset:20
	s_waitcnt lgkmcnt(0)
	v_mul_f32_e32 v88, v89, v88
	buffer_store_dword v88, off, s[0:3], 0 offset:20
.LBB40_346:
	s_or_b64 exec, exec, s[8:9]
	buffer_load_dword v88, off, s[0:3], 0 offset:16
	v_cmp_lt_u32_e64 s[4:5], 4, v0
	s_waitcnt vmcnt(0)
	ds_write_b32 v84, v88
	s_waitcnt lgkmcnt(0)
	; wave barrier
	s_waitcnt lgkmcnt(0)
	s_and_saveexec_b64 s[8:9], s[4:5]
	s_cbranch_execz .LBB40_356
; %bb.347:
	s_andn2_b64 vcc, exec, s[10:11]
	s_cbranch_vccnz .LBB40_349
; %bb.348:
	buffer_load_dword v88, v85, s[0:3], 0 offen
	ds_read_b32 v89, v84
	s_waitcnt vmcnt(0) lgkmcnt(0)
	v_mul_f32_e32 v88, v88, v89
	s_cbranch_execz .LBB40_350
	s_branch .LBB40_351
.LBB40_349:
                                        ; implicit-def: $vgpr88
.LBB40_350:
	ds_read_b32 v88, v84
.LBB40_351:
	s_and_saveexec_b64 s[12:13], s[6:7]
	s_cbranch_execz .LBB40_355
; %bb.352:
	v_mov_b32_e32 v89, 0
	v_add_u32_e32 v89, 20, v89
	v_add_u32_e32 v90, -5, v0
	s_movk_i32 s14, 0xc4
	s_mov_b64 s[6:7], 0
.LBB40_353:                             ; =>This Inner Loop Header: Depth=1
	buffer_load_dword v91, v89, s[0:3], 0 offen
	v_mov_b32_e32 v92, s14
	ds_read_b32 v92, v92
	v_add_u32_e32 v90, -1, v90
	s_add_i32 s14, s14, 4
	v_cmp_eq_u32_e32 vcc, 0, v90
	v_add_u32_e32 v89, 4, v89
	s_or_b64 s[6:7], vcc, s[6:7]
	s_waitcnt vmcnt(0) lgkmcnt(0)
	v_fmac_f32_e32 v88, v91, v92
	s_andn2_b64 exec, exec, s[6:7]
	s_cbranch_execnz .LBB40_353
; %bb.354:
	s_or_b64 exec, exec, s[6:7]
.LBB40_355:
	s_or_b64 exec, exec, s[12:13]
	v_mov_b32_e32 v89, 0
	ds_read_b32 v89, v89 offset:16
	s_waitcnt lgkmcnt(0)
	v_mul_f32_e32 v88, v88, v89
	buffer_store_dword v88, off, s[0:3], 0 offset:16
.LBB40_356:
	s_or_b64 exec, exec, s[8:9]
	buffer_load_dword v88, off, s[0:3], 0 offset:12
	v_cmp_lt_u32_e64 s[6:7], 3, v0
	s_waitcnt vmcnt(0)
	ds_write_b32 v84, v88
	s_waitcnt lgkmcnt(0)
	; wave barrier
	s_waitcnt lgkmcnt(0)
	s_and_saveexec_b64 s[8:9], s[6:7]
	s_cbranch_execz .LBB40_366
; %bb.357:
	s_andn2_b64 vcc, exec, s[10:11]
	s_cbranch_vccnz .LBB40_359
; %bb.358:
	buffer_load_dword v88, v85, s[0:3], 0 offen
	ds_read_b32 v89, v84
	s_waitcnt vmcnt(0) lgkmcnt(0)
	v_mul_f32_e32 v88, v88, v89
	s_cbranch_execz .LBB40_360
	s_branch .LBB40_361
.LBB40_359:
                                        ; implicit-def: $vgpr88
.LBB40_360:
	ds_read_b32 v88, v84
.LBB40_361:
	s_and_saveexec_b64 s[12:13], s[4:5]
	s_cbranch_execz .LBB40_365
; %bb.362:
	v_add_u32_e32 v89, -4, v0
	s_movk_i32 s14, 0xc0
	s_mov_b64 s[4:5], 0
.LBB40_363:                             ; =>This Inner Loop Header: Depth=1
	buffer_load_dword v90, v87, s[0:3], 0 offen
	v_mov_b32_e32 v91, s14
	ds_read_b32 v91, v91
	v_add_u32_e32 v89, -1, v89
	s_add_i32 s14, s14, 4
	v_cmp_eq_u32_e32 vcc, 0, v89
	v_add_u32_e32 v87, 4, v87
	s_or_b64 s[4:5], vcc, s[4:5]
	s_waitcnt vmcnt(0) lgkmcnt(0)
	v_fmac_f32_e32 v88, v90, v91
	s_andn2_b64 exec, exec, s[4:5]
	s_cbranch_execnz .LBB40_363
; %bb.364:
	s_or_b64 exec, exec, s[4:5]
.LBB40_365:
	s_or_b64 exec, exec, s[12:13]
	v_mov_b32_e32 v87, 0
	ds_read_b32 v87, v87 offset:12
	s_waitcnt lgkmcnt(0)
	v_mul_f32_e32 v87, v88, v87
	buffer_store_dword v87, off, s[0:3], 0 offset:12
.LBB40_366:
	s_or_b64 exec, exec, s[8:9]
	buffer_load_dword v87, off, s[0:3], 0 offset:8
	v_cmp_lt_u32_e64 s[4:5], 2, v0
	s_waitcnt vmcnt(0)
	ds_write_b32 v84, v87
	s_waitcnt lgkmcnt(0)
	; wave barrier
	s_waitcnt lgkmcnt(0)
	s_and_saveexec_b64 s[8:9], s[4:5]
	s_cbranch_execz .LBB40_376
; %bb.367:
	s_andn2_b64 vcc, exec, s[10:11]
	s_cbranch_vccnz .LBB40_369
; %bb.368:
	buffer_load_dword v87, v85, s[0:3], 0 offen
	ds_read_b32 v88, v84
	s_waitcnt vmcnt(0) lgkmcnt(0)
	v_mul_f32_e32 v87, v87, v88
	s_cbranch_execz .LBB40_370
	s_branch .LBB40_371
.LBB40_369:
                                        ; implicit-def: $vgpr87
.LBB40_370:
	ds_read_b32 v87, v84
.LBB40_371:
	s_and_saveexec_b64 s[12:13], s[6:7]
	s_cbranch_execz .LBB40_375
; %bb.372:
	v_mov_b32_e32 v88, 0
	v_or_b32_e32 v88, 12, v88
	v_add_u32_e32 v89, -3, v0
	s_movk_i32 s14, 0xbc
	s_mov_b64 s[6:7], 0
.LBB40_373:                             ; =>This Inner Loop Header: Depth=1
	buffer_load_dword v90, v88, s[0:3], 0 offen
	v_mov_b32_e32 v91, s14
	ds_read_b32 v91, v91
	v_add_u32_e32 v89, -1, v89
	s_add_i32 s14, s14, 4
	v_cmp_eq_u32_e32 vcc, 0, v89
	v_add_u32_e32 v88, 4, v88
	s_or_b64 s[6:7], vcc, s[6:7]
	s_waitcnt vmcnt(0) lgkmcnt(0)
	v_fmac_f32_e32 v87, v90, v91
	s_andn2_b64 exec, exec, s[6:7]
	s_cbranch_execnz .LBB40_373
; %bb.374:
	s_or_b64 exec, exec, s[6:7]
.LBB40_375:
	s_or_b64 exec, exec, s[12:13]
	v_mov_b32_e32 v88, 0
	ds_read_b32 v88, v88 offset:8
	s_waitcnt lgkmcnt(0)
	v_mul_f32_e32 v87, v87, v88
	buffer_store_dword v87, off, s[0:3], 0 offset:8
.LBB40_376:
	s_or_b64 exec, exec, s[8:9]
	buffer_load_dword v87, off, s[0:3], 0 offset:4
	v_cmp_lt_u32_e64 s[6:7], 1, v0
	s_waitcnt vmcnt(0)
	ds_write_b32 v84, v87
	s_waitcnt lgkmcnt(0)
	; wave barrier
	s_waitcnt lgkmcnt(0)
	s_and_saveexec_b64 s[8:9], s[6:7]
	s_cbranch_execz .LBB40_386
; %bb.377:
	s_andn2_b64 vcc, exec, s[10:11]
	s_cbranch_vccnz .LBB40_379
; %bb.378:
	buffer_load_dword v87, v85, s[0:3], 0 offen
	ds_read_b32 v88, v84
	s_waitcnt vmcnt(0) lgkmcnt(0)
	v_mul_f32_e32 v87, v87, v88
	s_cbranch_execz .LBB40_380
	s_branch .LBB40_381
.LBB40_379:
                                        ; implicit-def: $vgpr87
.LBB40_380:
	ds_read_b32 v87, v84
.LBB40_381:
	s_and_saveexec_b64 s[12:13], s[4:5]
	s_cbranch_execz .LBB40_385
; %bb.382:
	v_add_u32_e32 v88, -2, v0
	s_movk_i32 s14, 0xb8
	s_mov_b64 s[4:5], 0
.LBB40_383:                             ; =>This Inner Loop Header: Depth=1
	buffer_load_dword v89, v86, s[0:3], 0 offen
	v_mov_b32_e32 v90, s14
	ds_read_b32 v90, v90
	v_add_u32_e32 v88, -1, v88
	s_add_i32 s14, s14, 4
	v_cmp_eq_u32_e32 vcc, 0, v88
	v_add_u32_e32 v86, 4, v86
	s_or_b64 s[4:5], vcc, s[4:5]
	s_waitcnt vmcnt(0) lgkmcnt(0)
	v_fmac_f32_e32 v87, v89, v90
	s_andn2_b64 exec, exec, s[4:5]
	s_cbranch_execnz .LBB40_383
; %bb.384:
	s_or_b64 exec, exec, s[4:5]
.LBB40_385:
	s_or_b64 exec, exec, s[12:13]
	v_mov_b32_e32 v86, 0
	ds_read_b32 v86, v86 offset:4
	s_waitcnt lgkmcnt(0)
	v_mul_f32_e32 v86, v87, v86
	buffer_store_dword v86, off, s[0:3], 0 offset:4
.LBB40_386:
	s_or_b64 exec, exec, s[8:9]
	buffer_load_dword v86, off, s[0:3], 0
	v_cmp_ne_u32_e32 vcc, 0, v0
	s_waitcnt vmcnt(0)
	ds_write_b32 v84, v86
	s_waitcnt lgkmcnt(0)
	; wave barrier
	s_waitcnt lgkmcnt(0)
	s_and_saveexec_b64 s[4:5], vcc
	s_cbranch_execz .LBB40_396
; %bb.387:
	s_andn2_b64 vcc, exec, s[10:11]
	s_cbranch_vccnz .LBB40_389
; %bb.388:
	buffer_load_dword v86, v85, s[0:3], 0 offen
	ds_read_b32 v87, v84
	s_waitcnt vmcnt(0) lgkmcnt(0)
	v_mul_f32_e32 v86, v86, v87
	s_cbranch_execz .LBB40_390
	s_branch .LBB40_391
.LBB40_389:
                                        ; implicit-def: $vgpr86
.LBB40_390:
	ds_read_b32 v86, v84
.LBB40_391:
	s_and_saveexec_b64 s[8:9], s[6:7]
	s_cbranch_execz .LBB40_395
; %bb.392:
	v_mov_b32_e32 v87, 0
	v_or_b32_e32 v87, 4, v87
	v_add_u32_e32 v88, -1, v0
	s_movk_i32 s12, 0xb4
	s_mov_b64 s[6:7], 0
.LBB40_393:                             ; =>This Inner Loop Header: Depth=1
	buffer_load_dword v89, v87, s[0:3], 0 offen
	v_mov_b32_e32 v90, s12
	ds_read_b32 v90, v90
	v_add_u32_e32 v88, -1, v88
	s_add_i32 s12, s12, 4
	v_cmp_eq_u32_e32 vcc, 0, v88
	v_add_u32_e32 v87, 4, v87
	s_or_b64 s[6:7], vcc, s[6:7]
	s_waitcnt vmcnt(0) lgkmcnt(0)
	v_fmac_f32_e32 v86, v89, v90
	s_andn2_b64 exec, exec, s[6:7]
	s_cbranch_execnz .LBB40_393
; %bb.394:
	s_or_b64 exec, exec, s[6:7]
.LBB40_395:
	s_or_b64 exec, exec, s[8:9]
	v_mov_b32_e32 v87, 0
	ds_read_b32 v87, v87
	s_waitcnt lgkmcnt(0)
	v_mul_f32_e32 v86, v86, v87
	buffer_store_dword v86, off, s[0:3], 0
.LBB40_396:
	s_or_b64 exec, exec, s[4:5]
	s_mov_b64 s[4:5], 0
.LBB40_397:
	s_and_b64 vcc, exec, s[4:5]
	s_cbranch_vccz .LBB40_791
; %bb.398:
	buffer_load_dword v86, off, s[0:3], 0 offset:4
	v_cmp_eq_u32_e64 s[6:7], 0, v0
	s_waitcnt vmcnt(0)
	ds_write_b32 v84, v86
	s_waitcnt lgkmcnt(0)
	; wave barrier
	s_waitcnt lgkmcnt(0)
	s_and_saveexec_b64 s[4:5], s[6:7]
	s_cbranch_execz .LBB40_404
; %bb.399:
	s_and_b64 vcc, exec, s[10:11]
	s_cbranch_vccz .LBB40_401
; %bb.400:
	buffer_load_dword v86, v85, s[0:3], 0 offen
	ds_read_b32 v87, v84
	s_waitcnt vmcnt(0) lgkmcnt(0)
	v_mul_f32_e32 v86, v86, v87
	s_cbranch_execz .LBB40_402
	s_branch .LBB40_403
.LBB40_401:
                                        ; implicit-def: $vgpr86
.LBB40_402:
	ds_read_b32 v86, v84
.LBB40_403:
	v_mov_b32_e32 v87, 0
	ds_read_b32 v87, v87 offset:4
	s_waitcnt lgkmcnt(0)
	v_mul_f32_e32 v86, v86, v87
	buffer_store_dword v86, off, s[0:3], 0 offset:4
.LBB40_404:
	s_or_b64 exec, exec, s[4:5]
	buffer_load_dword v86, off, s[0:3], 0 offset:8
	v_cndmask_b32_e64 v87, 0, 1, s[10:11]
	v_cmp_gt_u32_e32 vcc, 2, v0
	v_cmp_ne_u32_e64 s[4:5], 1, v87
	s_waitcnt vmcnt(0)
	ds_write_b32 v84, v86
	s_waitcnt lgkmcnt(0)
	; wave barrier
	s_waitcnt lgkmcnt(0)
	s_and_saveexec_b64 s[8:9], vcc
	s_cbranch_execz .LBB40_412
; %bb.405:
	s_and_b64 vcc, exec, s[4:5]
	s_cbranch_vccnz .LBB40_407
; %bb.406:
	buffer_load_dword v86, v85, s[0:3], 0 offen
	ds_read_b32 v87, v84
	s_waitcnt vmcnt(0) lgkmcnt(0)
	v_mul_f32_e32 v86, v86, v87
	s_cbranch_execz .LBB40_408
	s_branch .LBB40_409
.LBB40_407:
                                        ; implicit-def: $vgpr86
.LBB40_408:
	ds_read_b32 v86, v84
.LBB40_409:
	s_and_saveexec_b64 s[10:11], s[6:7]
	s_cbranch_execz .LBB40_411
; %bb.410:
	buffer_load_dword v87, v85, s[0:3], 0 offen offset:4
	ds_read_b32 v88, v84 offset:4
	s_waitcnt vmcnt(0) lgkmcnt(0)
	v_fmac_f32_e32 v86, v87, v88
.LBB40_411:
	s_or_b64 exec, exec, s[10:11]
	v_mov_b32_e32 v87, 0
	ds_read_b32 v87, v87 offset:8
	s_waitcnt lgkmcnt(0)
	v_mul_f32_e32 v86, v86, v87
	buffer_store_dword v86, off, s[0:3], 0 offset:8
.LBB40_412:
	s_or_b64 exec, exec, s[8:9]
	buffer_load_dword v86, off, s[0:3], 0 offset:12
	v_cmp_gt_u32_e32 vcc, 3, v0
	s_waitcnt vmcnt(0)
	ds_write_b32 v84, v86
	s_waitcnt lgkmcnt(0)
	; wave barrier
	s_waitcnt lgkmcnt(0)
	s_and_saveexec_b64 s[8:9], vcc
	s_cbranch_execz .LBB40_420
; %bb.413:
	s_and_b64 vcc, exec, s[4:5]
	s_cbranch_vccnz .LBB40_415
; %bb.414:
	buffer_load_dword v86, v85, s[0:3], 0 offen
	ds_read_b32 v87, v84
	s_waitcnt vmcnt(0) lgkmcnt(0)
	v_mul_f32_e32 v86, v86, v87
	s_cbranch_execz .LBB40_416
	s_branch .LBB40_417
.LBB40_415:
                                        ; implicit-def: $vgpr86
.LBB40_416:
	ds_read_b32 v86, v84
.LBB40_417:
	v_cmp_ne_u32_e32 vcc, 2, v0
	s_and_saveexec_b64 s[10:11], vcc
	s_cbranch_execz .LBB40_419
; %bb.418:
	buffer_load_dword v87, v85, s[0:3], 0 offen offset:4
	buffer_load_dword v88, off, s[0:3], 0 offset:8
	v_mov_b32_e32 v89, 0
	ds_read_b32 v90, v84 offset:4
	ds_read_b32 v89, v89 offset:184
	s_waitcnt vmcnt(1) lgkmcnt(1)
	v_fmac_f32_e32 v86, v87, v90
	s_waitcnt vmcnt(0) lgkmcnt(0)
	v_fma_f32 v87, v88, v89, v86
	v_cndmask_b32_e64 v86, v86, v87, s[6:7]
.LBB40_419:
	s_or_b64 exec, exec, s[10:11]
	v_mov_b32_e32 v87, 0
	ds_read_b32 v87, v87 offset:12
	s_waitcnt lgkmcnt(0)
	v_mul_f32_e32 v86, v86, v87
	buffer_store_dword v86, off, s[0:3], 0 offset:12
.LBB40_420:
	s_or_b64 exec, exec, s[8:9]
	buffer_load_dword v86, off, s[0:3], 0 offset:16
	v_cmp_gt_u32_e32 vcc, 4, v0
	s_waitcnt vmcnt(0)
	ds_write_b32 v84, v86
	s_waitcnt lgkmcnt(0)
	; wave barrier
	s_waitcnt lgkmcnt(0)
	s_and_saveexec_b64 s[6:7], vcc
	s_cbranch_execz .LBB40_430
; %bb.421:
	s_and_b64 vcc, exec, s[4:5]
	s_cbranch_vccnz .LBB40_423
; %bb.422:
	buffer_load_dword v86, v85, s[0:3], 0 offen
	ds_read_b32 v87, v84
	s_waitcnt vmcnt(0) lgkmcnt(0)
	v_mul_f32_e32 v86, v86, v87
	s_cbranch_execz .LBB40_424
	s_branch .LBB40_425
.LBB40_423:
                                        ; implicit-def: $vgpr86
.LBB40_424:
	ds_read_b32 v86, v84
.LBB40_425:
	v_cmp_ne_u32_e32 vcc, 3, v0
	s_and_saveexec_b64 s[8:9], vcc
	s_cbranch_execz .LBB40_429
; %bb.426:
	v_mov_b32_e32 v88, 0
	v_add_u32_e32 v87, 0xb4, v1
	v_add3_u32 v88, v1, v88, 4
	s_mov_b64 s[10:11], 0
	v_mov_b32_e32 v89, v0
.LBB40_427:                             ; =>This Inner Loop Header: Depth=1
	buffer_load_dword v90, v88, s[0:3], 0 offen
	ds_read_b32 v91, v87
	v_add_u32_e32 v89, 1, v89
	v_cmp_lt_u32_e32 vcc, 2, v89
	v_add_u32_e32 v87, 4, v87
	v_add_u32_e32 v88, 4, v88
	s_or_b64 s[10:11], vcc, s[10:11]
	s_waitcnt vmcnt(0) lgkmcnt(0)
	v_fmac_f32_e32 v86, v90, v91
	s_andn2_b64 exec, exec, s[10:11]
	s_cbranch_execnz .LBB40_427
; %bb.428:
	s_or_b64 exec, exec, s[10:11]
.LBB40_429:
	s_or_b64 exec, exec, s[8:9]
	v_mov_b32_e32 v87, 0
	ds_read_b32 v87, v87 offset:16
	s_waitcnt lgkmcnt(0)
	v_mul_f32_e32 v86, v86, v87
	buffer_store_dword v86, off, s[0:3], 0 offset:16
.LBB40_430:
	s_or_b64 exec, exec, s[6:7]
	buffer_load_dword v86, off, s[0:3], 0 offset:20
	v_cmp_gt_u32_e32 vcc, 5, v0
	s_waitcnt vmcnt(0)
	ds_write_b32 v84, v86
	s_waitcnt lgkmcnt(0)
	; wave barrier
	s_waitcnt lgkmcnt(0)
	s_and_saveexec_b64 s[6:7], vcc
	s_cbranch_execz .LBB40_440
; %bb.431:
	s_and_b64 vcc, exec, s[4:5]
	s_cbranch_vccnz .LBB40_433
; %bb.432:
	buffer_load_dword v86, v85, s[0:3], 0 offen
	ds_read_b32 v87, v84
	s_waitcnt vmcnt(0) lgkmcnt(0)
	v_mul_f32_e32 v86, v86, v87
	s_cbranch_execz .LBB40_434
	s_branch .LBB40_435
.LBB40_433:
                                        ; implicit-def: $vgpr86
.LBB40_434:
	ds_read_b32 v86, v84
.LBB40_435:
	v_cmp_ne_u32_e32 vcc, 4, v0
	s_and_saveexec_b64 s[8:9], vcc
	s_cbranch_execz .LBB40_439
; %bb.436:
	v_mov_b32_e32 v88, 0
	v_add_u32_e32 v87, 0xb4, v1
	v_add3_u32 v88, v1, v88, 4
	s_mov_b64 s[10:11], 0
	v_mov_b32_e32 v89, v0
.LBB40_437:                             ; =>This Inner Loop Header: Depth=1
	buffer_load_dword v90, v88, s[0:3], 0 offen
	ds_read_b32 v91, v87
	v_add_u32_e32 v89, 1, v89
	v_cmp_lt_u32_e32 vcc, 3, v89
	v_add_u32_e32 v87, 4, v87
	v_add_u32_e32 v88, 4, v88
	s_or_b64 s[10:11], vcc, s[10:11]
	s_waitcnt vmcnt(0) lgkmcnt(0)
	v_fmac_f32_e32 v86, v90, v91
	s_andn2_b64 exec, exec, s[10:11]
	s_cbranch_execnz .LBB40_437
; %bb.438:
	s_or_b64 exec, exec, s[10:11]
.LBB40_439:
	s_or_b64 exec, exec, s[8:9]
	v_mov_b32_e32 v87, 0
	ds_read_b32 v87, v87 offset:20
	s_waitcnt lgkmcnt(0)
	v_mul_f32_e32 v86, v86, v87
	buffer_store_dword v86, off, s[0:3], 0 offset:20
.LBB40_440:
	;; [unrolled: 56-line block ×35, first 2 shown]
	s_or_b64 exec, exec, s[6:7]
	buffer_load_dword v86, off, s[0:3], 0 offset:156
	v_cmp_gt_u32_e64 s[6:7], 39, v0
	s_waitcnt vmcnt(0)
	ds_write_b32 v84, v86
	s_waitcnt lgkmcnt(0)
	; wave barrier
	s_waitcnt lgkmcnt(0)
	s_and_saveexec_b64 s[8:9], s[6:7]
	s_cbranch_execz .LBB40_780
; %bb.771:
	s_and_b64 vcc, exec, s[4:5]
	s_cbranch_vccnz .LBB40_773
; %bb.772:
	buffer_load_dword v86, v85, s[0:3], 0 offen
	ds_read_b32 v87, v84
	s_waitcnt vmcnt(0) lgkmcnt(0)
	v_mul_f32_e32 v86, v86, v87
	s_cbranch_execz .LBB40_774
	s_branch .LBB40_775
.LBB40_773:
                                        ; implicit-def: $vgpr86
.LBB40_774:
	ds_read_b32 v86, v84
.LBB40_775:
	v_cmp_ne_u32_e32 vcc, 38, v0
	s_and_saveexec_b64 s[10:11], vcc
	s_cbranch_execz .LBB40_779
; %bb.776:
	v_mov_b32_e32 v88, 0
	v_add_u32_e32 v87, 0xb4, v1
	v_add3_u32 v88, v1, v88, 4
	s_mov_b64 s[12:13], 0
	v_mov_b32_e32 v89, v0
.LBB40_777:                             ; =>This Inner Loop Header: Depth=1
	buffer_load_dword v90, v88, s[0:3], 0 offen
	ds_read_b32 v91, v87
	v_add_u32_e32 v89, 1, v89
	v_cmp_lt_u32_e32 vcc, 37, v89
	v_add_u32_e32 v87, 4, v87
	v_add_u32_e32 v88, 4, v88
	s_or_b64 s[12:13], vcc, s[12:13]
	s_waitcnt vmcnt(0) lgkmcnt(0)
	v_fmac_f32_e32 v86, v90, v91
	s_andn2_b64 exec, exec, s[12:13]
	s_cbranch_execnz .LBB40_777
; %bb.778:
	s_or_b64 exec, exec, s[12:13]
.LBB40_779:
	s_or_b64 exec, exec, s[10:11]
	v_mov_b32_e32 v87, 0
	ds_read_b32 v87, v87 offset:156
	s_waitcnt lgkmcnt(0)
	v_mul_f32_e32 v86, v86, v87
	buffer_store_dword v86, off, s[0:3], 0 offset:156
.LBB40_780:
	s_or_b64 exec, exec, s[8:9]
	buffer_load_dword v86, off, s[0:3], 0 offset:160
	v_cmp_ne_u32_e32 vcc, 40, v0
	s_waitcnt vmcnt(0)
	ds_write_b32 v84, v86
	s_waitcnt lgkmcnt(0)
	; wave barrier
	s_waitcnt lgkmcnt(0)
	s_and_saveexec_b64 s[8:9], vcc
	s_cbranch_execz .LBB40_790
; %bb.781:
	s_and_b64 vcc, exec, s[4:5]
	s_cbranch_vccnz .LBB40_783
; %bb.782:
	buffer_load_dword v85, v85, s[0:3], 0 offen
	ds_read_b32 v86, v84
	s_waitcnt vmcnt(0) lgkmcnt(0)
	v_mul_f32_e32 v85, v85, v86
	s_cbranch_execz .LBB40_784
	s_branch .LBB40_785
.LBB40_783:
                                        ; implicit-def: $vgpr85
.LBB40_784:
	ds_read_b32 v85, v84
.LBB40_785:
	s_and_saveexec_b64 s[4:5], s[6:7]
	s_cbranch_execz .LBB40_789
; %bb.786:
	v_mov_b32_e32 v86, 0
	v_add_u32_e32 v84, 0xb4, v1
	v_add3_u32 v1, v1, v86, 4
	s_mov_b64 s[6:7], 0
.LBB40_787:                             ; =>This Inner Loop Header: Depth=1
	buffer_load_dword v86, v1, s[0:3], 0 offen
	ds_read_b32 v87, v84
	v_add_u32_e32 v0, 1, v0
	v_cmp_lt_u32_e32 vcc, 38, v0
	v_add_u32_e32 v84, 4, v84
	v_add_u32_e32 v1, 4, v1
	s_or_b64 s[6:7], vcc, s[6:7]
	s_waitcnt vmcnt(0) lgkmcnt(0)
	v_fmac_f32_e32 v85, v86, v87
	s_andn2_b64 exec, exec, s[6:7]
	s_cbranch_execnz .LBB40_787
; %bb.788:
	s_or_b64 exec, exec, s[6:7]
.LBB40_789:
	s_or_b64 exec, exec, s[4:5]
	v_mov_b32_e32 v0, 0
	ds_read_b32 v0, v0 offset:160
	s_waitcnt lgkmcnt(0)
	v_mul_f32_e32 v0, v85, v0
	buffer_store_dword v0, off, s[0:3], 0 offset:160
.LBB40_790:
	s_or_b64 exec, exec, s[8:9]
.LBB40_791:
	buffer_load_dword v0, off, s[0:3], 0
	buffer_load_dword v1, off, s[0:3], 0 offset:4
	buffer_load_dword v84, off, s[0:3], 0 offset:8
	;; [unrolled: 1-line block ×40, first 2 shown]
	s_waitcnt vmcnt(40)
	global_store_dword v[78:79], v0, off
	s_waitcnt vmcnt(40)
	global_store_dword v[80:81], v1, off
	;; [unrolled: 2-line block ×41, first 2 shown]
.LBB40_792:
	s_endpgm
	.section	.rodata,"a",@progbits
	.p2align	6, 0x0
	.amdhsa_kernel _ZN9rocsolver6v33100L18trti2_kernel_smallILi41EfPfEEv13rocblas_fill_17rocblas_diagonal_T1_iil
		.amdhsa_group_segment_fixed_size 340
		.amdhsa_private_segment_fixed_size 176
		.amdhsa_kernarg_size 32
		.amdhsa_user_sgpr_count 8
		.amdhsa_user_sgpr_private_segment_buffer 1
		.amdhsa_user_sgpr_dispatch_ptr 0
		.amdhsa_user_sgpr_queue_ptr 0
		.amdhsa_user_sgpr_kernarg_segment_ptr 1
		.amdhsa_user_sgpr_dispatch_id 0
		.amdhsa_user_sgpr_flat_scratch_init 1
		.amdhsa_user_sgpr_kernarg_preload_length 0
		.amdhsa_user_sgpr_kernarg_preload_offset 0
		.amdhsa_user_sgpr_private_segment_size 0
		.amdhsa_uses_dynamic_stack 0
		.amdhsa_system_sgpr_private_segment_wavefront_offset 1
		.amdhsa_system_sgpr_workgroup_id_x 1
		.amdhsa_system_sgpr_workgroup_id_y 0
		.amdhsa_system_sgpr_workgroup_id_z 0
		.amdhsa_system_sgpr_workgroup_info 0
		.amdhsa_system_vgpr_workitem_id 0
		.amdhsa_next_free_vgpr 124
		.amdhsa_next_free_sgpr 20
		.amdhsa_accum_offset 124
		.amdhsa_reserve_vcc 1
		.amdhsa_reserve_flat_scratch 0
		.amdhsa_float_round_mode_32 0
		.amdhsa_float_round_mode_16_64 0
		.amdhsa_float_denorm_mode_32 3
		.amdhsa_float_denorm_mode_16_64 3
		.amdhsa_dx10_clamp 1
		.amdhsa_ieee_mode 1
		.amdhsa_fp16_overflow 0
		.amdhsa_tg_split 0
		.amdhsa_exception_fp_ieee_invalid_op 0
		.amdhsa_exception_fp_denorm_src 0
		.amdhsa_exception_fp_ieee_div_zero 0
		.amdhsa_exception_fp_ieee_overflow 0
		.amdhsa_exception_fp_ieee_underflow 0
		.amdhsa_exception_fp_ieee_inexact 0
		.amdhsa_exception_int_div_zero 0
	.end_amdhsa_kernel
	.section	.text._ZN9rocsolver6v33100L18trti2_kernel_smallILi41EfPfEEv13rocblas_fill_17rocblas_diagonal_T1_iil,"axG",@progbits,_ZN9rocsolver6v33100L18trti2_kernel_smallILi41EfPfEEv13rocblas_fill_17rocblas_diagonal_T1_iil,comdat
.Lfunc_end40:
	.size	_ZN9rocsolver6v33100L18trti2_kernel_smallILi41EfPfEEv13rocblas_fill_17rocblas_diagonal_T1_iil, .Lfunc_end40-_ZN9rocsolver6v33100L18trti2_kernel_smallILi41EfPfEEv13rocblas_fill_17rocblas_diagonal_T1_iil
                                        ; -- End function
	.section	.AMDGPU.csdata,"",@progbits
; Kernel info:
; codeLenInByte = 19948
; NumSgprs: 24
; NumVgprs: 124
; NumAgprs: 0
; TotalNumVgprs: 124
; ScratchSize: 176
; MemoryBound: 0
; FloatMode: 240
; IeeeMode: 1
; LDSByteSize: 340 bytes/workgroup (compile time only)
; SGPRBlocks: 2
; VGPRBlocks: 15
; NumSGPRsForWavesPerEU: 24
; NumVGPRsForWavesPerEU: 124
; AccumOffset: 124
; Occupancy: 4
; WaveLimiterHint : 0
; COMPUTE_PGM_RSRC2:SCRATCH_EN: 1
; COMPUTE_PGM_RSRC2:USER_SGPR: 8
; COMPUTE_PGM_RSRC2:TRAP_HANDLER: 0
; COMPUTE_PGM_RSRC2:TGID_X_EN: 1
; COMPUTE_PGM_RSRC2:TGID_Y_EN: 0
; COMPUTE_PGM_RSRC2:TGID_Z_EN: 0
; COMPUTE_PGM_RSRC2:TIDIG_COMP_CNT: 0
; COMPUTE_PGM_RSRC3_GFX90A:ACCUM_OFFSET: 30
; COMPUTE_PGM_RSRC3_GFX90A:TG_SPLIT: 0
	.section	.text._ZN9rocsolver6v33100L18trti2_kernel_smallILi42EfPfEEv13rocblas_fill_17rocblas_diagonal_T1_iil,"axG",@progbits,_ZN9rocsolver6v33100L18trti2_kernel_smallILi42EfPfEEv13rocblas_fill_17rocblas_diagonal_T1_iil,comdat
	.globl	_ZN9rocsolver6v33100L18trti2_kernel_smallILi42EfPfEEv13rocblas_fill_17rocblas_diagonal_T1_iil ; -- Begin function _ZN9rocsolver6v33100L18trti2_kernel_smallILi42EfPfEEv13rocblas_fill_17rocblas_diagonal_T1_iil
	.p2align	8
	.type	_ZN9rocsolver6v33100L18trti2_kernel_smallILi42EfPfEEv13rocblas_fill_17rocblas_diagonal_T1_iil,@function
_ZN9rocsolver6v33100L18trti2_kernel_smallILi42EfPfEEv13rocblas_fill_17rocblas_diagonal_T1_iil: ; @_ZN9rocsolver6v33100L18trti2_kernel_smallILi42EfPfEEv13rocblas_fill_17rocblas_diagonal_T1_iil
; %bb.0:
	s_add_u32 s0, s0, s9
	s_addc_u32 s1, s1, 0
	v_cmp_gt_u32_e32 vcc, 42, v0
	s_and_saveexec_b64 s[6:7], vcc
	s_cbranch_execz .LBB41_812
; %bb.1:
	s_load_dwordx8 s[12:19], s[4:5], 0x0
	s_ashr_i32 s6, s8, 31
	s_waitcnt lgkmcnt(0)
	s_mul_i32 s7, s8, s19
	s_mul_hi_u32 s9, s8, s18
	s_add_i32 s7, s9, s7
	s_mul_i32 s6, s6, s18
	s_add_i32 s7, s7, s6
	s_mul_i32 s6, s8, s18
	s_ashr_i32 s5, s16, 31
	s_lshl_b64 s[6:7], s[6:7], 2
	s_mov_b32 s4, s16
	s_add_u32 s6, s14, s6
	s_addc_u32 s7, s15, s7
	s_lshl_b64 s[4:5], s[4:5], 2
	s_add_u32 s4, s6, s4
	s_addc_u32 s5, s7, s5
	s_add_i32 s6, s17, s17
	v_add_u32_e32 v4, s6, v0
	v_ashrrev_i32_e32 v5, 31, v4
	v_lshlrev_b64 v[2:3], 2, v[4:5]
	v_add_u32_e32 v6, s17, v4
	v_mov_b32_e32 v1, s5
	v_add_co_u32_e32 v2, vcc, s4, v2
	v_ashrrev_i32_e32 v7, 31, v6
	v_addc_co_u32_e32 v3, vcc, v1, v3, vcc
	v_lshlrev_b64 v[4:5], 2, v[6:7]
	v_add_u32_e32 v8, s17, v6
	v_add_co_u32_e32 v4, vcc, s4, v4
	v_ashrrev_i32_e32 v9, 31, v8
	v_addc_co_u32_e32 v5, vcc, v1, v5, vcc
	v_lshlrev_b64 v[6:7], 2, v[8:9]
	v_add_u32_e32 v10, s17, v8
	;; [unrolled: 5-line block ×31, first 2 shown]
	v_add_co_u32_e32 v64, vcc, s4, v64
	v_ashrrev_i32_e32 v69, 31, v68
	v_addc_co_u32_e32 v65, vcc, v1, v65, vcc
	v_lshlrev_b64 v[66:67], 2, v[68:69]
	v_mov_b32_e32 v70, s5
	v_add_co_u32_e32 v66, vcc, s4, v66
	v_addc_co_u32_e32 v67, vcc, v70, v67, vcc
	v_add_u32_e32 v70, s17, v68
	v_ashrrev_i32_e32 v71, 31, v70
	v_lshlrev_b64 v[68:69], 2, v[70:71]
	v_mov_b32_e32 v72, s5
	v_add_co_u32_e32 v68, vcc, s4, v68
	v_lshlrev_b32_e32 v1, 2, v0
	v_addc_co_u32_e32 v69, vcc, v72, v69, vcc
	v_add_u32_e32 v72, s17, v70
	v_mov_b32_e32 v70, s5
	v_add_co_u32_e32 v78, vcc, s4, v1
	s_ashr_i32 s7, s17, 31
	s_mov_b32 s6, s17
	v_addc_co_u32_e32 v79, vcc, 0, v70, vcc
	s_lshl_b64 s[6:7], s[6:7], 2
	v_mov_b32_e32 v70, s7
	v_add_co_u32_e32 v80, vcc, s6, v78
	global_load_dword v86, v1, s[4:5]
	v_addc_co_u32_e32 v81, vcc, v79, v70, vcc
	global_load_dword v87, v[80:81], off
	global_load_dword v88, v[4:5], off
	global_load_dword v89, v[6:7], off
	global_load_dword v90, v[8:9], off
	global_load_dword v91, v[10:11], off
	global_load_dword v92, v[12:13], off
	global_load_dword v93, v[14:15], off
	global_load_dword v94, v[2:3], off
	v_ashrrev_i32_e32 v73, 31, v72
	v_lshlrev_b64 v[70:71], 2, v[72:73]
	v_mov_b32_e32 v74, s5
	v_add_co_u32_e32 v70, vcc, s4, v70
	v_addc_co_u32_e32 v71, vcc, v74, v71, vcc
	v_add_u32_e32 v74, s17, v72
	v_ashrrev_i32_e32 v75, 31, v74
	v_lshlrev_b64 v[72:73], 2, v[74:75]
	v_mov_b32_e32 v76, s5
	v_add_co_u32_e32 v72, vcc, s4, v72
	v_addc_co_u32_e32 v73, vcc, v76, v73, vcc
	v_add_u32_e32 v76, s17, v74
	;; [unrolled: 6-line block ×4, first 2 shown]
	v_ashrrev_i32_e32 v85, 31, v84
	v_lshlrev_b64 v[82:83], 2, v[84:85]
	v_add_u32_e32 v84, s17, v84
	v_mov_b32_e32 v95, s5
	v_add_co_u32_e32 v82, vcc, s4, v82
	v_ashrrev_i32_e32 v85, 31, v84
	v_addc_co_u32_e32 v83, vcc, v95, v83, vcc
	v_lshlrev_b64 v[84:85], 2, v[84:85]
	v_add_co_u32_e32 v84, vcc, s4, v84
	v_addc_co_u32_e32 v85, vcc, v95, v85, vcc
	global_load_dword v95, v[84:85], off
	s_cmpk_lg_i32 s13, 0x84
	s_cselect_b64 s[8:9], -1, 0
	s_cmpk_eq_i32 s13, 0x84
	s_waitcnt vmcnt(9)
	buffer_store_dword v86, off, s[0:3], 0
	global_load_dword v86, v[16:17], off
	s_nop 0
	global_load_dword v96, v[22:23], off
	global_load_dword v97, v[24:25], off
	;; [unrolled: 1-line block ×23, first 2 shown]
	s_waitcnt vmcnt(33)
	buffer_store_dword v87, off, s[0:3], 0 offset:4
	s_waitcnt vmcnt(33)
	buffer_store_dword v88, off, s[0:3], 0 offset:12
	global_load_dword v87, v[64:65], off
	s_nop 0
	global_load_dword v88, v[82:83], off
	global_load_dword v119, v[74:75], off
	;; [unrolled: 1-line block ×6, first 2 shown]
	s_waitcnt vmcnt(35)
	buffer_store_dword v94, off, s[0:3], 0 offset:8
	global_load_dword v94, v[76:77], off
	s_nop 0
	buffer_store_dword v89, off, s[0:3], 0 offset:16
	buffer_store_dword v90, off, s[0:3], 0 offset:20
	;; [unrolled: 1-line block ×5, first 2 shown]
	s_waitcnt vmcnt(39)
	buffer_store_dword v86, off, s[0:3], 0 offset:36
	s_waitcnt vmcnt(34)
	buffer_store_dword v101, off, s[0:3], 0 offset:44
	s_waitcnt vmcnt(34)
	buffer_store_dword v102, off, s[0:3], 0 offset:40
	buffer_store_dword v96, off, s[0:3], 0 offset:48
	buffer_store_dword v97, off, s[0:3], 0 offset:52
	;; [unrolled: 1-line block ×5, first 2 shown]
	s_waitcnt vmcnt(39)
	buffer_store_dword v103, off, s[0:3], 0 offset:68
	s_waitcnt vmcnt(39)
	buffer_store_dword v104, off, s[0:3], 0 offset:72
	;; [unrolled: 2-line block ×5, first 2 shown]
	buffer_store_dword v107, off, s[0:3], 0 offset:92
	buffer_store_dword v108, off, s[0:3], 0 offset:88
	s_waitcnt vmcnt(38)
	buffer_store_dword v111, off, s[0:3], 0 offset:100
	buffer_store_dword v106, off, s[0:3], 0 offset:96
	s_waitcnt vmcnt(34)
	buffer_store_dword v117, off, s[0:3], 0 offset:108
	s_waitcnt vmcnt(34)
	buffer_store_dword v118, off, s[0:3], 0 offset:104
	buffer_store_dword v115, off, s[0:3], 0 offset:116
	;; [unrolled: 1-line block ×5, first 2 shown]
	s_waitcnt vmcnt(36)
	buffer_store_dword v87, off, s[0:3], 0 offset:132
	buffer_store_dword v112, off, s[0:3], 0 offset:128
	s_waitcnt vmcnt(34)
	buffer_store_dword v121, off, s[0:3], 0 offset:140
	s_waitcnt vmcnt(34)
	;; [unrolled: 2-line block ×3, first 2 shown]
	buffer_store_dword v123, off, s[0:3], 0 offset:148
	buffer_store_dword v120, off, s[0:3], 0 offset:144
	s_waitcnt vmcnt(34)
	buffer_store_dword v94, off, s[0:3], 0 offset:156
	buffer_store_dword v119, off, s[0:3], 0 offset:152
	;; [unrolled: 1-line block ×4, first 2 shown]
	v_mov_b32_e32 v106, 0
	v_mov_b32_e32 v86, -1.0
	s_cbranch_scc1 .LBB41_3
; %bb.2:
	v_lshl_add_u32 v86, v0, 2, v106
	buffer_load_dword v87, v86, s[0:3], 0 offen
	s_waitcnt vmcnt(0)
	v_div_scale_f32 v88, s[4:5], v87, v87, 1.0
	v_rcp_f32_e32 v89, v88
	v_div_scale_f32 v90, vcc, 1.0, v87, 1.0
	v_fma_f32 v91, -v88, v89, 1.0
	v_fmac_f32_e32 v89, v91, v89
	v_mul_f32_e32 v91, v90, v89
	v_fma_f32 v92, -v88, v91, v90
	v_fmac_f32_e32 v91, v92, v89
	v_fma_f32 v88, -v88, v91, v90
	v_div_fmas_f32 v88, v88, v89, v91
	v_div_fixup_f32 v87, v88, v87, 1.0
	buffer_store_dword v87, v86, s[0:3], 0 offen
	v_xor_b32_e32 v86, 0x80000000, v87
.LBB41_3:
	ds_write_b32 v1, v86
	s_cmpk_eq_i32 s12, 0x79
	v_add_u32_e32 v86, 0xb0, v1
	v_add_u32_e32 v87, 0, v1
	s_mov_b64 s[4:5], -1
	s_cbranch_scc1 .LBB41_407
; %bb.4:
	buffer_load_dword v88, off, s[0:3], 0 offset:160
	v_cmp_eq_u32_e64 s[4:5], 41, v0
	s_waitcnt vmcnt(0)
	ds_write_b32 v86, v88
	s_waitcnt lgkmcnt(0)
	; wave barrier
	s_waitcnt lgkmcnt(0)
	s_and_saveexec_b64 s[6:7], s[4:5]
	s_cbranch_execz .LBB41_10
; %bb.5:
	s_and_b64 vcc, exec, s[8:9]
	s_cbranch_vccz .LBB41_7
; %bb.6:
	buffer_load_dword v88, v87, s[0:3], 0 offen
	ds_read_b32 v89, v86
	s_waitcnt vmcnt(0) lgkmcnt(0)
	v_mul_f32_e32 v88, v88, v89
	s_cbranch_execz .LBB41_8
	s_branch .LBB41_9
.LBB41_7:
                                        ; implicit-def: $vgpr88
.LBB41_8:
	ds_read_b32 v88, v86
.LBB41_9:
	v_mov_b32_e32 v89, 0
	ds_read_b32 v89, v89 offset:160
	s_waitcnt lgkmcnt(0)
	v_mul_f32_e32 v88, v88, v89
	buffer_store_dword v88, off, s[0:3], 0 offset:160
.LBB41_10:
	s_or_b64 exec, exec, s[6:7]
	buffer_load_dword v107, off, s[0:3], 0 offset:156
	v_or_b32_e32 v88, 8, v106
	v_add_u32_e32 v89, 16, v106
	v_add_u32_e32 v90, 24, v106
	v_add_u32_e32 v91, 32, v106
	v_add_u32_e32 v92, 40, v106
	v_add_u32_e32 v93, 48, v106
	v_add_u32_e32 v94, 56, v106
	v_add_u32_e32 v95, 64, v106
	v_add_u32_e32 v96, 0x48, v106
	v_add_u32_e32 v97, 0x50, v106
	v_add_u32_e32 v98, 0x58, v106
	v_add_u32_e32 v99, 0x60, v106
	v_add_u32_e32 v100, 0x68, v106
	v_add_u32_e32 v101, 0x70, v106
	v_add_u32_e32 v102, 0x78, v106
	v_add_u32_e32 v103, 0x80, v106
	v_add_u32_e32 v104, 0x88, v106
	v_add_u32_e32 v105, 0x90, v106
	v_add_u32_e32 v106, 0x98, v106
	v_cmp_lt_u32_e64 s[6:7], 39, v0
	s_waitcnt vmcnt(0)
	ds_write_b32 v86, v107
	s_waitcnt lgkmcnt(0)
	; wave barrier
	s_waitcnt lgkmcnt(0)
	s_and_saveexec_b64 s[10:11], s[6:7]
	s_cbranch_execz .LBB41_16
; %bb.11:
	s_andn2_b64 vcc, exec, s[8:9]
	s_cbranch_vccnz .LBB41_13
; %bb.12:
	buffer_load_dword v107, v87, s[0:3], 0 offen
	ds_read_b32 v108, v86
	s_waitcnt vmcnt(0) lgkmcnt(0)
	v_mul_f32_e32 v107, v107, v108
	s_cbranch_execz .LBB41_14
	s_branch .LBB41_15
.LBB41_13:
                                        ; implicit-def: $vgpr107
.LBB41_14:
	ds_read_b32 v107, v86
.LBB41_15:
	buffer_load_dword v110, off, s[0:3], 0 offset:160
	v_mov_b32_e32 v108, 0
	ds_read2_b32 v[108:109], v108 offset0:39 offset1:84
	s_waitcnt vmcnt(0) lgkmcnt(0)
	v_fma_f32 v109, v110, v109, v107
	v_cndmask_b32_e64 v107, v107, v109, s[4:5]
	v_mul_f32_e32 v107, v107, v108
	buffer_store_dword v107, off, s[0:3], 0 offset:156
.LBB41_16:
	s_or_b64 exec, exec, s[10:11]
	buffer_load_dword v107, off, s[0:3], 0 offset:152
	v_cmp_lt_u32_e64 s[4:5], 38, v0
	s_waitcnt vmcnt(0)
	ds_write_b32 v86, v107
	s_waitcnt lgkmcnt(0)
	; wave barrier
	s_waitcnt lgkmcnt(0)
	s_and_saveexec_b64 s[10:11], s[4:5]
	s_cbranch_execz .LBB41_26
; %bb.17:
	s_andn2_b64 vcc, exec, s[8:9]
	s_cbranch_vccnz .LBB41_19
; %bb.18:
	buffer_load_dword v107, v87, s[0:3], 0 offen
	ds_read_b32 v108, v86
	s_waitcnt vmcnt(0) lgkmcnt(0)
	v_mul_f32_e32 v107, v107, v108
	s_cbranch_execz .LBB41_20
	s_branch .LBB41_21
.LBB41_19:
                                        ; implicit-def: $vgpr107
.LBB41_20:
	ds_read_b32 v107, v86
.LBB41_21:
	s_and_saveexec_b64 s[12:13], s[6:7]
	s_cbranch_execz .LBB41_25
; %bb.22:
	v_mov_b32_e32 v108, 0
	v_add_u32_e32 v108, 0x9c, v108
	v_subrev_u32_e32 v109, 39, v0
	s_movk_i32 s14, 0x14c
	s_mov_b64 s[6:7], 0
.LBB41_23:                              ; =>This Inner Loop Header: Depth=1
	buffer_load_dword v110, v108, s[0:3], 0 offen
	v_mov_b32_e32 v111, s14
	ds_read_b32 v111, v111
	v_add_u32_e32 v109, -1, v109
	s_add_i32 s14, s14, 4
	v_cmp_eq_u32_e32 vcc, 0, v109
	v_add_u32_e32 v108, 4, v108
	s_or_b64 s[6:7], vcc, s[6:7]
	s_waitcnt vmcnt(0) lgkmcnt(0)
	v_fmac_f32_e32 v107, v110, v111
	s_andn2_b64 exec, exec, s[6:7]
	s_cbranch_execnz .LBB41_23
; %bb.24:
	s_or_b64 exec, exec, s[6:7]
.LBB41_25:
	s_or_b64 exec, exec, s[12:13]
	v_mov_b32_e32 v108, 0
	ds_read_b32 v108, v108 offset:152
	s_waitcnt lgkmcnt(0)
	v_mul_f32_e32 v107, v107, v108
	buffer_store_dword v107, off, s[0:3], 0 offset:152
.LBB41_26:
	s_or_b64 exec, exec, s[10:11]
	buffer_load_dword v107, off, s[0:3], 0 offset:148
	v_cmp_lt_u32_e64 s[6:7], 37, v0
	s_waitcnt vmcnt(0)
	ds_write_b32 v86, v107
	s_waitcnt lgkmcnt(0)
	; wave barrier
	s_waitcnt lgkmcnt(0)
	s_and_saveexec_b64 s[10:11], s[6:7]
	s_cbranch_execz .LBB41_36
; %bb.27:
	s_andn2_b64 vcc, exec, s[8:9]
	s_cbranch_vccnz .LBB41_29
; %bb.28:
	buffer_load_dword v107, v87, s[0:3], 0 offen
	ds_read_b32 v108, v86
	s_waitcnt vmcnt(0) lgkmcnt(0)
	v_mul_f32_e32 v107, v107, v108
	s_cbranch_execz .LBB41_30
	s_branch .LBB41_31
.LBB41_29:
                                        ; implicit-def: $vgpr107
.LBB41_30:
	ds_read_b32 v107, v86
.LBB41_31:
	s_and_saveexec_b64 s[12:13], s[4:5]
	s_cbranch_execz .LBB41_35
; %bb.32:
	v_subrev_u32_e32 v108, 38, v0
	s_movk_i32 s14, 0x148
	s_mov_b64 s[4:5], 0
.LBB41_33:                              ; =>This Inner Loop Header: Depth=1
	buffer_load_dword v109, v106, s[0:3], 0 offen
	v_mov_b32_e32 v110, s14
	ds_read_b32 v110, v110
	v_add_u32_e32 v108, -1, v108
	s_add_i32 s14, s14, 4
	v_cmp_eq_u32_e32 vcc, 0, v108
	v_add_u32_e32 v106, 4, v106
	s_or_b64 s[4:5], vcc, s[4:5]
	s_waitcnt vmcnt(0) lgkmcnt(0)
	v_fmac_f32_e32 v107, v109, v110
	s_andn2_b64 exec, exec, s[4:5]
	s_cbranch_execnz .LBB41_33
; %bb.34:
	s_or_b64 exec, exec, s[4:5]
.LBB41_35:
	s_or_b64 exec, exec, s[12:13]
	v_mov_b32_e32 v106, 0
	ds_read_b32 v106, v106 offset:148
	s_waitcnt lgkmcnt(0)
	v_mul_f32_e32 v106, v107, v106
	buffer_store_dword v106, off, s[0:3], 0 offset:148
.LBB41_36:
	s_or_b64 exec, exec, s[10:11]
	buffer_load_dword v106, off, s[0:3], 0 offset:144
	v_cmp_lt_u32_e64 s[4:5], 36, v0
	s_waitcnt vmcnt(0)
	ds_write_b32 v86, v106
	s_waitcnt lgkmcnt(0)
	; wave barrier
	s_waitcnt lgkmcnt(0)
	s_and_saveexec_b64 s[10:11], s[4:5]
	s_cbranch_execz .LBB41_46
; %bb.37:
	s_andn2_b64 vcc, exec, s[8:9]
	s_cbranch_vccnz .LBB41_39
; %bb.38:
	buffer_load_dword v106, v87, s[0:3], 0 offen
	ds_read_b32 v107, v86
	s_waitcnt vmcnt(0) lgkmcnt(0)
	v_mul_f32_e32 v106, v106, v107
	s_cbranch_execz .LBB41_40
	s_branch .LBB41_41
.LBB41_39:
                                        ; implicit-def: $vgpr106
.LBB41_40:
	ds_read_b32 v106, v86
.LBB41_41:
	s_and_saveexec_b64 s[12:13], s[6:7]
	s_cbranch_execz .LBB41_45
; %bb.42:
	v_mov_b32_e32 v107, 0
	v_add_u32_e32 v107, 0x94, v107
	v_subrev_u32_e32 v108, 37, v0
	s_movk_i32 s14, 0x144
	s_mov_b64 s[6:7], 0
.LBB41_43:                              ; =>This Inner Loop Header: Depth=1
	buffer_load_dword v109, v107, s[0:3], 0 offen
	v_mov_b32_e32 v110, s14
	ds_read_b32 v110, v110
	v_add_u32_e32 v108, -1, v108
	s_add_i32 s14, s14, 4
	v_cmp_eq_u32_e32 vcc, 0, v108
	v_add_u32_e32 v107, 4, v107
	s_or_b64 s[6:7], vcc, s[6:7]
	s_waitcnt vmcnt(0) lgkmcnt(0)
	v_fmac_f32_e32 v106, v109, v110
	s_andn2_b64 exec, exec, s[6:7]
	s_cbranch_execnz .LBB41_43
; %bb.44:
	s_or_b64 exec, exec, s[6:7]
.LBB41_45:
	s_or_b64 exec, exec, s[12:13]
	v_mov_b32_e32 v107, 0
	ds_read_b32 v107, v107 offset:144
	s_waitcnt lgkmcnt(0)
	v_mul_f32_e32 v106, v106, v107
	buffer_store_dword v106, off, s[0:3], 0 offset:144
.LBB41_46:
	s_or_b64 exec, exec, s[10:11]
	buffer_load_dword v106, off, s[0:3], 0 offset:140
	v_cmp_lt_u32_e64 s[6:7], 35, v0
	s_waitcnt vmcnt(0)
	ds_write_b32 v86, v106
	s_waitcnt lgkmcnt(0)
	; wave barrier
	s_waitcnt lgkmcnt(0)
	s_and_saveexec_b64 s[10:11], s[6:7]
	s_cbranch_execz .LBB41_56
; %bb.47:
	s_andn2_b64 vcc, exec, s[8:9]
	s_cbranch_vccnz .LBB41_49
; %bb.48:
	buffer_load_dword v106, v87, s[0:3], 0 offen
	ds_read_b32 v107, v86
	s_waitcnt vmcnt(0) lgkmcnt(0)
	v_mul_f32_e32 v106, v106, v107
	s_cbranch_execz .LBB41_50
	s_branch .LBB41_51
.LBB41_49:
                                        ; implicit-def: $vgpr106
.LBB41_50:
	ds_read_b32 v106, v86
.LBB41_51:
	s_and_saveexec_b64 s[12:13], s[4:5]
	s_cbranch_execz .LBB41_55
; %bb.52:
	v_subrev_u32_e32 v107, 36, v0
	s_movk_i32 s14, 0x140
	s_mov_b64 s[4:5], 0
.LBB41_53:                              ; =>This Inner Loop Header: Depth=1
	buffer_load_dword v108, v105, s[0:3], 0 offen
	v_mov_b32_e32 v109, s14
	ds_read_b32 v109, v109
	v_add_u32_e32 v107, -1, v107
	s_add_i32 s14, s14, 4
	v_cmp_eq_u32_e32 vcc, 0, v107
	v_add_u32_e32 v105, 4, v105
	s_or_b64 s[4:5], vcc, s[4:5]
	s_waitcnt vmcnt(0) lgkmcnt(0)
	v_fmac_f32_e32 v106, v108, v109
	s_andn2_b64 exec, exec, s[4:5]
	s_cbranch_execnz .LBB41_53
; %bb.54:
	s_or_b64 exec, exec, s[4:5]
.LBB41_55:
	s_or_b64 exec, exec, s[12:13]
	v_mov_b32_e32 v105, 0
	ds_read_b32 v105, v105 offset:140
	s_waitcnt lgkmcnt(0)
	v_mul_f32_e32 v105, v106, v105
	buffer_store_dword v105, off, s[0:3], 0 offset:140
.LBB41_56:
	s_or_b64 exec, exec, s[10:11]
	buffer_load_dword v105, off, s[0:3], 0 offset:136
	v_cmp_lt_u32_e64 s[4:5], 34, v0
	s_waitcnt vmcnt(0)
	ds_write_b32 v86, v105
	s_waitcnt lgkmcnt(0)
	; wave barrier
	s_waitcnt lgkmcnt(0)
	s_and_saveexec_b64 s[10:11], s[4:5]
	s_cbranch_execz .LBB41_66
; %bb.57:
	s_andn2_b64 vcc, exec, s[8:9]
	s_cbranch_vccnz .LBB41_59
; %bb.58:
	buffer_load_dword v105, v87, s[0:3], 0 offen
	ds_read_b32 v106, v86
	s_waitcnt vmcnt(0) lgkmcnt(0)
	v_mul_f32_e32 v105, v105, v106
	s_cbranch_execz .LBB41_60
	s_branch .LBB41_61
.LBB41_59:
                                        ; implicit-def: $vgpr105
.LBB41_60:
	ds_read_b32 v105, v86
.LBB41_61:
	s_and_saveexec_b64 s[12:13], s[6:7]
	s_cbranch_execz .LBB41_65
; %bb.62:
	v_mov_b32_e32 v106, 0
	v_add_u32_e32 v106, 0x8c, v106
	v_subrev_u32_e32 v107, 35, v0
	s_movk_i32 s14, 0x13c
	s_mov_b64 s[6:7], 0
.LBB41_63:                              ; =>This Inner Loop Header: Depth=1
	buffer_load_dword v108, v106, s[0:3], 0 offen
	v_mov_b32_e32 v109, s14
	ds_read_b32 v109, v109
	v_add_u32_e32 v107, -1, v107
	s_add_i32 s14, s14, 4
	v_cmp_eq_u32_e32 vcc, 0, v107
	v_add_u32_e32 v106, 4, v106
	s_or_b64 s[6:7], vcc, s[6:7]
	s_waitcnt vmcnt(0) lgkmcnt(0)
	v_fmac_f32_e32 v105, v108, v109
	s_andn2_b64 exec, exec, s[6:7]
	s_cbranch_execnz .LBB41_63
; %bb.64:
	s_or_b64 exec, exec, s[6:7]
.LBB41_65:
	s_or_b64 exec, exec, s[12:13]
	v_mov_b32_e32 v106, 0
	ds_read_b32 v106, v106 offset:136
	s_waitcnt lgkmcnt(0)
	v_mul_f32_e32 v105, v105, v106
	buffer_store_dword v105, off, s[0:3], 0 offset:136
.LBB41_66:
	s_or_b64 exec, exec, s[10:11]
	buffer_load_dword v105, off, s[0:3], 0 offset:132
	v_cmp_lt_u32_e64 s[6:7], 33, v0
	s_waitcnt vmcnt(0)
	ds_write_b32 v86, v105
	s_waitcnt lgkmcnt(0)
	; wave barrier
	s_waitcnt lgkmcnt(0)
	s_and_saveexec_b64 s[10:11], s[6:7]
	s_cbranch_execz .LBB41_76
; %bb.67:
	s_andn2_b64 vcc, exec, s[8:9]
	s_cbranch_vccnz .LBB41_69
; %bb.68:
	buffer_load_dword v105, v87, s[0:3], 0 offen
	ds_read_b32 v106, v86
	s_waitcnt vmcnt(0) lgkmcnt(0)
	v_mul_f32_e32 v105, v105, v106
	s_cbranch_execz .LBB41_70
	s_branch .LBB41_71
.LBB41_69:
                                        ; implicit-def: $vgpr105
.LBB41_70:
	ds_read_b32 v105, v86
.LBB41_71:
	s_and_saveexec_b64 s[12:13], s[4:5]
	s_cbranch_execz .LBB41_75
; %bb.72:
	v_subrev_u32_e32 v106, 34, v0
	s_movk_i32 s14, 0x138
	s_mov_b64 s[4:5], 0
.LBB41_73:                              ; =>This Inner Loop Header: Depth=1
	buffer_load_dword v107, v104, s[0:3], 0 offen
	v_mov_b32_e32 v108, s14
	ds_read_b32 v108, v108
	v_add_u32_e32 v106, -1, v106
	s_add_i32 s14, s14, 4
	v_cmp_eq_u32_e32 vcc, 0, v106
	v_add_u32_e32 v104, 4, v104
	s_or_b64 s[4:5], vcc, s[4:5]
	s_waitcnt vmcnt(0) lgkmcnt(0)
	v_fmac_f32_e32 v105, v107, v108
	s_andn2_b64 exec, exec, s[4:5]
	s_cbranch_execnz .LBB41_73
; %bb.74:
	s_or_b64 exec, exec, s[4:5]
.LBB41_75:
	s_or_b64 exec, exec, s[12:13]
	v_mov_b32_e32 v104, 0
	ds_read_b32 v104, v104 offset:132
	s_waitcnt lgkmcnt(0)
	v_mul_f32_e32 v104, v105, v104
	buffer_store_dword v104, off, s[0:3], 0 offset:132
.LBB41_76:
	s_or_b64 exec, exec, s[10:11]
	buffer_load_dword v104, off, s[0:3], 0 offset:128
	v_cmp_lt_u32_e64 s[4:5], 32, v0
	s_waitcnt vmcnt(0)
	ds_write_b32 v86, v104
	s_waitcnt lgkmcnt(0)
	; wave barrier
	s_waitcnt lgkmcnt(0)
	s_and_saveexec_b64 s[10:11], s[4:5]
	s_cbranch_execz .LBB41_86
; %bb.77:
	s_andn2_b64 vcc, exec, s[8:9]
	s_cbranch_vccnz .LBB41_79
; %bb.78:
	buffer_load_dword v104, v87, s[0:3], 0 offen
	ds_read_b32 v105, v86
	s_waitcnt vmcnt(0) lgkmcnt(0)
	v_mul_f32_e32 v104, v104, v105
	s_cbranch_execz .LBB41_80
	s_branch .LBB41_81
.LBB41_79:
                                        ; implicit-def: $vgpr104
.LBB41_80:
	ds_read_b32 v104, v86
.LBB41_81:
	s_and_saveexec_b64 s[12:13], s[6:7]
	s_cbranch_execz .LBB41_85
; %bb.82:
	v_mov_b32_e32 v105, 0
	v_add_u32_e32 v105, 0x84, v105
	v_subrev_u32_e32 v106, 33, v0
	s_movk_i32 s14, 0x134
	s_mov_b64 s[6:7], 0
.LBB41_83:                              ; =>This Inner Loop Header: Depth=1
	buffer_load_dword v107, v105, s[0:3], 0 offen
	v_mov_b32_e32 v108, s14
	ds_read_b32 v108, v108
	v_add_u32_e32 v106, -1, v106
	s_add_i32 s14, s14, 4
	v_cmp_eq_u32_e32 vcc, 0, v106
	v_add_u32_e32 v105, 4, v105
	s_or_b64 s[6:7], vcc, s[6:7]
	s_waitcnt vmcnt(0) lgkmcnt(0)
	v_fmac_f32_e32 v104, v107, v108
	s_andn2_b64 exec, exec, s[6:7]
	s_cbranch_execnz .LBB41_83
; %bb.84:
	s_or_b64 exec, exec, s[6:7]
.LBB41_85:
	s_or_b64 exec, exec, s[12:13]
	v_mov_b32_e32 v105, 0
	ds_read_b32 v105, v105 offset:128
	s_waitcnt lgkmcnt(0)
	v_mul_f32_e32 v104, v104, v105
	buffer_store_dword v104, off, s[0:3], 0 offset:128
.LBB41_86:
	s_or_b64 exec, exec, s[10:11]
	buffer_load_dword v104, off, s[0:3], 0 offset:124
	v_cmp_lt_u32_e64 s[6:7], 31, v0
	s_waitcnt vmcnt(0)
	ds_write_b32 v86, v104
	s_waitcnt lgkmcnt(0)
	; wave barrier
	s_waitcnt lgkmcnt(0)
	s_and_saveexec_b64 s[10:11], s[6:7]
	s_cbranch_execz .LBB41_96
; %bb.87:
	s_andn2_b64 vcc, exec, s[8:9]
	s_cbranch_vccnz .LBB41_89
; %bb.88:
	buffer_load_dword v104, v87, s[0:3], 0 offen
	ds_read_b32 v105, v86
	s_waitcnt vmcnt(0) lgkmcnt(0)
	v_mul_f32_e32 v104, v104, v105
	s_cbranch_execz .LBB41_90
	s_branch .LBB41_91
.LBB41_89:
                                        ; implicit-def: $vgpr104
.LBB41_90:
	ds_read_b32 v104, v86
.LBB41_91:
	s_and_saveexec_b64 s[12:13], s[4:5]
	s_cbranch_execz .LBB41_95
; %bb.92:
	v_subrev_u32_e32 v105, 32, v0
	s_movk_i32 s14, 0x130
	s_mov_b64 s[4:5], 0
.LBB41_93:                              ; =>This Inner Loop Header: Depth=1
	buffer_load_dword v106, v103, s[0:3], 0 offen
	v_mov_b32_e32 v107, s14
	ds_read_b32 v107, v107
	v_add_u32_e32 v105, -1, v105
	s_add_i32 s14, s14, 4
	v_cmp_eq_u32_e32 vcc, 0, v105
	v_add_u32_e32 v103, 4, v103
	s_or_b64 s[4:5], vcc, s[4:5]
	s_waitcnt vmcnt(0) lgkmcnt(0)
	v_fmac_f32_e32 v104, v106, v107
	s_andn2_b64 exec, exec, s[4:5]
	s_cbranch_execnz .LBB41_93
; %bb.94:
	s_or_b64 exec, exec, s[4:5]
.LBB41_95:
	s_or_b64 exec, exec, s[12:13]
	v_mov_b32_e32 v103, 0
	ds_read_b32 v103, v103 offset:124
	s_waitcnt lgkmcnt(0)
	v_mul_f32_e32 v103, v104, v103
	buffer_store_dword v103, off, s[0:3], 0 offset:124
.LBB41_96:
	s_or_b64 exec, exec, s[10:11]
	buffer_load_dword v103, off, s[0:3], 0 offset:120
	v_cmp_lt_u32_e64 s[4:5], 30, v0
	s_waitcnt vmcnt(0)
	ds_write_b32 v86, v103
	s_waitcnt lgkmcnt(0)
	; wave barrier
	s_waitcnt lgkmcnt(0)
	s_and_saveexec_b64 s[10:11], s[4:5]
	s_cbranch_execz .LBB41_106
; %bb.97:
	s_andn2_b64 vcc, exec, s[8:9]
	s_cbranch_vccnz .LBB41_99
; %bb.98:
	buffer_load_dword v103, v87, s[0:3], 0 offen
	ds_read_b32 v104, v86
	s_waitcnt vmcnt(0) lgkmcnt(0)
	v_mul_f32_e32 v103, v103, v104
	s_cbranch_execz .LBB41_100
	s_branch .LBB41_101
.LBB41_99:
                                        ; implicit-def: $vgpr103
.LBB41_100:
	ds_read_b32 v103, v86
.LBB41_101:
	s_and_saveexec_b64 s[12:13], s[6:7]
	s_cbranch_execz .LBB41_105
; %bb.102:
	v_mov_b32_e32 v104, 0
	v_add_u32_e32 v104, 0x7c, v104
	v_subrev_u32_e32 v105, 31, v0
	s_movk_i32 s14, 0x12c
	s_mov_b64 s[6:7], 0
.LBB41_103:                             ; =>This Inner Loop Header: Depth=1
	buffer_load_dword v106, v104, s[0:3], 0 offen
	v_mov_b32_e32 v107, s14
	ds_read_b32 v107, v107
	v_add_u32_e32 v105, -1, v105
	s_add_i32 s14, s14, 4
	v_cmp_eq_u32_e32 vcc, 0, v105
	v_add_u32_e32 v104, 4, v104
	s_or_b64 s[6:7], vcc, s[6:7]
	s_waitcnt vmcnt(0) lgkmcnt(0)
	v_fmac_f32_e32 v103, v106, v107
	s_andn2_b64 exec, exec, s[6:7]
	s_cbranch_execnz .LBB41_103
; %bb.104:
	s_or_b64 exec, exec, s[6:7]
.LBB41_105:
	s_or_b64 exec, exec, s[12:13]
	v_mov_b32_e32 v104, 0
	ds_read_b32 v104, v104 offset:120
	s_waitcnt lgkmcnt(0)
	v_mul_f32_e32 v103, v103, v104
	buffer_store_dword v103, off, s[0:3], 0 offset:120
.LBB41_106:
	s_or_b64 exec, exec, s[10:11]
	buffer_load_dword v103, off, s[0:3], 0 offset:116
	v_cmp_lt_u32_e64 s[6:7], 29, v0
	s_waitcnt vmcnt(0)
	ds_write_b32 v86, v103
	s_waitcnt lgkmcnt(0)
	; wave barrier
	s_waitcnt lgkmcnt(0)
	s_and_saveexec_b64 s[10:11], s[6:7]
	s_cbranch_execz .LBB41_116
; %bb.107:
	s_andn2_b64 vcc, exec, s[8:9]
	s_cbranch_vccnz .LBB41_109
; %bb.108:
	buffer_load_dword v103, v87, s[0:3], 0 offen
	ds_read_b32 v104, v86
	s_waitcnt vmcnt(0) lgkmcnt(0)
	v_mul_f32_e32 v103, v103, v104
	s_cbranch_execz .LBB41_110
	s_branch .LBB41_111
.LBB41_109:
                                        ; implicit-def: $vgpr103
.LBB41_110:
	ds_read_b32 v103, v86
.LBB41_111:
	s_and_saveexec_b64 s[12:13], s[4:5]
	s_cbranch_execz .LBB41_115
; %bb.112:
	v_subrev_u32_e32 v104, 30, v0
	s_movk_i32 s14, 0x128
	s_mov_b64 s[4:5], 0
.LBB41_113:                             ; =>This Inner Loop Header: Depth=1
	buffer_load_dword v105, v102, s[0:3], 0 offen
	v_mov_b32_e32 v106, s14
	ds_read_b32 v106, v106
	v_add_u32_e32 v104, -1, v104
	s_add_i32 s14, s14, 4
	v_cmp_eq_u32_e32 vcc, 0, v104
	v_add_u32_e32 v102, 4, v102
	s_or_b64 s[4:5], vcc, s[4:5]
	s_waitcnt vmcnt(0) lgkmcnt(0)
	v_fmac_f32_e32 v103, v105, v106
	s_andn2_b64 exec, exec, s[4:5]
	s_cbranch_execnz .LBB41_113
; %bb.114:
	s_or_b64 exec, exec, s[4:5]
.LBB41_115:
	s_or_b64 exec, exec, s[12:13]
	v_mov_b32_e32 v102, 0
	ds_read_b32 v102, v102 offset:116
	s_waitcnt lgkmcnt(0)
	v_mul_f32_e32 v102, v103, v102
	buffer_store_dword v102, off, s[0:3], 0 offset:116
.LBB41_116:
	s_or_b64 exec, exec, s[10:11]
	buffer_load_dword v102, off, s[0:3], 0 offset:112
	v_cmp_lt_u32_e64 s[4:5], 28, v0
	s_waitcnt vmcnt(0)
	ds_write_b32 v86, v102
	s_waitcnt lgkmcnt(0)
	; wave barrier
	s_waitcnt lgkmcnt(0)
	s_and_saveexec_b64 s[10:11], s[4:5]
	s_cbranch_execz .LBB41_126
; %bb.117:
	s_andn2_b64 vcc, exec, s[8:9]
	s_cbranch_vccnz .LBB41_119
; %bb.118:
	buffer_load_dword v102, v87, s[0:3], 0 offen
	ds_read_b32 v103, v86
	s_waitcnt vmcnt(0) lgkmcnt(0)
	v_mul_f32_e32 v102, v102, v103
	s_cbranch_execz .LBB41_120
	s_branch .LBB41_121
.LBB41_119:
                                        ; implicit-def: $vgpr102
.LBB41_120:
	ds_read_b32 v102, v86
.LBB41_121:
	s_and_saveexec_b64 s[12:13], s[6:7]
	s_cbranch_execz .LBB41_125
; %bb.122:
	v_mov_b32_e32 v103, 0
	v_add_u32_e32 v103, 0x74, v103
	v_subrev_u32_e32 v104, 29, v0
	s_movk_i32 s14, 0x124
	s_mov_b64 s[6:7], 0
.LBB41_123:                             ; =>This Inner Loop Header: Depth=1
	buffer_load_dword v105, v103, s[0:3], 0 offen
	v_mov_b32_e32 v106, s14
	ds_read_b32 v106, v106
	v_add_u32_e32 v104, -1, v104
	s_add_i32 s14, s14, 4
	v_cmp_eq_u32_e32 vcc, 0, v104
	v_add_u32_e32 v103, 4, v103
	s_or_b64 s[6:7], vcc, s[6:7]
	s_waitcnt vmcnt(0) lgkmcnt(0)
	v_fmac_f32_e32 v102, v105, v106
	s_andn2_b64 exec, exec, s[6:7]
	s_cbranch_execnz .LBB41_123
; %bb.124:
	s_or_b64 exec, exec, s[6:7]
.LBB41_125:
	s_or_b64 exec, exec, s[12:13]
	v_mov_b32_e32 v103, 0
	ds_read_b32 v103, v103 offset:112
	s_waitcnt lgkmcnt(0)
	v_mul_f32_e32 v102, v102, v103
	buffer_store_dword v102, off, s[0:3], 0 offset:112
.LBB41_126:
	s_or_b64 exec, exec, s[10:11]
	buffer_load_dword v102, off, s[0:3], 0 offset:108
	v_cmp_lt_u32_e64 s[6:7], 27, v0
	s_waitcnt vmcnt(0)
	ds_write_b32 v86, v102
	s_waitcnt lgkmcnt(0)
	; wave barrier
	s_waitcnt lgkmcnt(0)
	s_and_saveexec_b64 s[10:11], s[6:7]
	s_cbranch_execz .LBB41_136
; %bb.127:
	s_andn2_b64 vcc, exec, s[8:9]
	s_cbranch_vccnz .LBB41_129
; %bb.128:
	buffer_load_dword v102, v87, s[0:3], 0 offen
	ds_read_b32 v103, v86
	s_waitcnt vmcnt(0) lgkmcnt(0)
	v_mul_f32_e32 v102, v102, v103
	s_cbranch_execz .LBB41_130
	s_branch .LBB41_131
.LBB41_129:
                                        ; implicit-def: $vgpr102
.LBB41_130:
	ds_read_b32 v102, v86
.LBB41_131:
	s_and_saveexec_b64 s[12:13], s[4:5]
	s_cbranch_execz .LBB41_135
; %bb.132:
	v_subrev_u32_e32 v103, 28, v0
	s_movk_i32 s14, 0x120
	s_mov_b64 s[4:5], 0
.LBB41_133:                             ; =>This Inner Loop Header: Depth=1
	buffer_load_dword v104, v101, s[0:3], 0 offen
	v_mov_b32_e32 v105, s14
	ds_read_b32 v105, v105
	v_add_u32_e32 v103, -1, v103
	s_add_i32 s14, s14, 4
	v_cmp_eq_u32_e32 vcc, 0, v103
	v_add_u32_e32 v101, 4, v101
	s_or_b64 s[4:5], vcc, s[4:5]
	s_waitcnt vmcnt(0) lgkmcnt(0)
	v_fmac_f32_e32 v102, v104, v105
	s_andn2_b64 exec, exec, s[4:5]
	s_cbranch_execnz .LBB41_133
; %bb.134:
	s_or_b64 exec, exec, s[4:5]
.LBB41_135:
	s_or_b64 exec, exec, s[12:13]
	v_mov_b32_e32 v101, 0
	ds_read_b32 v101, v101 offset:108
	s_waitcnt lgkmcnt(0)
	v_mul_f32_e32 v101, v102, v101
	buffer_store_dword v101, off, s[0:3], 0 offset:108
.LBB41_136:
	s_or_b64 exec, exec, s[10:11]
	buffer_load_dword v101, off, s[0:3], 0 offset:104
	v_cmp_lt_u32_e64 s[4:5], 26, v0
	s_waitcnt vmcnt(0)
	ds_write_b32 v86, v101
	s_waitcnt lgkmcnt(0)
	; wave barrier
	s_waitcnt lgkmcnt(0)
	s_and_saveexec_b64 s[10:11], s[4:5]
	s_cbranch_execz .LBB41_146
; %bb.137:
	s_andn2_b64 vcc, exec, s[8:9]
	s_cbranch_vccnz .LBB41_139
; %bb.138:
	buffer_load_dword v101, v87, s[0:3], 0 offen
	ds_read_b32 v102, v86
	s_waitcnt vmcnt(0) lgkmcnt(0)
	v_mul_f32_e32 v101, v101, v102
	s_cbranch_execz .LBB41_140
	s_branch .LBB41_141
.LBB41_139:
                                        ; implicit-def: $vgpr101
.LBB41_140:
	ds_read_b32 v101, v86
.LBB41_141:
	s_and_saveexec_b64 s[12:13], s[6:7]
	s_cbranch_execz .LBB41_145
; %bb.142:
	v_mov_b32_e32 v102, 0
	v_add_u32_e32 v102, 0x6c, v102
	v_subrev_u32_e32 v103, 27, v0
	s_movk_i32 s14, 0x11c
	s_mov_b64 s[6:7], 0
.LBB41_143:                             ; =>This Inner Loop Header: Depth=1
	buffer_load_dword v104, v102, s[0:3], 0 offen
	v_mov_b32_e32 v105, s14
	ds_read_b32 v105, v105
	v_add_u32_e32 v103, -1, v103
	s_add_i32 s14, s14, 4
	v_cmp_eq_u32_e32 vcc, 0, v103
	v_add_u32_e32 v102, 4, v102
	s_or_b64 s[6:7], vcc, s[6:7]
	s_waitcnt vmcnt(0) lgkmcnt(0)
	v_fmac_f32_e32 v101, v104, v105
	s_andn2_b64 exec, exec, s[6:7]
	s_cbranch_execnz .LBB41_143
; %bb.144:
	s_or_b64 exec, exec, s[6:7]
.LBB41_145:
	s_or_b64 exec, exec, s[12:13]
	v_mov_b32_e32 v102, 0
	ds_read_b32 v102, v102 offset:104
	s_waitcnt lgkmcnt(0)
	v_mul_f32_e32 v101, v101, v102
	buffer_store_dword v101, off, s[0:3], 0 offset:104
.LBB41_146:
	s_or_b64 exec, exec, s[10:11]
	buffer_load_dword v101, off, s[0:3], 0 offset:100
	v_cmp_lt_u32_e64 s[6:7], 25, v0
	s_waitcnt vmcnt(0)
	ds_write_b32 v86, v101
	s_waitcnt lgkmcnt(0)
	; wave barrier
	s_waitcnt lgkmcnt(0)
	s_and_saveexec_b64 s[10:11], s[6:7]
	s_cbranch_execz .LBB41_156
; %bb.147:
	s_andn2_b64 vcc, exec, s[8:9]
	s_cbranch_vccnz .LBB41_149
; %bb.148:
	buffer_load_dword v101, v87, s[0:3], 0 offen
	ds_read_b32 v102, v86
	s_waitcnt vmcnt(0) lgkmcnt(0)
	v_mul_f32_e32 v101, v101, v102
	s_cbranch_execz .LBB41_150
	s_branch .LBB41_151
.LBB41_149:
                                        ; implicit-def: $vgpr101
.LBB41_150:
	ds_read_b32 v101, v86
.LBB41_151:
	s_and_saveexec_b64 s[12:13], s[4:5]
	s_cbranch_execz .LBB41_155
; %bb.152:
	v_subrev_u32_e32 v102, 26, v0
	s_movk_i32 s14, 0x118
	s_mov_b64 s[4:5], 0
.LBB41_153:                             ; =>This Inner Loop Header: Depth=1
	buffer_load_dword v103, v100, s[0:3], 0 offen
	v_mov_b32_e32 v104, s14
	ds_read_b32 v104, v104
	v_add_u32_e32 v102, -1, v102
	s_add_i32 s14, s14, 4
	v_cmp_eq_u32_e32 vcc, 0, v102
	v_add_u32_e32 v100, 4, v100
	s_or_b64 s[4:5], vcc, s[4:5]
	s_waitcnt vmcnt(0) lgkmcnt(0)
	v_fmac_f32_e32 v101, v103, v104
	s_andn2_b64 exec, exec, s[4:5]
	s_cbranch_execnz .LBB41_153
; %bb.154:
	s_or_b64 exec, exec, s[4:5]
.LBB41_155:
	s_or_b64 exec, exec, s[12:13]
	v_mov_b32_e32 v100, 0
	ds_read_b32 v100, v100 offset:100
	s_waitcnt lgkmcnt(0)
	v_mul_f32_e32 v100, v101, v100
	buffer_store_dword v100, off, s[0:3], 0 offset:100
.LBB41_156:
	s_or_b64 exec, exec, s[10:11]
	buffer_load_dword v100, off, s[0:3], 0 offset:96
	v_cmp_lt_u32_e64 s[4:5], 24, v0
	s_waitcnt vmcnt(0)
	ds_write_b32 v86, v100
	s_waitcnt lgkmcnt(0)
	; wave barrier
	s_waitcnt lgkmcnt(0)
	s_and_saveexec_b64 s[10:11], s[4:5]
	s_cbranch_execz .LBB41_166
; %bb.157:
	s_andn2_b64 vcc, exec, s[8:9]
	s_cbranch_vccnz .LBB41_159
; %bb.158:
	buffer_load_dword v100, v87, s[0:3], 0 offen
	ds_read_b32 v101, v86
	s_waitcnt vmcnt(0) lgkmcnt(0)
	v_mul_f32_e32 v100, v100, v101
	s_cbranch_execz .LBB41_160
	s_branch .LBB41_161
.LBB41_159:
                                        ; implicit-def: $vgpr100
.LBB41_160:
	ds_read_b32 v100, v86
.LBB41_161:
	s_and_saveexec_b64 s[12:13], s[6:7]
	s_cbranch_execz .LBB41_165
; %bb.162:
	v_mov_b32_e32 v101, 0
	v_add_u32_e32 v101, 0x64, v101
	v_subrev_u32_e32 v102, 25, v0
	s_movk_i32 s14, 0x114
	s_mov_b64 s[6:7], 0
.LBB41_163:                             ; =>This Inner Loop Header: Depth=1
	buffer_load_dword v103, v101, s[0:3], 0 offen
	v_mov_b32_e32 v104, s14
	ds_read_b32 v104, v104
	v_add_u32_e32 v102, -1, v102
	s_add_i32 s14, s14, 4
	v_cmp_eq_u32_e32 vcc, 0, v102
	v_add_u32_e32 v101, 4, v101
	s_or_b64 s[6:7], vcc, s[6:7]
	s_waitcnt vmcnt(0) lgkmcnt(0)
	v_fmac_f32_e32 v100, v103, v104
	s_andn2_b64 exec, exec, s[6:7]
	s_cbranch_execnz .LBB41_163
; %bb.164:
	s_or_b64 exec, exec, s[6:7]
.LBB41_165:
	s_or_b64 exec, exec, s[12:13]
	v_mov_b32_e32 v101, 0
	ds_read_b32 v101, v101 offset:96
	s_waitcnt lgkmcnt(0)
	v_mul_f32_e32 v100, v100, v101
	buffer_store_dword v100, off, s[0:3], 0 offset:96
.LBB41_166:
	s_or_b64 exec, exec, s[10:11]
	buffer_load_dword v100, off, s[0:3], 0 offset:92
	v_cmp_lt_u32_e64 s[6:7], 23, v0
	s_waitcnt vmcnt(0)
	ds_write_b32 v86, v100
	s_waitcnt lgkmcnt(0)
	; wave barrier
	s_waitcnt lgkmcnt(0)
	s_and_saveexec_b64 s[10:11], s[6:7]
	s_cbranch_execz .LBB41_176
; %bb.167:
	s_andn2_b64 vcc, exec, s[8:9]
	s_cbranch_vccnz .LBB41_169
; %bb.168:
	buffer_load_dword v100, v87, s[0:3], 0 offen
	ds_read_b32 v101, v86
	s_waitcnt vmcnt(0) lgkmcnt(0)
	v_mul_f32_e32 v100, v100, v101
	s_cbranch_execz .LBB41_170
	s_branch .LBB41_171
.LBB41_169:
                                        ; implicit-def: $vgpr100
.LBB41_170:
	ds_read_b32 v100, v86
.LBB41_171:
	s_and_saveexec_b64 s[12:13], s[4:5]
	s_cbranch_execz .LBB41_175
; %bb.172:
	v_subrev_u32_e32 v101, 24, v0
	s_movk_i32 s14, 0x110
	s_mov_b64 s[4:5], 0
.LBB41_173:                             ; =>This Inner Loop Header: Depth=1
	buffer_load_dword v102, v99, s[0:3], 0 offen
	v_mov_b32_e32 v103, s14
	ds_read_b32 v103, v103
	v_add_u32_e32 v101, -1, v101
	s_add_i32 s14, s14, 4
	v_cmp_eq_u32_e32 vcc, 0, v101
	v_add_u32_e32 v99, 4, v99
	s_or_b64 s[4:5], vcc, s[4:5]
	s_waitcnt vmcnt(0) lgkmcnt(0)
	v_fmac_f32_e32 v100, v102, v103
	s_andn2_b64 exec, exec, s[4:5]
	s_cbranch_execnz .LBB41_173
; %bb.174:
	s_or_b64 exec, exec, s[4:5]
.LBB41_175:
	s_or_b64 exec, exec, s[12:13]
	v_mov_b32_e32 v99, 0
	ds_read_b32 v99, v99 offset:92
	s_waitcnt lgkmcnt(0)
	v_mul_f32_e32 v99, v100, v99
	buffer_store_dword v99, off, s[0:3], 0 offset:92
.LBB41_176:
	s_or_b64 exec, exec, s[10:11]
	buffer_load_dword v99, off, s[0:3], 0 offset:88
	v_cmp_lt_u32_e64 s[4:5], 22, v0
	s_waitcnt vmcnt(0)
	ds_write_b32 v86, v99
	s_waitcnt lgkmcnt(0)
	; wave barrier
	s_waitcnt lgkmcnt(0)
	s_and_saveexec_b64 s[10:11], s[4:5]
	s_cbranch_execz .LBB41_186
; %bb.177:
	s_andn2_b64 vcc, exec, s[8:9]
	s_cbranch_vccnz .LBB41_179
; %bb.178:
	buffer_load_dword v99, v87, s[0:3], 0 offen
	ds_read_b32 v100, v86
	s_waitcnt vmcnt(0) lgkmcnt(0)
	v_mul_f32_e32 v99, v99, v100
	s_cbranch_execz .LBB41_180
	s_branch .LBB41_181
.LBB41_179:
                                        ; implicit-def: $vgpr99
.LBB41_180:
	ds_read_b32 v99, v86
.LBB41_181:
	s_and_saveexec_b64 s[12:13], s[6:7]
	s_cbranch_execz .LBB41_185
; %bb.182:
	v_mov_b32_e32 v100, 0
	v_add_u32_e32 v100, 0x5c, v100
	v_subrev_u32_e32 v101, 23, v0
	s_movk_i32 s14, 0x10c
	s_mov_b64 s[6:7], 0
.LBB41_183:                             ; =>This Inner Loop Header: Depth=1
	buffer_load_dword v102, v100, s[0:3], 0 offen
	v_mov_b32_e32 v103, s14
	ds_read_b32 v103, v103
	v_add_u32_e32 v101, -1, v101
	s_add_i32 s14, s14, 4
	v_cmp_eq_u32_e32 vcc, 0, v101
	v_add_u32_e32 v100, 4, v100
	s_or_b64 s[6:7], vcc, s[6:7]
	s_waitcnt vmcnt(0) lgkmcnt(0)
	v_fmac_f32_e32 v99, v102, v103
	s_andn2_b64 exec, exec, s[6:7]
	s_cbranch_execnz .LBB41_183
; %bb.184:
	s_or_b64 exec, exec, s[6:7]
.LBB41_185:
	s_or_b64 exec, exec, s[12:13]
	v_mov_b32_e32 v100, 0
	ds_read_b32 v100, v100 offset:88
	s_waitcnt lgkmcnt(0)
	v_mul_f32_e32 v99, v99, v100
	buffer_store_dword v99, off, s[0:3], 0 offset:88
.LBB41_186:
	s_or_b64 exec, exec, s[10:11]
	buffer_load_dword v99, off, s[0:3], 0 offset:84
	v_cmp_lt_u32_e64 s[6:7], 21, v0
	s_waitcnt vmcnt(0)
	ds_write_b32 v86, v99
	s_waitcnt lgkmcnt(0)
	; wave barrier
	s_waitcnt lgkmcnt(0)
	s_and_saveexec_b64 s[10:11], s[6:7]
	s_cbranch_execz .LBB41_196
; %bb.187:
	s_andn2_b64 vcc, exec, s[8:9]
	s_cbranch_vccnz .LBB41_189
; %bb.188:
	buffer_load_dword v99, v87, s[0:3], 0 offen
	ds_read_b32 v100, v86
	s_waitcnt vmcnt(0) lgkmcnt(0)
	v_mul_f32_e32 v99, v99, v100
	s_cbranch_execz .LBB41_190
	s_branch .LBB41_191
.LBB41_189:
                                        ; implicit-def: $vgpr99
.LBB41_190:
	ds_read_b32 v99, v86
.LBB41_191:
	s_and_saveexec_b64 s[12:13], s[4:5]
	s_cbranch_execz .LBB41_195
; %bb.192:
	v_subrev_u32_e32 v100, 22, v0
	s_movk_i32 s14, 0x108
	s_mov_b64 s[4:5], 0
.LBB41_193:                             ; =>This Inner Loop Header: Depth=1
	buffer_load_dword v101, v98, s[0:3], 0 offen
	v_mov_b32_e32 v102, s14
	ds_read_b32 v102, v102
	v_add_u32_e32 v100, -1, v100
	s_add_i32 s14, s14, 4
	v_cmp_eq_u32_e32 vcc, 0, v100
	v_add_u32_e32 v98, 4, v98
	s_or_b64 s[4:5], vcc, s[4:5]
	s_waitcnt vmcnt(0) lgkmcnt(0)
	v_fmac_f32_e32 v99, v101, v102
	s_andn2_b64 exec, exec, s[4:5]
	s_cbranch_execnz .LBB41_193
; %bb.194:
	s_or_b64 exec, exec, s[4:5]
.LBB41_195:
	s_or_b64 exec, exec, s[12:13]
	v_mov_b32_e32 v98, 0
	ds_read_b32 v98, v98 offset:84
	s_waitcnt lgkmcnt(0)
	v_mul_f32_e32 v98, v99, v98
	buffer_store_dword v98, off, s[0:3], 0 offset:84
.LBB41_196:
	s_or_b64 exec, exec, s[10:11]
	buffer_load_dword v98, off, s[0:3], 0 offset:80
	v_cmp_lt_u32_e64 s[4:5], 20, v0
	s_waitcnt vmcnt(0)
	ds_write_b32 v86, v98
	s_waitcnt lgkmcnt(0)
	; wave barrier
	s_waitcnt lgkmcnt(0)
	s_and_saveexec_b64 s[10:11], s[4:5]
	s_cbranch_execz .LBB41_206
; %bb.197:
	s_andn2_b64 vcc, exec, s[8:9]
	s_cbranch_vccnz .LBB41_199
; %bb.198:
	buffer_load_dword v98, v87, s[0:3], 0 offen
	ds_read_b32 v99, v86
	s_waitcnt vmcnt(0) lgkmcnt(0)
	v_mul_f32_e32 v98, v98, v99
	s_cbranch_execz .LBB41_200
	s_branch .LBB41_201
.LBB41_199:
                                        ; implicit-def: $vgpr98
.LBB41_200:
	ds_read_b32 v98, v86
.LBB41_201:
	s_and_saveexec_b64 s[12:13], s[6:7]
	s_cbranch_execz .LBB41_205
; %bb.202:
	v_mov_b32_e32 v99, 0
	v_add_u32_e32 v99, 0x54, v99
	v_subrev_u32_e32 v100, 21, v0
	s_movk_i32 s14, 0x104
	s_mov_b64 s[6:7], 0
.LBB41_203:                             ; =>This Inner Loop Header: Depth=1
	buffer_load_dword v101, v99, s[0:3], 0 offen
	v_mov_b32_e32 v102, s14
	ds_read_b32 v102, v102
	v_add_u32_e32 v100, -1, v100
	s_add_i32 s14, s14, 4
	v_cmp_eq_u32_e32 vcc, 0, v100
	v_add_u32_e32 v99, 4, v99
	s_or_b64 s[6:7], vcc, s[6:7]
	s_waitcnt vmcnt(0) lgkmcnt(0)
	v_fmac_f32_e32 v98, v101, v102
	s_andn2_b64 exec, exec, s[6:7]
	s_cbranch_execnz .LBB41_203
; %bb.204:
	s_or_b64 exec, exec, s[6:7]
.LBB41_205:
	s_or_b64 exec, exec, s[12:13]
	v_mov_b32_e32 v99, 0
	ds_read_b32 v99, v99 offset:80
	s_waitcnt lgkmcnt(0)
	v_mul_f32_e32 v98, v98, v99
	buffer_store_dword v98, off, s[0:3], 0 offset:80
.LBB41_206:
	s_or_b64 exec, exec, s[10:11]
	buffer_load_dword v98, off, s[0:3], 0 offset:76
	v_cmp_lt_u32_e64 s[6:7], 19, v0
	s_waitcnt vmcnt(0)
	ds_write_b32 v86, v98
	s_waitcnt lgkmcnt(0)
	; wave barrier
	s_waitcnt lgkmcnt(0)
	s_and_saveexec_b64 s[10:11], s[6:7]
	s_cbranch_execz .LBB41_216
; %bb.207:
	s_andn2_b64 vcc, exec, s[8:9]
	s_cbranch_vccnz .LBB41_209
; %bb.208:
	buffer_load_dword v98, v87, s[0:3], 0 offen
	ds_read_b32 v99, v86
	s_waitcnt vmcnt(0) lgkmcnt(0)
	v_mul_f32_e32 v98, v98, v99
	s_cbranch_execz .LBB41_210
	s_branch .LBB41_211
.LBB41_209:
                                        ; implicit-def: $vgpr98
.LBB41_210:
	ds_read_b32 v98, v86
.LBB41_211:
	s_and_saveexec_b64 s[12:13], s[4:5]
	s_cbranch_execz .LBB41_215
; %bb.212:
	v_subrev_u32_e32 v99, 20, v0
	s_movk_i32 s14, 0x100
	s_mov_b64 s[4:5], 0
.LBB41_213:                             ; =>This Inner Loop Header: Depth=1
	buffer_load_dword v100, v97, s[0:3], 0 offen
	v_mov_b32_e32 v101, s14
	ds_read_b32 v101, v101
	v_add_u32_e32 v99, -1, v99
	s_add_i32 s14, s14, 4
	v_cmp_eq_u32_e32 vcc, 0, v99
	v_add_u32_e32 v97, 4, v97
	s_or_b64 s[4:5], vcc, s[4:5]
	s_waitcnt vmcnt(0) lgkmcnt(0)
	v_fmac_f32_e32 v98, v100, v101
	s_andn2_b64 exec, exec, s[4:5]
	s_cbranch_execnz .LBB41_213
; %bb.214:
	s_or_b64 exec, exec, s[4:5]
.LBB41_215:
	s_or_b64 exec, exec, s[12:13]
	v_mov_b32_e32 v97, 0
	ds_read_b32 v97, v97 offset:76
	s_waitcnt lgkmcnt(0)
	v_mul_f32_e32 v97, v98, v97
	buffer_store_dword v97, off, s[0:3], 0 offset:76
.LBB41_216:
	s_or_b64 exec, exec, s[10:11]
	buffer_load_dword v97, off, s[0:3], 0 offset:72
	v_cmp_lt_u32_e64 s[4:5], 18, v0
	s_waitcnt vmcnt(0)
	ds_write_b32 v86, v97
	s_waitcnt lgkmcnt(0)
	; wave barrier
	s_waitcnt lgkmcnt(0)
	s_and_saveexec_b64 s[10:11], s[4:5]
	s_cbranch_execz .LBB41_226
; %bb.217:
	s_andn2_b64 vcc, exec, s[8:9]
	s_cbranch_vccnz .LBB41_219
; %bb.218:
	buffer_load_dword v97, v87, s[0:3], 0 offen
	ds_read_b32 v98, v86
	s_waitcnt vmcnt(0) lgkmcnt(0)
	v_mul_f32_e32 v97, v97, v98
	s_cbranch_execz .LBB41_220
	s_branch .LBB41_221
.LBB41_219:
                                        ; implicit-def: $vgpr97
.LBB41_220:
	ds_read_b32 v97, v86
.LBB41_221:
	s_and_saveexec_b64 s[12:13], s[6:7]
	s_cbranch_execz .LBB41_225
; %bb.222:
	v_mov_b32_e32 v98, 0
	v_add_u32_e32 v98, 0x4c, v98
	v_subrev_u32_e32 v99, 19, v0
	s_movk_i32 s14, 0xfc
	s_mov_b64 s[6:7], 0
.LBB41_223:                             ; =>This Inner Loop Header: Depth=1
	buffer_load_dword v100, v98, s[0:3], 0 offen
	v_mov_b32_e32 v101, s14
	ds_read_b32 v101, v101
	v_add_u32_e32 v99, -1, v99
	s_add_i32 s14, s14, 4
	v_cmp_eq_u32_e32 vcc, 0, v99
	v_add_u32_e32 v98, 4, v98
	s_or_b64 s[6:7], vcc, s[6:7]
	s_waitcnt vmcnt(0) lgkmcnt(0)
	v_fmac_f32_e32 v97, v100, v101
	s_andn2_b64 exec, exec, s[6:7]
	s_cbranch_execnz .LBB41_223
; %bb.224:
	s_or_b64 exec, exec, s[6:7]
.LBB41_225:
	s_or_b64 exec, exec, s[12:13]
	v_mov_b32_e32 v98, 0
	ds_read_b32 v98, v98 offset:72
	s_waitcnt lgkmcnt(0)
	v_mul_f32_e32 v97, v97, v98
	buffer_store_dword v97, off, s[0:3], 0 offset:72
.LBB41_226:
	s_or_b64 exec, exec, s[10:11]
	buffer_load_dword v97, off, s[0:3], 0 offset:68
	v_cmp_lt_u32_e64 s[6:7], 17, v0
	s_waitcnt vmcnt(0)
	ds_write_b32 v86, v97
	s_waitcnt lgkmcnt(0)
	; wave barrier
	s_waitcnt lgkmcnt(0)
	s_and_saveexec_b64 s[10:11], s[6:7]
	s_cbranch_execz .LBB41_236
; %bb.227:
	s_andn2_b64 vcc, exec, s[8:9]
	s_cbranch_vccnz .LBB41_229
; %bb.228:
	buffer_load_dword v97, v87, s[0:3], 0 offen
	ds_read_b32 v98, v86
	s_waitcnt vmcnt(0) lgkmcnt(0)
	v_mul_f32_e32 v97, v97, v98
	s_cbranch_execz .LBB41_230
	s_branch .LBB41_231
.LBB41_229:
                                        ; implicit-def: $vgpr97
.LBB41_230:
	ds_read_b32 v97, v86
.LBB41_231:
	s_and_saveexec_b64 s[12:13], s[4:5]
	s_cbranch_execz .LBB41_235
; %bb.232:
	v_subrev_u32_e32 v98, 18, v0
	s_movk_i32 s14, 0xf8
	s_mov_b64 s[4:5], 0
.LBB41_233:                             ; =>This Inner Loop Header: Depth=1
	buffer_load_dword v99, v96, s[0:3], 0 offen
	v_mov_b32_e32 v100, s14
	ds_read_b32 v100, v100
	v_add_u32_e32 v98, -1, v98
	s_add_i32 s14, s14, 4
	v_cmp_eq_u32_e32 vcc, 0, v98
	v_add_u32_e32 v96, 4, v96
	s_or_b64 s[4:5], vcc, s[4:5]
	s_waitcnt vmcnt(0) lgkmcnt(0)
	v_fmac_f32_e32 v97, v99, v100
	s_andn2_b64 exec, exec, s[4:5]
	s_cbranch_execnz .LBB41_233
; %bb.234:
	s_or_b64 exec, exec, s[4:5]
.LBB41_235:
	s_or_b64 exec, exec, s[12:13]
	v_mov_b32_e32 v96, 0
	ds_read_b32 v96, v96 offset:68
	s_waitcnt lgkmcnt(0)
	v_mul_f32_e32 v96, v97, v96
	buffer_store_dword v96, off, s[0:3], 0 offset:68
.LBB41_236:
	s_or_b64 exec, exec, s[10:11]
	buffer_load_dword v96, off, s[0:3], 0 offset:64
	v_cmp_lt_u32_e64 s[4:5], 16, v0
	s_waitcnt vmcnt(0)
	ds_write_b32 v86, v96
	s_waitcnt lgkmcnt(0)
	; wave barrier
	s_waitcnt lgkmcnt(0)
	s_and_saveexec_b64 s[10:11], s[4:5]
	s_cbranch_execz .LBB41_246
; %bb.237:
	s_andn2_b64 vcc, exec, s[8:9]
	s_cbranch_vccnz .LBB41_239
; %bb.238:
	buffer_load_dword v96, v87, s[0:3], 0 offen
	ds_read_b32 v97, v86
	s_waitcnt vmcnt(0) lgkmcnt(0)
	v_mul_f32_e32 v96, v96, v97
	s_cbranch_execz .LBB41_240
	s_branch .LBB41_241
.LBB41_239:
                                        ; implicit-def: $vgpr96
.LBB41_240:
	ds_read_b32 v96, v86
.LBB41_241:
	s_and_saveexec_b64 s[12:13], s[6:7]
	s_cbranch_execz .LBB41_245
; %bb.242:
	v_mov_b32_e32 v97, 0
	v_add_u32_e32 v97, 0x44, v97
	v_subrev_u32_e32 v98, 17, v0
	s_movk_i32 s14, 0xf4
	s_mov_b64 s[6:7], 0
.LBB41_243:                             ; =>This Inner Loop Header: Depth=1
	buffer_load_dword v99, v97, s[0:3], 0 offen
	v_mov_b32_e32 v100, s14
	ds_read_b32 v100, v100
	v_add_u32_e32 v98, -1, v98
	s_add_i32 s14, s14, 4
	v_cmp_eq_u32_e32 vcc, 0, v98
	v_add_u32_e32 v97, 4, v97
	s_or_b64 s[6:7], vcc, s[6:7]
	s_waitcnt vmcnt(0) lgkmcnt(0)
	v_fmac_f32_e32 v96, v99, v100
	s_andn2_b64 exec, exec, s[6:7]
	s_cbranch_execnz .LBB41_243
; %bb.244:
	s_or_b64 exec, exec, s[6:7]
.LBB41_245:
	s_or_b64 exec, exec, s[12:13]
	v_mov_b32_e32 v97, 0
	ds_read_b32 v97, v97 offset:64
	s_waitcnt lgkmcnt(0)
	v_mul_f32_e32 v96, v96, v97
	buffer_store_dword v96, off, s[0:3], 0 offset:64
.LBB41_246:
	s_or_b64 exec, exec, s[10:11]
	buffer_load_dword v96, off, s[0:3], 0 offset:60
	v_cmp_lt_u32_e64 s[6:7], 15, v0
	s_waitcnt vmcnt(0)
	ds_write_b32 v86, v96
	s_waitcnt lgkmcnt(0)
	; wave barrier
	s_waitcnt lgkmcnt(0)
	s_and_saveexec_b64 s[10:11], s[6:7]
	s_cbranch_execz .LBB41_256
; %bb.247:
	s_andn2_b64 vcc, exec, s[8:9]
	s_cbranch_vccnz .LBB41_249
; %bb.248:
	buffer_load_dword v96, v87, s[0:3], 0 offen
	ds_read_b32 v97, v86
	s_waitcnt vmcnt(0) lgkmcnt(0)
	v_mul_f32_e32 v96, v96, v97
	s_cbranch_execz .LBB41_250
	s_branch .LBB41_251
.LBB41_249:
                                        ; implicit-def: $vgpr96
.LBB41_250:
	ds_read_b32 v96, v86
.LBB41_251:
	s_and_saveexec_b64 s[12:13], s[4:5]
	s_cbranch_execz .LBB41_255
; %bb.252:
	v_add_u32_e32 v97, -16, v0
	s_movk_i32 s14, 0xf0
	s_mov_b64 s[4:5], 0
.LBB41_253:                             ; =>This Inner Loop Header: Depth=1
	buffer_load_dword v98, v95, s[0:3], 0 offen
	v_mov_b32_e32 v99, s14
	ds_read_b32 v99, v99
	v_add_u32_e32 v97, -1, v97
	s_add_i32 s14, s14, 4
	v_cmp_eq_u32_e32 vcc, 0, v97
	v_add_u32_e32 v95, 4, v95
	s_or_b64 s[4:5], vcc, s[4:5]
	s_waitcnt vmcnt(0) lgkmcnt(0)
	v_fmac_f32_e32 v96, v98, v99
	s_andn2_b64 exec, exec, s[4:5]
	s_cbranch_execnz .LBB41_253
; %bb.254:
	s_or_b64 exec, exec, s[4:5]
.LBB41_255:
	s_or_b64 exec, exec, s[12:13]
	v_mov_b32_e32 v95, 0
	ds_read_b32 v95, v95 offset:60
	s_waitcnt lgkmcnt(0)
	v_mul_f32_e32 v95, v96, v95
	buffer_store_dword v95, off, s[0:3], 0 offset:60
.LBB41_256:
	s_or_b64 exec, exec, s[10:11]
	buffer_load_dword v95, off, s[0:3], 0 offset:56
	v_cmp_lt_u32_e64 s[4:5], 14, v0
	s_waitcnt vmcnt(0)
	ds_write_b32 v86, v95
	s_waitcnt lgkmcnt(0)
	; wave barrier
	s_waitcnt lgkmcnt(0)
	s_and_saveexec_b64 s[10:11], s[4:5]
	s_cbranch_execz .LBB41_266
; %bb.257:
	s_andn2_b64 vcc, exec, s[8:9]
	s_cbranch_vccnz .LBB41_259
; %bb.258:
	buffer_load_dword v95, v87, s[0:3], 0 offen
	ds_read_b32 v96, v86
	s_waitcnt vmcnt(0) lgkmcnt(0)
	v_mul_f32_e32 v95, v95, v96
	s_cbranch_execz .LBB41_260
	s_branch .LBB41_261
.LBB41_259:
                                        ; implicit-def: $vgpr95
.LBB41_260:
	ds_read_b32 v95, v86
.LBB41_261:
	s_and_saveexec_b64 s[12:13], s[6:7]
	s_cbranch_execz .LBB41_265
; %bb.262:
	v_mov_b32_e32 v96, 0
	v_add_u32_e32 v96, 60, v96
	v_add_u32_e32 v97, -15, v0
	s_movk_i32 s14, 0xec
	s_mov_b64 s[6:7], 0
.LBB41_263:                             ; =>This Inner Loop Header: Depth=1
	buffer_load_dword v98, v96, s[0:3], 0 offen
	v_mov_b32_e32 v99, s14
	ds_read_b32 v99, v99
	v_add_u32_e32 v97, -1, v97
	s_add_i32 s14, s14, 4
	v_cmp_eq_u32_e32 vcc, 0, v97
	v_add_u32_e32 v96, 4, v96
	s_or_b64 s[6:7], vcc, s[6:7]
	s_waitcnt vmcnt(0) lgkmcnt(0)
	v_fmac_f32_e32 v95, v98, v99
	s_andn2_b64 exec, exec, s[6:7]
	s_cbranch_execnz .LBB41_263
; %bb.264:
	s_or_b64 exec, exec, s[6:7]
.LBB41_265:
	s_or_b64 exec, exec, s[12:13]
	v_mov_b32_e32 v96, 0
	ds_read_b32 v96, v96 offset:56
	s_waitcnt lgkmcnt(0)
	v_mul_f32_e32 v95, v95, v96
	buffer_store_dword v95, off, s[0:3], 0 offset:56
.LBB41_266:
	s_or_b64 exec, exec, s[10:11]
	buffer_load_dword v95, off, s[0:3], 0 offset:52
	v_cmp_lt_u32_e64 s[6:7], 13, v0
	s_waitcnt vmcnt(0)
	ds_write_b32 v86, v95
	s_waitcnt lgkmcnt(0)
	; wave barrier
	s_waitcnt lgkmcnt(0)
	s_and_saveexec_b64 s[10:11], s[6:7]
	s_cbranch_execz .LBB41_276
; %bb.267:
	s_andn2_b64 vcc, exec, s[8:9]
	s_cbranch_vccnz .LBB41_269
; %bb.268:
	buffer_load_dword v95, v87, s[0:3], 0 offen
	ds_read_b32 v96, v86
	s_waitcnt vmcnt(0) lgkmcnt(0)
	v_mul_f32_e32 v95, v95, v96
	s_cbranch_execz .LBB41_270
	s_branch .LBB41_271
.LBB41_269:
                                        ; implicit-def: $vgpr95
.LBB41_270:
	ds_read_b32 v95, v86
.LBB41_271:
	s_and_saveexec_b64 s[12:13], s[4:5]
	s_cbranch_execz .LBB41_275
; %bb.272:
	v_add_u32_e32 v96, -14, v0
	s_movk_i32 s14, 0xe8
	s_mov_b64 s[4:5], 0
.LBB41_273:                             ; =>This Inner Loop Header: Depth=1
	buffer_load_dword v97, v94, s[0:3], 0 offen
	v_mov_b32_e32 v98, s14
	ds_read_b32 v98, v98
	v_add_u32_e32 v96, -1, v96
	s_add_i32 s14, s14, 4
	v_cmp_eq_u32_e32 vcc, 0, v96
	v_add_u32_e32 v94, 4, v94
	s_or_b64 s[4:5], vcc, s[4:5]
	s_waitcnt vmcnt(0) lgkmcnt(0)
	v_fmac_f32_e32 v95, v97, v98
	s_andn2_b64 exec, exec, s[4:5]
	s_cbranch_execnz .LBB41_273
; %bb.274:
	s_or_b64 exec, exec, s[4:5]
.LBB41_275:
	s_or_b64 exec, exec, s[12:13]
	v_mov_b32_e32 v94, 0
	ds_read_b32 v94, v94 offset:52
	s_waitcnt lgkmcnt(0)
	v_mul_f32_e32 v94, v95, v94
	buffer_store_dword v94, off, s[0:3], 0 offset:52
.LBB41_276:
	s_or_b64 exec, exec, s[10:11]
	buffer_load_dword v94, off, s[0:3], 0 offset:48
	v_cmp_lt_u32_e64 s[4:5], 12, v0
	s_waitcnt vmcnt(0)
	ds_write_b32 v86, v94
	s_waitcnt lgkmcnt(0)
	; wave barrier
	s_waitcnt lgkmcnt(0)
	s_and_saveexec_b64 s[10:11], s[4:5]
	s_cbranch_execz .LBB41_286
; %bb.277:
	s_andn2_b64 vcc, exec, s[8:9]
	s_cbranch_vccnz .LBB41_279
; %bb.278:
	buffer_load_dword v94, v87, s[0:3], 0 offen
	ds_read_b32 v95, v86
	s_waitcnt vmcnt(0) lgkmcnt(0)
	v_mul_f32_e32 v94, v94, v95
	s_cbranch_execz .LBB41_280
	s_branch .LBB41_281
.LBB41_279:
                                        ; implicit-def: $vgpr94
.LBB41_280:
	ds_read_b32 v94, v86
.LBB41_281:
	s_and_saveexec_b64 s[12:13], s[6:7]
	s_cbranch_execz .LBB41_285
; %bb.282:
	v_mov_b32_e32 v95, 0
	v_add_u32_e32 v95, 52, v95
	v_add_u32_e32 v96, -13, v0
	s_movk_i32 s14, 0xe4
	s_mov_b64 s[6:7], 0
.LBB41_283:                             ; =>This Inner Loop Header: Depth=1
	buffer_load_dword v97, v95, s[0:3], 0 offen
	v_mov_b32_e32 v98, s14
	ds_read_b32 v98, v98
	v_add_u32_e32 v96, -1, v96
	s_add_i32 s14, s14, 4
	v_cmp_eq_u32_e32 vcc, 0, v96
	v_add_u32_e32 v95, 4, v95
	s_or_b64 s[6:7], vcc, s[6:7]
	s_waitcnt vmcnt(0) lgkmcnt(0)
	v_fmac_f32_e32 v94, v97, v98
	s_andn2_b64 exec, exec, s[6:7]
	s_cbranch_execnz .LBB41_283
; %bb.284:
	s_or_b64 exec, exec, s[6:7]
.LBB41_285:
	s_or_b64 exec, exec, s[12:13]
	v_mov_b32_e32 v95, 0
	ds_read_b32 v95, v95 offset:48
	s_waitcnt lgkmcnt(0)
	v_mul_f32_e32 v94, v94, v95
	buffer_store_dword v94, off, s[0:3], 0 offset:48
.LBB41_286:
	s_or_b64 exec, exec, s[10:11]
	buffer_load_dword v94, off, s[0:3], 0 offset:44
	v_cmp_lt_u32_e64 s[6:7], 11, v0
	s_waitcnt vmcnt(0)
	ds_write_b32 v86, v94
	s_waitcnt lgkmcnt(0)
	; wave barrier
	s_waitcnt lgkmcnt(0)
	s_and_saveexec_b64 s[10:11], s[6:7]
	s_cbranch_execz .LBB41_296
; %bb.287:
	s_andn2_b64 vcc, exec, s[8:9]
	s_cbranch_vccnz .LBB41_289
; %bb.288:
	buffer_load_dword v94, v87, s[0:3], 0 offen
	ds_read_b32 v95, v86
	s_waitcnt vmcnt(0) lgkmcnt(0)
	v_mul_f32_e32 v94, v94, v95
	s_cbranch_execz .LBB41_290
	s_branch .LBB41_291
.LBB41_289:
                                        ; implicit-def: $vgpr94
.LBB41_290:
	ds_read_b32 v94, v86
.LBB41_291:
	s_and_saveexec_b64 s[12:13], s[4:5]
	s_cbranch_execz .LBB41_295
; %bb.292:
	v_add_u32_e32 v95, -12, v0
	s_movk_i32 s14, 0xe0
	s_mov_b64 s[4:5], 0
.LBB41_293:                             ; =>This Inner Loop Header: Depth=1
	buffer_load_dword v96, v93, s[0:3], 0 offen
	v_mov_b32_e32 v97, s14
	ds_read_b32 v97, v97
	v_add_u32_e32 v95, -1, v95
	s_add_i32 s14, s14, 4
	v_cmp_eq_u32_e32 vcc, 0, v95
	v_add_u32_e32 v93, 4, v93
	s_or_b64 s[4:5], vcc, s[4:5]
	s_waitcnt vmcnt(0) lgkmcnt(0)
	v_fmac_f32_e32 v94, v96, v97
	s_andn2_b64 exec, exec, s[4:5]
	s_cbranch_execnz .LBB41_293
; %bb.294:
	s_or_b64 exec, exec, s[4:5]
.LBB41_295:
	s_or_b64 exec, exec, s[12:13]
	v_mov_b32_e32 v93, 0
	ds_read_b32 v93, v93 offset:44
	s_waitcnt lgkmcnt(0)
	v_mul_f32_e32 v93, v94, v93
	buffer_store_dword v93, off, s[0:3], 0 offset:44
.LBB41_296:
	s_or_b64 exec, exec, s[10:11]
	buffer_load_dword v93, off, s[0:3], 0 offset:40
	v_cmp_lt_u32_e64 s[4:5], 10, v0
	s_waitcnt vmcnt(0)
	ds_write_b32 v86, v93
	s_waitcnt lgkmcnt(0)
	; wave barrier
	s_waitcnt lgkmcnt(0)
	s_and_saveexec_b64 s[10:11], s[4:5]
	s_cbranch_execz .LBB41_306
; %bb.297:
	s_andn2_b64 vcc, exec, s[8:9]
	s_cbranch_vccnz .LBB41_299
; %bb.298:
	buffer_load_dword v93, v87, s[0:3], 0 offen
	ds_read_b32 v94, v86
	s_waitcnt vmcnt(0) lgkmcnt(0)
	v_mul_f32_e32 v93, v93, v94
	s_cbranch_execz .LBB41_300
	s_branch .LBB41_301
.LBB41_299:
                                        ; implicit-def: $vgpr93
.LBB41_300:
	ds_read_b32 v93, v86
.LBB41_301:
	s_and_saveexec_b64 s[12:13], s[6:7]
	s_cbranch_execz .LBB41_305
; %bb.302:
	v_mov_b32_e32 v94, 0
	v_add_u32_e32 v94, 44, v94
	v_add_u32_e32 v95, -11, v0
	s_movk_i32 s14, 0xdc
	s_mov_b64 s[6:7], 0
.LBB41_303:                             ; =>This Inner Loop Header: Depth=1
	buffer_load_dword v96, v94, s[0:3], 0 offen
	v_mov_b32_e32 v97, s14
	ds_read_b32 v97, v97
	v_add_u32_e32 v95, -1, v95
	s_add_i32 s14, s14, 4
	v_cmp_eq_u32_e32 vcc, 0, v95
	v_add_u32_e32 v94, 4, v94
	s_or_b64 s[6:7], vcc, s[6:7]
	s_waitcnt vmcnt(0) lgkmcnt(0)
	v_fmac_f32_e32 v93, v96, v97
	s_andn2_b64 exec, exec, s[6:7]
	s_cbranch_execnz .LBB41_303
; %bb.304:
	s_or_b64 exec, exec, s[6:7]
.LBB41_305:
	s_or_b64 exec, exec, s[12:13]
	v_mov_b32_e32 v94, 0
	ds_read_b32 v94, v94 offset:40
	s_waitcnt lgkmcnt(0)
	v_mul_f32_e32 v93, v93, v94
	buffer_store_dword v93, off, s[0:3], 0 offset:40
.LBB41_306:
	s_or_b64 exec, exec, s[10:11]
	buffer_load_dword v93, off, s[0:3], 0 offset:36
	v_cmp_lt_u32_e64 s[6:7], 9, v0
	s_waitcnt vmcnt(0)
	ds_write_b32 v86, v93
	s_waitcnt lgkmcnt(0)
	; wave barrier
	s_waitcnt lgkmcnt(0)
	s_and_saveexec_b64 s[10:11], s[6:7]
	s_cbranch_execz .LBB41_316
; %bb.307:
	s_andn2_b64 vcc, exec, s[8:9]
	s_cbranch_vccnz .LBB41_309
; %bb.308:
	buffer_load_dword v93, v87, s[0:3], 0 offen
	ds_read_b32 v94, v86
	s_waitcnt vmcnt(0) lgkmcnt(0)
	v_mul_f32_e32 v93, v93, v94
	s_cbranch_execz .LBB41_310
	s_branch .LBB41_311
.LBB41_309:
                                        ; implicit-def: $vgpr93
.LBB41_310:
	ds_read_b32 v93, v86
.LBB41_311:
	s_and_saveexec_b64 s[12:13], s[4:5]
	s_cbranch_execz .LBB41_315
; %bb.312:
	v_add_u32_e32 v94, -10, v0
	s_movk_i32 s14, 0xd8
	s_mov_b64 s[4:5], 0
.LBB41_313:                             ; =>This Inner Loop Header: Depth=1
	buffer_load_dword v95, v92, s[0:3], 0 offen
	v_mov_b32_e32 v96, s14
	ds_read_b32 v96, v96
	v_add_u32_e32 v94, -1, v94
	s_add_i32 s14, s14, 4
	v_cmp_eq_u32_e32 vcc, 0, v94
	v_add_u32_e32 v92, 4, v92
	s_or_b64 s[4:5], vcc, s[4:5]
	s_waitcnt vmcnt(0) lgkmcnt(0)
	v_fmac_f32_e32 v93, v95, v96
	s_andn2_b64 exec, exec, s[4:5]
	s_cbranch_execnz .LBB41_313
; %bb.314:
	s_or_b64 exec, exec, s[4:5]
.LBB41_315:
	s_or_b64 exec, exec, s[12:13]
	v_mov_b32_e32 v92, 0
	ds_read_b32 v92, v92 offset:36
	s_waitcnt lgkmcnt(0)
	v_mul_f32_e32 v92, v93, v92
	buffer_store_dword v92, off, s[0:3], 0 offset:36
.LBB41_316:
	s_or_b64 exec, exec, s[10:11]
	buffer_load_dword v92, off, s[0:3], 0 offset:32
	v_cmp_lt_u32_e64 s[4:5], 8, v0
	s_waitcnt vmcnt(0)
	ds_write_b32 v86, v92
	s_waitcnt lgkmcnt(0)
	; wave barrier
	s_waitcnt lgkmcnt(0)
	s_and_saveexec_b64 s[10:11], s[4:5]
	s_cbranch_execz .LBB41_326
; %bb.317:
	s_andn2_b64 vcc, exec, s[8:9]
	s_cbranch_vccnz .LBB41_319
; %bb.318:
	buffer_load_dword v92, v87, s[0:3], 0 offen
	ds_read_b32 v93, v86
	s_waitcnt vmcnt(0) lgkmcnt(0)
	v_mul_f32_e32 v92, v92, v93
	s_cbranch_execz .LBB41_320
	s_branch .LBB41_321
.LBB41_319:
                                        ; implicit-def: $vgpr92
.LBB41_320:
	ds_read_b32 v92, v86
.LBB41_321:
	s_and_saveexec_b64 s[12:13], s[6:7]
	s_cbranch_execz .LBB41_325
; %bb.322:
	v_mov_b32_e32 v93, 0
	v_add_u32_e32 v93, 36, v93
	v_add_u32_e32 v94, -9, v0
	s_movk_i32 s14, 0xd4
	s_mov_b64 s[6:7], 0
.LBB41_323:                             ; =>This Inner Loop Header: Depth=1
	buffer_load_dword v95, v93, s[0:3], 0 offen
	v_mov_b32_e32 v96, s14
	ds_read_b32 v96, v96
	v_add_u32_e32 v94, -1, v94
	s_add_i32 s14, s14, 4
	v_cmp_eq_u32_e32 vcc, 0, v94
	v_add_u32_e32 v93, 4, v93
	s_or_b64 s[6:7], vcc, s[6:7]
	s_waitcnt vmcnt(0) lgkmcnt(0)
	v_fmac_f32_e32 v92, v95, v96
	s_andn2_b64 exec, exec, s[6:7]
	s_cbranch_execnz .LBB41_323
; %bb.324:
	s_or_b64 exec, exec, s[6:7]
.LBB41_325:
	s_or_b64 exec, exec, s[12:13]
	v_mov_b32_e32 v93, 0
	ds_read_b32 v93, v93 offset:32
	s_waitcnt lgkmcnt(0)
	v_mul_f32_e32 v92, v92, v93
	buffer_store_dword v92, off, s[0:3], 0 offset:32
.LBB41_326:
	s_or_b64 exec, exec, s[10:11]
	buffer_load_dword v92, off, s[0:3], 0 offset:28
	v_cmp_lt_u32_e64 s[6:7], 7, v0
	s_waitcnt vmcnt(0)
	ds_write_b32 v86, v92
	s_waitcnt lgkmcnt(0)
	; wave barrier
	s_waitcnt lgkmcnt(0)
	s_and_saveexec_b64 s[10:11], s[6:7]
	s_cbranch_execz .LBB41_336
; %bb.327:
	s_andn2_b64 vcc, exec, s[8:9]
	s_cbranch_vccnz .LBB41_329
; %bb.328:
	buffer_load_dword v92, v87, s[0:3], 0 offen
	ds_read_b32 v93, v86
	s_waitcnt vmcnt(0) lgkmcnt(0)
	v_mul_f32_e32 v92, v92, v93
	s_cbranch_execz .LBB41_330
	s_branch .LBB41_331
.LBB41_329:
                                        ; implicit-def: $vgpr92
.LBB41_330:
	ds_read_b32 v92, v86
.LBB41_331:
	s_and_saveexec_b64 s[12:13], s[4:5]
	s_cbranch_execz .LBB41_335
; %bb.332:
	v_add_u32_e32 v93, -8, v0
	s_movk_i32 s14, 0xd0
	s_mov_b64 s[4:5], 0
.LBB41_333:                             ; =>This Inner Loop Header: Depth=1
	buffer_load_dword v94, v91, s[0:3], 0 offen
	v_mov_b32_e32 v95, s14
	ds_read_b32 v95, v95
	v_add_u32_e32 v93, -1, v93
	s_add_i32 s14, s14, 4
	v_cmp_eq_u32_e32 vcc, 0, v93
	v_add_u32_e32 v91, 4, v91
	s_or_b64 s[4:5], vcc, s[4:5]
	s_waitcnt vmcnt(0) lgkmcnt(0)
	v_fmac_f32_e32 v92, v94, v95
	s_andn2_b64 exec, exec, s[4:5]
	s_cbranch_execnz .LBB41_333
; %bb.334:
	s_or_b64 exec, exec, s[4:5]
.LBB41_335:
	s_or_b64 exec, exec, s[12:13]
	v_mov_b32_e32 v91, 0
	ds_read_b32 v91, v91 offset:28
	s_waitcnt lgkmcnt(0)
	v_mul_f32_e32 v91, v92, v91
	buffer_store_dword v91, off, s[0:3], 0 offset:28
.LBB41_336:
	s_or_b64 exec, exec, s[10:11]
	buffer_load_dword v91, off, s[0:3], 0 offset:24
	v_cmp_lt_u32_e64 s[4:5], 6, v0
	s_waitcnt vmcnt(0)
	ds_write_b32 v86, v91
	s_waitcnt lgkmcnt(0)
	; wave barrier
	s_waitcnt lgkmcnt(0)
	s_and_saveexec_b64 s[10:11], s[4:5]
	s_cbranch_execz .LBB41_346
; %bb.337:
	s_andn2_b64 vcc, exec, s[8:9]
	s_cbranch_vccnz .LBB41_339
; %bb.338:
	buffer_load_dword v91, v87, s[0:3], 0 offen
	ds_read_b32 v92, v86
	s_waitcnt vmcnt(0) lgkmcnt(0)
	v_mul_f32_e32 v91, v91, v92
	s_cbranch_execz .LBB41_340
	s_branch .LBB41_341
.LBB41_339:
                                        ; implicit-def: $vgpr91
.LBB41_340:
	ds_read_b32 v91, v86
.LBB41_341:
	s_and_saveexec_b64 s[12:13], s[6:7]
	s_cbranch_execz .LBB41_345
; %bb.342:
	v_mov_b32_e32 v92, 0
	v_add_u32_e32 v92, 28, v92
	v_add_u32_e32 v93, -7, v0
	s_movk_i32 s14, 0xcc
	s_mov_b64 s[6:7], 0
.LBB41_343:                             ; =>This Inner Loop Header: Depth=1
	buffer_load_dword v94, v92, s[0:3], 0 offen
	v_mov_b32_e32 v95, s14
	ds_read_b32 v95, v95
	v_add_u32_e32 v93, -1, v93
	s_add_i32 s14, s14, 4
	v_cmp_eq_u32_e32 vcc, 0, v93
	v_add_u32_e32 v92, 4, v92
	s_or_b64 s[6:7], vcc, s[6:7]
	s_waitcnt vmcnt(0) lgkmcnt(0)
	v_fmac_f32_e32 v91, v94, v95
	s_andn2_b64 exec, exec, s[6:7]
	s_cbranch_execnz .LBB41_343
; %bb.344:
	s_or_b64 exec, exec, s[6:7]
.LBB41_345:
	s_or_b64 exec, exec, s[12:13]
	v_mov_b32_e32 v92, 0
	ds_read_b32 v92, v92 offset:24
	s_waitcnt lgkmcnt(0)
	v_mul_f32_e32 v91, v91, v92
	buffer_store_dword v91, off, s[0:3], 0 offset:24
.LBB41_346:
	s_or_b64 exec, exec, s[10:11]
	buffer_load_dword v91, off, s[0:3], 0 offset:20
	v_cmp_lt_u32_e64 s[6:7], 5, v0
	s_waitcnt vmcnt(0)
	ds_write_b32 v86, v91
	s_waitcnt lgkmcnt(0)
	; wave barrier
	s_waitcnt lgkmcnt(0)
	s_and_saveexec_b64 s[10:11], s[6:7]
	s_cbranch_execz .LBB41_356
; %bb.347:
	s_andn2_b64 vcc, exec, s[8:9]
	s_cbranch_vccnz .LBB41_349
; %bb.348:
	buffer_load_dword v91, v87, s[0:3], 0 offen
	ds_read_b32 v92, v86
	s_waitcnt vmcnt(0) lgkmcnt(0)
	v_mul_f32_e32 v91, v91, v92
	s_cbranch_execz .LBB41_350
	s_branch .LBB41_351
.LBB41_349:
                                        ; implicit-def: $vgpr91
.LBB41_350:
	ds_read_b32 v91, v86
.LBB41_351:
	s_and_saveexec_b64 s[12:13], s[4:5]
	s_cbranch_execz .LBB41_355
; %bb.352:
	v_add_u32_e32 v92, -6, v0
	s_movk_i32 s14, 0xc8
	s_mov_b64 s[4:5], 0
.LBB41_353:                             ; =>This Inner Loop Header: Depth=1
	buffer_load_dword v93, v90, s[0:3], 0 offen
	v_mov_b32_e32 v94, s14
	ds_read_b32 v94, v94
	v_add_u32_e32 v92, -1, v92
	s_add_i32 s14, s14, 4
	v_cmp_eq_u32_e32 vcc, 0, v92
	v_add_u32_e32 v90, 4, v90
	s_or_b64 s[4:5], vcc, s[4:5]
	s_waitcnt vmcnt(0) lgkmcnt(0)
	v_fmac_f32_e32 v91, v93, v94
	s_andn2_b64 exec, exec, s[4:5]
	s_cbranch_execnz .LBB41_353
; %bb.354:
	s_or_b64 exec, exec, s[4:5]
.LBB41_355:
	s_or_b64 exec, exec, s[12:13]
	v_mov_b32_e32 v90, 0
	ds_read_b32 v90, v90 offset:20
	s_waitcnt lgkmcnt(0)
	v_mul_f32_e32 v90, v91, v90
	buffer_store_dword v90, off, s[0:3], 0 offset:20
.LBB41_356:
	s_or_b64 exec, exec, s[10:11]
	buffer_load_dword v90, off, s[0:3], 0 offset:16
	v_cmp_lt_u32_e64 s[4:5], 4, v0
	s_waitcnt vmcnt(0)
	ds_write_b32 v86, v90
	s_waitcnt lgkmcnt(0)
	; wave barrier
	s_waitcnt lgkmcnt(0)
	s_and_saveexec_b64 s[10:11], s[4:5]
	s_cbranch_execz .LBB41_366
; %bb.357:
	s_andn2_b64 vcc, exec, s[8:9]
	s_cbranch_vccnz .LBB41_359
; %bb.358:
	buffer_load_dword v90, v87, s[0:3], 0 offen
	ds_read_b32 v91, v86
	s_waitcnt vmcnt(0) lgkmcnt(0)
	v_mul_f32_e32 v90, v90, v91
	s_cbranch_execz .LBB41_360
	s_branch .LBB41_361
.LBB41_359:
                                        ; implicit-def: $vgpr90
.LBB41_360:
	ds_read_b32 v90, v86
.LBB41_361:
	s_and_saveexec_b64 s[12:13], s[6:7]
	s_cbranch_execz .LBB41_365
; %bb.362:
	v_mov_b32_e32 v91, 0
	v_add_u32_e32 v91, 20, v91
	v_add_u32_e32 v92, -5, v0
	s_movk_i32 s14, 0xc4
	s_mov_b64 s[6:7], 0
.LBB41_363:                             ; =>This Inner Loop Header: Depth=1
	buffer_load_dword v93, v91, s[0:3], 0 offen
	v_mov_b32_e32 v94, s14
	ds_read_b32 v94, v94
	v_add_u32_e32 v92, -1, v92
	s_add_i32 s14, s14, 4
	v_cmp_eq_u32_e32 vcc, 0, v92
	v_add_u32_e32 v91, 4, v91
	s_or_b64 s[6:7], vcc, s[6:7]
	s_waitcnt vmcnt(0) lgkmcnt(0)
	v_fmac_f32_e32 v90, v93, v94
	s_andn2_b64 exec, exec, s[6:7]
	s_cbranch_execnz .LBB41_363
; %bb.364:
	s_or_b64 exec, exec, s[6:7]
.LBB41_365:
	s_or_b64 exec, exec, s[12:13]
	v_mov_b32_e32 v91, 0
	ds_read_b32 v91, v91 offset:16
	s_waitcnt lgkmcnt(0)
	v_mul_f32_e32 v90, v90, v91
	buffer_store_dword v90, off, s[0:3], 0 offset:16
.LBB41_366:
	s_or_b64 exec, exec, s[10:11]
	buffer_load_dword v90, off, s[0:3], 0 offset:12
	v_cmp_lt_u32_e64 s[6:7], 3, v0
	s_waitcnt vmcnt(0)
	ds_write_b32 v86, v90
	s_waitcnt lgkmcnt(0)
	; wave barrier
	s_waitcnt lgkmcnt(0)
	s_and_saveexec_b64 s[10:11], s[6:7]
	s_cbranch_execz .LBB41_376
; %bb.367:
	s_andn2_b64 vcc, exec, s[8:9]
	s_cbranch_vccnz .LBB41_369
; %bb.368:
	buffer_load_dword v90, v87, s[0:3], 0 offen
	ds_read_b32 v91, v86
	s_waitcnt vmcnt(0) lgkmcnt(0)
	v_mul_f32_e32 v90, v90, v91
	s_cbranch_execz .LBB41_370
	s_branch .LBB41_371
.LBB41_369:
                                        ; implicit-def: $vgpr90
.LBB41_370:
	ds_read_b32 v90, v86
.LBB41_371:
	s_and_saveexec_b64 s[12:13], s[4:5]
	s_cbranch_execz .LBB41_375
; %bb.372:
	v_add_u32_e32 v91, -4, v0
	s_movk_i32 s14, 0xc0
	s_mov_b64 s[4:5], 0
.LBB41_373:                             ; =>This Inner Loop Header: Depth=1
	buffer_load_dword v92, v89, s[0:3], 0 offen
	v_mov_b32_e32 v93, s14
	ds_read_b32 v93, v93
	v_add_u32_e32 v91, -1, v91
	s_add_i32 s14, s14, 4
	v_cmp_eq_u32_e32 vcc, 0, v91
	v_add_u32_e32 v89, 4, v89
	s_or_b64 s[4:5], vcc, s[4:5]
	s_waitcnt vmcnt(0) lgkmcnt(0)
	v_fmac_f32_e32 v90, v92, v93
	s_andn2_b64 exec, exec, s[4:5]
	s_cbranch_execnz .LBB41_373
; %bb.374:
	s_or_b64 exec, exec, s[4:5]
.LBB41_375:
	s_or_b64 exec, exec, s[12:13]
	v_mov_b32_e32 v89, 0
	ds_read_b32 v89, v89 offset:12
	s_waitcnt lgkmcnt(0)
	v_mul_f32_e32 v89, v90, v89
	buffer_store_dword v89, off, s[0:3], 0 offset:12
.LBB41_376:
	s_or_b64 exec, exec, s[10:11]
	buffer_load_dword v89, off, s[0:3], 0 offset:8
	v_cmp_lt_u32_e64 s[4:5], 2, v0
	s_waitcnt vmcnt(0)
	ds_write_b32 v86, v89
	s_waitcnt lgkmcnt(0)
	; wave barrier
	s_waitcnt lgkmcnt(0)
	s_and_saveexec_b64 s[10:11], s[4:5]
	s_cbranch_execz .LBB41_386
; %bb.377:
	s_andn2_b64 vcc, exec, s[8:9]
	s_cbranch_vccnz .LBB41_379
; %bb.378:
	buffer_load_dword v89, v87, s[0:3], 0 offen
	ds_read_b32 v90, v86
	s_waitcnt vmcnt(0) lgkmcnt(0)
	v_mul_f32_e32 v89, v89, v90
	s_cbranch_execz .LBB41_380
	s_branch .LBB41_381
.LBB41_379:
                                        ; implicit-def: $vgpr89
.LBB41_380:
	ds_read_b32 v89, v86
.LBB41_381:
	s_and_saveexec_b64 s[12:13], s[6:7]
	s_cbranch_execz .LBB41_385
; %bb.382:
	v_mov_b32_e32 v90, 0
	v_or_b32_e32 v90, 12, v90
	v_add_u32_e32 v91, -3, v0
	s_movk_i32 s14, 0xbc
	s_mov_b64 s[6:7], 0
.LBB41_383:                             ; =>This Inner Loop Header: Depth=1
	buffer_load_dword v92, v90, s[0:3], 0 offen
	v_mov_b32_e32 v93, s14
	ds_read_b32 v93, v93
	v_add_u32_e32 v91, -1, v91
	s_add_i32 s14, s14, 4
	v_cmp_eq_u32_e32 vcc, 0, v91
	v_add_u32_e32 v90, 4, v90
	s_or_b64 s[6:7], vcc, s[6:7]
	s_waitcnt vmcnt(0) lgkmcnt(0)
	v_fmac_f32_e32 v89, v92, v93
	s_andn2_b64 exec, exec, s[6:7]
	s_cbranch_execnz .LBB41_383
; %bb.384:
	s_or_b64 exec, exec, s[6:7]
.LBB41_385:
	s_or_b64 exec, exec, s[12:13]
	v_mov_b32_e32 v90, 0
	ds_read_b32 v90, v90 offset:8
	s_waitcnt lgkmcnt(0)
	v_mul_f32_e32 v89, v89, v90
	buffer_store_dword v89, off, s[0:3], 0 offset:8
.LBB41_386:
	s_or_b64 exec, exec, s[10:11]
	buffer_load_dword v89, off, s[0:3], 0 offset:4
	v_cmp_lt_u32_e64 s[6:7], 1, v0
	s_waitcnt vmcnt(0)
	ds_write_b32 v86, v89
	s_waitcnt lgkmcnt(0)
	; wave barrier
	s_waitcnt lgkmcnt(0)
	s_and_saveexec_b64 s[10:11], s[6:7]
	s_cbranch_execz .LBB41_396
; %bb.387:
	s_andn2_b64 vcc, exec, s[8:9]
	s_cbranch_vccnz .LBB41_389
; %bb.388:
	buffer_load_dword v89, v87, s[0:3], 0 offen
	ds_read_b32 v90, v86
	s_waitcnt vmcnt(0) lgkmcnt(0)
	v_mul_f32_e32 v89, v89, v90
	s_cbranch_execz .LBB41_390
	s_branch .LBB41_391
.LBB41_389:
                                        ; implicit-def: $vgpr89
.LBB41_390:
	ds_read_b32 v89, v86
.LBB41_391:
	s_and_saveexec_b64 s[12:13], s[4:5]
	s_cbranch_execz .LBB41_395
; %bb.392:
	v_add_u32_e32 v90, -2, v0
	s_movk_i32 s14, 0xb8
	s_mov_b64 s[4:5], 0
.LBB41_393:                             ; =>This Inner Loop Header: Depth=1
	buffer_load_dword v91, v88, s[0:3], 0 offen
	v_mov_b32_e32 v92, s14
	ds_read_b32 v92, v92
	v_add_u32_e32 v90, -1, v90
	s_add_i32 s14, s14, 4
	v_cmp_eq_u32_e32 vcc, 0, v90
	v_add_u32_e32 v88, 4, v88
	s_or_b64 s[4:5], vcc, s[4:5]
	s_waitcnt vmcnt(0) lgkmcnt(0)
	v_fmac_f32_e32 v89, v91, v92
	s_andn2_b64 exec, exec, s[4:5]
	s_cbranch_execnz .LBB41_393
; %bb.394:
	s_or_b64 exec, exec, s[4:5]
.LBB41_395:
	s_or_b64 exec, exec, s[12:13]
	v_mov_b32_e32 v88, 0
	ds_read_b32 v88, v88 offset:4
	s_waitcnt lgkmcnt(0)
	v_mul_f32_e32 v88, v89, v88
	buffer_store_dword v88, off, s[0:3], 0 offset:4
.LBB41_396:
	s_or_b64 exec, exec, s[10:11]
	buffer_load_dword v88, off, s[0:3], 0
	v_cmp_ne_u32_e32 vcc, 0, v0
	s_waitcnt vmcnt(0)
	ds_write_b32 v86, v88
	s_waitcnt lgkmcnt(0)
	; wave barrier
	s_waitcnt lgkmcnt(0)
	s_and_saveexec_b64 s[4:5], vcc
	s_cbranch_execz .LBB41_406
; %bb.397:
	s_andn2_b64 vcc, exec, s[8:9]
	s_cbranch_vccnz .LBB41_399
; %bb.398:
	buffer_load_dword v88, v87, s[0:3], 0 offen
	ds_read_b32 v89, v86
	s_waitcnt vmcnt(0) lgkmcnt(0)
	v_mul_f32_e32 v88, v88, v89
	s_cbranch_execz .LBB41_400
	s_branch .LBB41_401
.LBB41_399:
                                        ; implicit-def: $vgpr88
.LBB41_400:
	ds_read_b32 v88, v86
.LBB41_401:
	s_and_saveexec_b64 s[10:11], s[6:7]
	s_cbranch_execz .LBB41_405
; %bb.402:
	v_mov_b32_e32 v89, 0
	v_or_b32_e32 v89, 4, v89
	v_add_u32_e32 v90, -1, v0
	s_movk_i32 s12, 0xb4
	s_mov_b64 s[6:7], 0
.LBB41_403:                             ; =>This Inner Loop Header: Depth=1
	buffer_load_dword v91, v89, s[0:3], 0 offen
	v_mov_b32_e32 v92, s12
	ds_read_b32 v92, v92
	v_add_u32_e32 v90, -1, v90
	s_add_i32 s12, s12, 4
	v_cmp_eq_u32_e32 vcc, 0, v90
	v_add_u32_e32 v89, 4, v89
	s_or_b64 s[6:7], vcc, s[6:7]
	s_waitcnt vmcnt(0) lgkmcnt(0)
	v_fmac_f32_e32 v88, v91, v92
	s_andn2_b64 exec, exec, s[6:7]
	s_cbranch_execnz .LBB41_403
; %bb.404:
	s_or_b64 exec, exec, s[6:7]
.LBB41_405:
	s_or_b64 exec, exec, s[10:11]
	v_mov_b32_e32 v89, 0
	ds_read_b32 v89, v89
	s_waitcnt lgkmcnt(0)
	v_mul_f32_e32 v88, v88, v89
	buffer_store_dword v88, off, s[0:3], 0
.LBB41_406:
	s_or_b64 exec, exec, s[4:5]
	s_mov_b64 s[4:5], 0
.LBB41_407:
	s_and_b64 vcc, exec, s[4:5]
	s_cbranch_vccz .LBB41_811
; %bb.408:
	buffer_load_dword v88, off, s[0:3], 0 offset:4
	v_cmp_eq_u32_e64 s[6:7], 0, v0
	s_waitcnt vmcnt(0)
	ds_write_b32 v86, v88
	s_waitcnt lgkmcnt(0)
	; wave barrier
	s_waitcnt lgkmcnt(0)
	s_and_saveexec_b64 s[4:5], s[6:7]
	s_cbranch_execz .LBB41_414
; %bb.409:
	s_and_b64 vcc, exec, s[8:9]
	s_cbranch_vccz .LBB41_411
; %bb.410:
	buffer_load_dword v88, v87, s[0:3], 0 offen
	ds_read_b32 v89, v86
	s_waitcnt vmcnt(0) lgkmcnt(0)
	v_mul_f32_e32 v88, v88, v89
	s_cbranch_execz .LBB41_412
	s_branch .LBB41_413
.LBB41_411:
                                        ; implicit-def: $vgpr88
.LBB41_412:
	ds_read_b32 v88, v86
.LBB41_413:
	v_mov_b32_e32 v89, 0
	ds_read_b32 v89, v89 offset:4
	s_waitcnt lgkmcnt(0)
	v_mul_f32_e32 v88, v88, v89
	buffer_store_dword v88, off, s[0:3], 0 offset:4
.LBB41_414:
	s_or_b64 exec, exec, s[4:5]
	buffer_load_dword v88, off, s[0:3], 0 offset:8
	v_cndmask_b32_e64 v89, 0, 1, s[8:9]
	v_cmp_gt_u32_e32 vcc, 2, v0
	v_cmp_ne_u32_e64 s[4:5], 1, v89
	s_waitcnt vmcnt(0)
	ds_write_b32 v86, v88
	s_waitcnt lgkmcnt(0)
	; wave barrier
	s_waitcnt lgkmcnt(0)
	s_and_saveexec_b64 s[8:9], vcc
	s_cbranch_execz .LBB41_422
; %bb.415:
	s_and_b64 vcc, exec, s[4:5]
	s_cbranch_vccnz .LBB41_417
; %bb.416:
	buffer_load_dword v88, v87, s[0:3], 0 offen
	ds_read_b32 v89, v86
	s_waitcnt vmcnt(0) lgkmcnt(0)
	v_mul_f32_e32 v88, v88, v89
	s_cbranch_execz .LBB41_418
	s_branch .LBB41_419
.LBB41_417:
                                        ; implicit-def: $vgpr88
.LBB41_418:
	ds_read_b32 v88, v86
.LBB41_419:
	s_and_saveexec_b64 s[10:11], s[6:7]
	s_cbranch_execz .LBB41_421
; %bb.420:
	buffer_load_dword v89, v87, s[0:3], 0 offen offset:4
	ds_read_b32 v90, v86 offset:4
	s_waitcnt vmcnt(0) lgkmcnt(0)
	v_fmac_f32_e32 v88, v89, v90
.LBB41_421:
	s_or_b64 exec, exec, s[10:11]
	v_mov_b32_e32 v89, 0
	ds_read_b32 v89, v89 offset:8
	s_waitcnt lgkmcnt(0)
	v_mul_f32_e32 v88, v88, v89
	buffer_store_dword v88, off, s[0:3], 0 offset:8
.LBB41_422:
	s_or_b64 exec, exec, s[8:9]
	buffer_load_dword v88, off, s[0:3], 0 offset:12
	v_cmp_gt_u32_e32 vcc, 3, v0
	s_waitcnt vmcnt(0)
	ds_write_b32 v86, v88
	s_waitcnt lgkmcnt(0)
	; wave barrier
	s_waitcnt lgkmcnt(0)
	s_and_saveexec_b64 s[8:9], vcc
	s_cbranch_execz .LBB41_430
; %bb.423:
	s_and_b64 vcc, exec, s[4:5]
	s_cbranch_vccnz .LBB41_425
; %bb.424:
	buffer_load_dword v88, v87, s[0:3], 0 offen
	ds_read_b32 v89, v86
	s_waitcnt vmcnt(0) lgkmcnt(0)
	v_mul_f32_e32 v88, v88, v89
	s_cbranch_execz .LBB41_426
	s_branch .LBB41_427
.LBB41_425:
                                        ; implicit-def: $vgpr88
.LBB41_426:
	ds_read_b32 v88, v86
.LBB41_427:
	v_cmp_ne_u32_e32 vcc, 2, v0
	s_and_saveexec_b64 s[10:11], vcc
	s_cbranch_execz .LBB41_429
; %bb.428:
	buffer_load_dword v89, v87, s[0:3], 0 offen offset:4
	buffer_load_dword v90, off, s[0:3], 0 offset:8
	v_mov_b32_e32 v91, 0
	ds_read_b32 v92, v86 offset:4
	ds_read_b32 v91, v91 offset:184
	s_waitcnt vmcnt(1) lgkmcnt(1)
	v_fmac_f32_e32 v88, v89, v92
	s_waitcnt vmcnt(0) lgkmcnt(0)
	v_fma_f32 v89, v90, v91, v88
	v_cndmask_b32_e64 v88, v88, v89, s[6:7]
.LBB41_429:
	s_or_b64 exec, exec, s[10:11]
	v_mov_b32_e32 v89, 0
	ds_read_b32 v89, v89 offset:12
	s_waitcnt lgkmcnt(0)
	v_mul_f32_e32 v88, v88, v89
	buffer_store_dword v88, off, s[0:3], 0 offset:12
.LBB41_430:
	s_or_b64 exec, exec, s[8:9]
	buffer_load_dword v88, off, s[0:3], 0 offset:16
	v_cmp_gt_u32_e32 vcc, 4, v0
	s_waitcnt vmcnt(0)
	ds_write_b32 v86, v88
	s_waitcnt lgkmcnt(0)
	; wave barrier
	s_waitcnt lgkmcnt(0)
	s_and_saveexec_b64 s[6:7], vcc
	s_cbranch_execz .LBB41_440
; %bb.431:
	s_and_b64 vcc, exec, s[4:5]
	s_cbranch_vccnz .LBB41_433
; %bb.432:
	buffer_load_dword v88, v87, s[0:3], 0 offen
	ds_read_b32 v89, v86
	s_waitcnt vmcnt(0) lgkmcnt(0)
	v_mul_f32_e32 v88, v88, v89
	s_cbranch_execz .LBB41_434
	s_branch .LBB41_435
.LBB41_433:
                                        ; implicit-def: $vgpr88
.LBB41_434:
	ds_read_b32 v88, v86
.LBB41_435:
	v_cmp_ne_u32_e32 vcc, 3, v0
	s_and_saveexec_b64 s[8:9], vcc
	s_cbranch_execz .LBB41_439
; %bb.436:
	v_mov_b32_e32 v90, 0
	v_add_u32_e32 v89, 0xb4, v1
	v_add3_u32 v90, v1, v90, 4
	s_mov_b64 s[10:11], 0
	v_mov_b32_e32 v91, v0
.LBB41_437:                             ; =>This Inner Loop Header: Depth=1
	buffer_load_dword v92, v90, s[0:3], 0 offen
	ds_read_b32 v93, v89
	v_add_u32_e32 v91, 1, v91
	v_cmp_lt_u32_e32 vcc, 2, v91
	v_add_u32_e32 v89, 4, v89
	v_add_u32_e32 v90, 4, v90
	s_or_b64 s[10:11], vcc, s[10:11]
	s_waitcnt vmcnt(0) lgkmcnt(0)
	v_fmac_f32_e32 v88, v92, v93
	s_andn2_b64 exec, exec, s[10:11]
	s_cbranch_execnz .LBB41_437
; %bb.438:
	s_or_b64 exec, exec, s[10:11]
.LBB41_439:
	s_or_b64 exec, exec, s[8:9]
	v_mov_b32_e32 v89, 0
	ds_read_b32 v89, v89 offset:16
	s_waitcnt lgkmcnt(0)
	v_mul_f32_e32 v88, v88, v89
	buffer_store_dword v88, off, s[0:3], 0 offset:16
.LBB41_440:
	s_or_b64 exec, exec, s[6:7]
	buffer_load_dword v88, off, s[0:3], 0 offset:20
	v_cmp_gt_u32_e32 vcc, 5, v0
	s_waitcnt vmcnt(0)
	ds_write_b32 v86, v88
	s_waitcnt lgkmcnt(0)
	; wave barrier
	s_waitcnt lgkmcnt(0)
	s_and_saveexec_b64 s[6:7], vcc
	s_cbranch_execz .LBB41_450
; %bb.441:
	s_and_b64 vcc, exec, s[4:5]
	s_cbranch_vccnz .LBB41_443
; %bb.442:
	buffer_load_dword v88, v87, s[0:3], 0 offen
	ds_read_b32 v89, v86
	s_waitcnt vmcnt(0) lgkmcnt(0)
	v_mul_f32_e32 v88, v88, v89
	s_cbranch_execz .LBB41_444
	s_branch .LBB41_445
.LBB41_443:
                                        ; implicit-def: $vgpr88
.LBB41_444:
	ds_read_b32 v88, v86
.LBB41_445:
	v_cmp_ne_u32_e32 vcc, 4, v0
	s_and_saveexec_b64 s[8:9], vcc
	s_cbranch_execz .LBB41_449
; %bb.446:
	v_mov_b32_e32 v90, 0
	v_add_u32_e32 v89, 0xb4, v1
	v_add3_u32 v90, v1, v90, 4
	s_mov_b64 s[10:11], 0
	v_mov_b32_e32 v91, v0
.LBB41_447:                             ; =>This Inner Loop Header: Depth=1
	buffer_load_dword v92, v90, s[0:3], 0 offen
	ds_read_b32 v93, v89
	v_add_u32_e32 v91, 1, v91
	v_cmp_lt_u32_e32 vcc, 3, v91
	v_add_u32_e32 v89, 4, v89
	v_add_u32_e32 v90, 4, v90
	s_or_b64 s[10:11], vcc, s[10:11]
	s_waitcnt vmcnt(0) lgkmcnt(0)
	v_fmac_f32_e32 v88, v92, v93
	s_andn2_b64 exec, exec, s[10:11]
	s_cbranch_execnz .LBB41_447
; %bb.448:
	s_or_b64 exec, exec, s[10:11]
.LBB41_449:
	s_or_b64 exec, exec, s[8:9]
	v_mov_b32_e32 v89, 0
	ds_read_b32 v89, v89 offset:20
	s_waitcnt lgkmcnt(0)
	v_mul_f32_e32 v88, v88, v89
	buffer_store_dword v88, off, s[0:3], 0 offset:20
.LBB41_450:
	;; [unrolled: 56-line block ×36, first 2 shown]
	s_or_b64 exec, exec, s[6:7]
	buffer_load_dword v88, off, s[0:3], 0 offset:160
	v_cmp_gt_u32_e64 s[6:7], 40, v0
	s_waitcnt vmcnt(0)
	ds_write_b32 v86, v88
	s_waitcnt lgkmcnt(0)
	; wave barrier
	s_waitcnt lgkmcnt(0)
	s_and_saveexec_b64 s[8:9], s[6:7]
	s_cbranch_execz .LBB41_800
; %bb.791:
	s_and_b64 vcc, exec, s[4:5]
	s_cbranch_vccnz .LBB41_793
; %bb.792:
	buffer_load_dword v88, v87, s[0:3], 0 offen
	ds_read_b32 v89, v86
	s_waitcnt vmcnt(0) lgkmcnt(0)
	v_mul_f32_e32 v88, v88, v89
	s_cbranch_execz .LBB41_794
	s_branch .LBB41_795
.LBB41_793:
                                        ; implicit-def: $vgpr88
.LBB41_794:
	ds_read_b32 v88, v86
.LBB41_795:
	v_cmp_ne_u32_e32 vcc, 39, v0
	s_and_saveexec_b64 s[10:11], vcc
	s_cbranch_execz .LBB41_799
; %bb.796:
	v_mov_b32_e32 v90, 0
	v_add_u32_e32 v89, 0xb4, v1
	v_add3_u32 v90, v1, v90, 4
	s_mov_b64 s[12:13], 0
	v_mov_b32_e32 v91, v0
.LBB41_797:                             ; =>This Inner Loop Header: Depth=1
	buffer_load_dword v92, v90, s[0:3], 0 offen
	ds_read_b32 v93, v89
	v_add_u32_e32 v91, 1, v91
	v_cmp_lt_u32_e32 vcc, 38, v91
	v_add_u32_e32 v89, 4, v89
	v_add_u32_e32 v90, 4, v90
	s_or_b64 s[12:13], vcc, s[12:13]
	s_waitcnt vmcnt(0) lgkmcnt(0)
	v_fmac_f32_e32 v88, v92, v93
	s_andn2_b64 exec, exec, s[12:13]
	s_cbranch_execnz .LBB41_797
; %bb.798:
	s_or_b64 exec, exec, s[12:13]
.LBB41_799:
	s_or_b64 exec, exec, s[10:11]
	v_mov_b32_e32 v89, 0
	ds_read_b32 v89, v89 offset:160
	s_waitcnt lgkmcnt(0)
	v_mul_f32_e32 v88, v88, v89
	buffer_store_dword v88, off, s[0:3], 0 offset:160
.LBB41_800:
	s_or_b64 exec, exec, s[8:9]
	buffer_load_dword v88, off, s[0:3], 0 offset:164
	v_cmp_ne_u32_e32 vcc, 41, v0
	s_waitcnt vmcnt(0)
	ds_write_b32 v86, v88
	s_waitcnt lgkmcnt(0)
	; wave barrier
	s_waitcnt lgkmcnt(0)
	s_and_saveexec_b64 s[8:9], vcc
	s_cbranch_execz .LBB41_810
; %bb.801:
	s_and_b64 vcc, exec, s[4:5]
	s_cbranch_vccnz .LBB41_803
; %bb.802:
	buffer_load_dword v87, v87, s[0:3], 0 offen
	ds_read_b32 v88, v86
	s_waitcnt vmcnt(0) lgkmcnt(0)
	v_mul_f32_e32 v87, v87, v88
	s_cbranch_execz .LBB41_804
	s_branch .LBB41_805
.LBB41_803:
                                        ; implicit-def: $vgpr87
.LBB41_804:
	ds_read_b32 v87, v86
.LBB41_805:
	s_and_saveexec_b64 s[4:5], s[6:7]
	s_cbranch_execz .LBB41_809
; %bb.806:
	v_mov_b32_e32 v88, 0
	v_add_u32_e32 v86, 0xb4, v1
	v_add3_u32 v1, v1, v88, 4
	s_mov_b64 s[6:7], 0
.LBB41_807:                             ; =>This Inner Loop Header: Depth=1
	buffer_load_dword v88, v1, s[0:3], 0 offen
	ds_read_b32 v89, v86
	v_add_u32_e32 v0, 1, v0
	v_cmp_lt_u32_e32 vcc, 39, v0
	v_add_u32_e32 v86, 4, v86
	v_add_u32_e32 v1, 4, v1
	s_or_b64 s[6:7], vcc, s[6:7]
	s_waitcnt vmcnt(0) lgkmcnt(0)
	v_fmac_f32_e32 v87, v88, v89
	s_andn2_b64 exec, exec, s[6:7]
	s_cbranch_execnz .LBB41_807
; %bb.808:
	s_or_b64 exec, exec, s[6:7]
.LBB41_809:
	s_or_b64 exec, exec, s[4:5]
	v_mov_b32_e32 v0, 0
	ds_read_b32 v0, v0 offset:164
	s_waitcnt lgkmcnt(0)
	v_mul_f32_e32 v0, v87, v0
	buffer_store_dword v0, off, s[0:3], 0 offset:164
.LBB41_810:
	s_or_b64 exec, exec, s[8:9]
.LBB41_811:
	buffer_load_dword v0, off, s[0:3], 0
	buffer_load_dword v1, off, s[0:3], 0 offset:4
	buffer_load_dword v86, off, s[0:3], 0 offset:8
	;; [unrolled: 1-line block ×39, first 2 shown]
	s_waitcnt vmcnt(39)
	global_store_dword v[78:79], v0, off
	buffer_load_dword v0, off, s[0:3], 0 offset:160
	s_nop 0
	buffer_load_dword v78, off, s[0:3], 0 offset:164
	s_waitcnt vmcnt(41)
	global_store_dword v[80:81], v1, off
	s_waitcnt vmcnt(41)
	global_store_dword v[2:3], v86, off
	s_waitcnt vmcnt(41)
	global_store_dword v[4:5], v87, off
	s_waitcnt vmcnt(41)
	global_store_dword v[6:7], v88, off
	s_waitcnt vmcnt(41)
	global_store_dword v[8:9], v89, off
	s_waitcnt vmcnt(41)
	global_store_dword v[10:11], v90, off
	s_waitcnt vmcnt(41)
	global_store_dword v[12:13], v91, off
	s_waitcnt vmcnt(41)
	global_store_dword v[14:15], v92, off
	s_waitcnt vmcnt(41)
	global_store_dword v[16:17], v93, off
	s_waitcnt vmcnt(41)
	global_store_dword v[18:19], v94, off
	s_waitcnt vmcnt(41)
	global_store_dword v[20:21], v95, off
	s_waitcnt vmcnt(41)
	global_store_dword v[22:23], v96, off
	s_waitcnt vmcnt(41)
	global_store_dword v[24:25], v97, off
	s_waitcnt vmcnt(41)
	global_store_dword v[26:27], v98, off
	s_waitcnt vmcnt(41)
	global_store_dword v[28:29], v99, off
	s_waitcnt vmcnt(41)
	global_store_dword v[30:31], v100, off
	s_waitcnt vmcnt(41)
	global_store_dword v[32:33], v101, off
	s_waitcnt vmcnt(41)
	global_store_dword v[34:35], v102, off
	s_waitcnt vmcnt(41)
	global_store_dword v[36:37], v103, off
	s_waitcnt vmcnt(41)
	global_store_dword v[38:39], v104, off
	s_waitcnt vmcnt(41)
	global_store_dword v[40:41], v105, off
	s_waitcnt vmcnt(41)
	global_store_dword v[42:43], v106, off
	s_waitcnt vmcnt(41)
	global_store_dword v[44:45], v107, off
	s_waitcnt vmcnt(41)
	global_store_dword v[46:47], v108, off
	s_waitcnt vmcnt(41)
	global_store_dword v[48:49], v109, off
	s_waitcnt vmcnt(41)
	global_store_dword v[50:51], v110, off
	s_waitcnt vmcnt(41)
	global_store_dword v[52:53], v111, off
	s_waitcnt vmcnt(41)
	global_store_dword v[54:55], v112, off
	s_waitcnt vmcnt(41)
	global_store_dword v[56:57], v113, off
	s_waitcnt vmcnt(41)
	global_store_dword v[58:59], v114, off
	s_waitcnt vmcnt(41)
	global_store_dword v[60:61], v115, off
	s_waitcnt vmcnt(41)
	global_store_dword v[62:63], v116, off
	s_waitcnt vmcnt(41)
	global_store_dword v[64:65], v117, off
	s_waitcnt vmcnt(41)
	global_store_dword v[66:67], v118, off
	s_waitcnt vmcnt(41)
	global_store_dword v[68:69], v119, off
	s_waitcnt vmcnt(41)
	global_store_dword v[70:71], v120, off
	s_waitcnt vmcnt(41)
	global_store_dword v[72:73], v121, off
	s_waitcnt vmcnt(41)
	global_store_dword v[74:75], v122, off
	s_waitcnt vmcnt(41)
	global_store_dword v[76:77], v123, off
	s_waitcnt vmcnt(40)
	global_store_dword v[82:83], v0, off
	s_waitcnt vmcnt(40)
	global_store_dword v[84:85], v78, off
.LBB41_812:
	s_endpgm
	.section	.rodata,"a",@progbits
	.p2align	6, 0x0
	.amdhsa_kernel _ZN9rocsolver6v33100L18trti2_kernel_smallILi42EfPfEEv13rocblas_fill_17rocblas_diagonal_T1_iil
		.amdhsa_group_segment_fixed_size 344
		.amdhsa_private_segment_fixed_size 176
		.amdhsa_kernarg_size 32
		.amdhsa_user_sgpr_count 8
		.amdhsa_user_sgpr_private_segment_buffer 1
		.amdhsa_user_sgpr_dispatch_ptr 0
		.amdhsa_user_sgpr_queue_ptr 0
		.amdhsa_user_sgpr_kernarg_segment_ptr 1
		.amdhsa_user_sgpr_dispatch_id 0
		.amdhsa_user_sgpr_flat_scratch_init 1
		.amdhsa_user_sgpr_kernarg_preload_length 0
		.amdhsa_user_sgpr_kernarg_preload_offset 0
		.amdhsa_user_sgpr_private_segment_size 0
		.amdhsa_uses_dynamic_stack 0
		.amdhsa_system_sgpr_private_segment_wavefront_offset 1
		.amdhsa_system_sgpr_workgroup_id_x 1
		.amdhsa_system_sgpr_workgroup_id_y 0
		.amdhsa_system_sgpr_workgroup_id_z 0
		.amdhsa_system_sgpr_workgroup_info 0
		.amdhsa_system_vgpr_workitem_id 0
		.amdhsa_next_free_vgpr 124
		.amdhsa_next_free_sgpr 20
		.amdhsa_accum_offset 124
		.amdhsa_reserve_vcc 1
		.amdhsa_reserve_flat_scratch 0
		.amdhsa_float_round_mode_32 0
		.amdhsa_float_round_mode_16_64 0
		.amdhsa_float_denorm_mode_32 3
		.amdhsa_float_denorm_mode_16_64 3
		.amdhsa_dx10_clamp 1
		.amdhsa_ieee_mode 1
		.amdhsa_fp16_overflow 0
		.amdhsa_tg_split 0
		.amdhsa_exception_fp_ieee_invalid_op 0
		.amdhsa_exception_fp_denorm_src 0
		.amdhsa_exception_fp_ieee_div_zero 0
		.amdhsa_exception_fp_ieee_overflow 0
		.amdhsa_exception_fp_ieee_underflow 0
		.amdhsa_exception_fp_ieee_inexact 0
		.amdhsa_exception_int_div_zero 0
	.end_amdhsa_kernel
	.section	.text._ZN9rocsolver6v33100L18trti2_kernel_smallILi42EfPfEEv13rocblas_fill_17rocblas_diagonal_T1_iil,"axG",@progbits,_ZN9rocsolver6v33100L18trti2_kernel_smallILi42EfPfEEv13rocblas_fill_17rocblas_diagonal_T1_iil,comdat
.Lfunc_end41:
	.size	_ZN9rocsolver6v33100L18trti2_kernel_smallILi42EfPfEEv13rocblas_fill_17rocblas_diagonal_T1_iil, .Lfunc_end41-_ZN9rocsolver6v33100L18trti2_kernel_smallILi42EfPfEEv13rocblas_fill_17rocblas_diagonal_T1_iil
                                        ; -- End function
	.section	.AMDGPU.csdata,"",@progbits
; Kernel info:
; codeLenInByte = 20476
; NumSgprs: 24
; NumVgprs: 124
; NumAgprs: 0
; TotalNumVgprs: 124
; ScratchSize: 176
; MemoryBound: 0
; FloatMode: 240
; IeeeMode: 1
; LDSByteSize: 344 bytes/workgroup (compile time only)
; SGPRBlocks: 2
; VGPRBlocks: 15
; NumSGPRsForWavesPerEU: 24
; NumVGPRsForWavesPerEU: 124
; AccumOffset: 124
; Occupancy: 4
; WaveLimiterHint : 0
; COMPUTE_PGM_RSRC2:SCRATCH_EN: 1
; COMPUTE_PGM_RSRC2:USER_SGPR: 8
; COMPUTE_PGM_RSRC2:TRAP_HANDLER: 0
; COMPUTE_PGM_RSRC2:TGID_X_EN: 1
; COMPUTE_PGM_RSRC2:TGID_Y_EN: 0
; COMPUTE_PGM_RSRC2:TGID_Z_EN: 0
; COMPUTE_PGM_RSRC2:TIDIG_COMP_CNT: 0
; COMPUTE_PGM_RSRC3_GFX90A:ACCUM_OFFSET: 30
; COMPUTE_PGM_RSRC3_GFX90A:TG_SPLIT: 0
	.section	.text._ZN9rocsolver6v33100L18trti2_kernel_smallILi43EfPfEEv13rocblas_fill_17rocblas_diagonal_T1_iil,"axG",@progbits,_ZN9rocsolver6v33100L18trti2_kernel_smallILi43EfPfEEv13rocblas_fill_17rocblas_diagonal_T1_iil,comdat
	.globl	_ZN9rocsolver6v33100L18trti2_kernel_smallILi43EfPfEEv13rocblas_fill_17rocblas_diagonal_T1_iil ; -- Begin function _ZN9rocsolver6v33100L18trti2_kernel_smallILi43EfPfEEv13rocblas_fill_17rocblas_diagonal_T1_iil
	.p2align	8
	.type	_ZN9rocsolver6v33100L18trti2_kernel_smallILi43EfPfEEv13rocblas_fill_17rocblas_diagonal_T1_iil,@function
_ZN9rocsolver6v33100L18trti2_kernel_smallILi43EfPfEEv13rocblas_fill_17rocblas_diagonal_T1_iil: ; @_ZN9rocsolver6v33100L18trti2_kernel_smallILi43EfPfEEv13rocblas_fill_17rocblas_diagonal_T1_iil
; %bb.0:
	s_add_u32 s0, s0, s9
	s_addc_u32 s1, s1, 0
	v_cmp_gt_u32_e32 vcc, 43, v0
	s_and_saveexec_b64 s[6:7], vcc
	s_cbranch_execz .LBB42_832
; %bb.1:
	s_load_dwordx8 s[12:19], s[4:5], 0x0
	s_ashr_i32 s6, s8, 31
	v_lshlrev_b32_e32 v1, 2, v0
	s_waitcnt lgkmcnt(0)
	s_mul_i32 s7, s8, s19
	s_mul_hi_u32 s9, s8, s18
	s_add_i32 s7, s9, s7
	s_mul_i32 s6, s6, s18
	s_add_i32 s7, s7, s6
	s_mul_i32 s6, s8, s18
	s_ashr_i32 s5, s16, 31
	s_lshl_b64 s[6:7], s[6:7], 2
	s_mov_b32 s4, s16
	s_add_u32 s6, s14, s6
	s_addc_u32 s7, s15, s7
	s_lshl_b64 s[4:5], s[4:5], 2
	s_add_u32 s4, s6, s4
	s_addc_u32 s5, s7, s5
	v_mov_b32_e32 v2, s5
	v_add_co_u32_e32 v4, vcc, s4, v1
	s_ashr_i32 s7, s17, 31
	s_mov_b32 s6, s17
	v_addc_co_u32_e32 v5, vcc, 0, v2, vcc
	s_lshl_b64 s[6:7], s[6:7], 2
	v_add_co_u32_e32 v2, vcc, s6, v4
	s_add_i32 s6, s17, s17
	v_add_u32_e32 v8, s6, v0
	global_load_dword v17, v1, s[4:5]
	v_mov_b32_e32 v3, s7
	v_ashrrev_i32_e32 v9, 31, v8
	v_addc_co_u32_e32 v3, vcc, v5, v3, vcc
	v_lshlrev_b64 v[6:7], 2, v[8:9]
	v_add_u32_e32 v10, s17, v8
	v_mov_b32_e32 v9, s5
	v_add_co_u32_e32 v6, vcc, s4, v6
	v_ashrrev_i32_e32 v11, 31, v10
	v_addc_co_u32_e32 v7, vcc, v9, v7, vcc
	v_lshlrev_b64 v[8:9], 2, v[10:11]
	v_add_u32_e32 v12, s17, v10
	v_mov_b32_e32 v11, s5
	v_add_co_u32_e32 v8, vcc, s4, v8
	;; [unrolled: 6-line block ×3, first 2 shown]
	v_ashrrev_i32_e32 v15, 31, v14
	v_addc_co_u32_e32 v11, vcc, v13, v11, vcc
	v_lshlrev_b64 v[12:13], 2, v[14:15]
	v_mov_b32_e32 v15, s5
	v_add_co_u32_e32 v12, vcc, s4, v12
	global_load_dword v25, v[2:3], off
	global_load_dword v23, v[6:7], off
	;; [unrolled: 1-line block ×3, first 2 shown]
	v_addc_co_u32_e32 v13, vcc, v15, v13, vcc
	global_load_dword v29, v[10:11], off
	global_load_dword v31, v[12:13], off
	v_add_u32_e32 v16, s17, v14
	v_add_u32_e32 v18, s17, v16
	v_add_u32_e32 v20, s17, v18
	v_add_u32_e32 v22, s17, v20
	v_add_u32_e32 v24, s17, v22
	v_add_u32_e32 v26, s17, v24
	v_add_u32_e32 v28, s17, v26
	v_add_u32_e32 v30, s17, v28
	v_add_u32_e32 v32, s17, v30
	v_add_u32_e32 v34, s17, v32
	v_add_u32_e32 v36, s17, v34
	v_add_u32_e32 v38, s17, v36
	v_add_u32_e32 v40, s17, v38
	v_add_u32_e32 v42, s17, v40
	v_add_u32_e32 v44, s17, v42
	v_add_u32_e32 v46, s17, v44
	v_add_u32_e32 v48, s17, v46
	v_add_u32_e32 v50, s17, v48
	v_add_u32_e32 v52, s17, v50
	v_add_u32_e32 v54, s17, v52
	v_add_u32_e32 v56, s17, v54
	v_add_u32_e32 v58, s17, v56
	v_add_u32_e32 v60, s17, v58
	v_add_u32_e32 v62, s17, v60
	v_add_u32_e32 v64, s17, v62
	v_add_u32_e32 v66, s17, v64
	v_add_u32_e32 v68, s17, v66
	v_add_u32_e32 v70, s17, v68
	v_add_u32_e32 v72, s17, v70
	v_add_u32_e32 v74, s17, v72
	v_add_u32_e32 v76, s17, v74
	v_add_u32_e32 v78, s17, v76
	v_add_u32_e32 v80, s17, v78
	v_add_u32_e32 v82, s17, v80
	v_add_u32_e32 v84, s17, v82
	v_add_u32_e32 v86, s17, v84
	v_add_u32_e32 v14, s17, v86
	v_ashrrev_i32_e32 v15, 31, v14
	v_lshlrev_b64 v[14:15], 2, v[14:15]
	v_mov_b32_e32 v19, s5
	v_add_co_u32_e32 v14, vcc, s4, v14
	v_addc_co_u32_e32 v15, vcc, v19, v15, vcc
	s_waitcnt vmcnt(5)
	buffer_store_dword v17, off, s[0:3], 0
	v_ashrrev_i32_e32 v17, 31, v16
	v_lshlrev_b64 v[16:17], 2, v[16:17]
	v_add_co_u32_e32 v16, vcc, s4, v16
	v_addc_co_u32_e32 v17, vcc, v19, v17, vcc
	v_ashrrev_i32_e32 v19, 31, v18
	v_lshlrev_b64 v[18:19], 2, v[18:19]
	v_mov_b32_e32 v21, s5
	v_add_co_u32_e32 v18, vcc, s4, v18
	v_addc_co_u32_e32 v19, vcc, v21, v19, vcc
	v_ashrrev_i32_e32 v21, 31, v20
	v_lshlrev_b64 v[20:21], 2, v[20:21]
	v_mov_b32_e32 v33, s5
	v_add_co_u32_e32 v20, vcc, s4, v20
	global_load_dword v88, v[14:15], off
	v_addc_co_u32_e32 v21, vcc, v33, v21, vcc
	global_load_dword v89, v[16:17], off
	global_load_dword v90, v[18:19], off
	;; [unrolled: 1-line block ×3, first 2 shown]
	s_waitcnt vmcnt(9)
	buffer_store_dword v25, off, s[0:3], 0 offset:4
	s_waitcnt vmcnt(8)
	buffer_store_dword v27, off, s[0:3], 0 offset:12
	buffer_store_dword v23, off, s[0:3], 0 offset:8
	s_waitcnt vmcnt(9)
	buffer_store_dword v29, off, s[0:3], 0 offset:16
	s_waitcnt vmcnt(9)
	buffer_store_dword v31, off, s[0:3], 0 offset:20
	v_ashrrev_i32_e32 v23, 31, v22
	v_lshlrev_b64 v[22:23], 2, v[22:23]
	v_mov_b32_e32 v25, s5
	v_add_co_u32_e32 v22, vcc, s4, v22
	v_addc_co_u32_e32 v23, vcc, v25, v23, vcc
	v_ashrrev_i32_e32 v25, 31, v24
	v_lshlrev_b64 v[24:25], 2, v[24:25]
	v_mov_b32_e32 v27, s5
	v_add_co_u32_e32 v24, vcc, s4, v24
	v_addc_co_u32_e32 v25, vcc, v27, v25, vcc
	;; [unrolled: 5-line block ×4, first 2 shown]
	v_ashrrev_i32_e32 v31, 31, v30
	v_lshlrev_b64 v[30:31], 2, v[30:31]
	v_add_co_u32_e32 v30, vcc, s4, v30
	v_addc_co_u32_e32 v31, vcc, v33, v31, vcc
	v_ashrrev_i32_e32 v33, 31, v32
	v_lshlrev_b64 v[32:33], 2, v[32:33]
	v_mov_b32_e32 v35, s5
	v_add_co_u32_e32 v32, vcc, s4, v32
	v_addc_co_u32_e32 v33, vcc, v35, v33, vcc
	v_ashrrev_i32_e32 v35, 31, v34
	v_lshlrev_b64 v[34:35], 2, v[34:35]
	v_mov_b32_e32 v37, s5
	v_add_co_u32_e32 v34, vcc, s4, v34
	v_addc_co_u32_e32 v35, vcc, v37, v35, vcc
	v_ashrrev_i32_e32 v37, 31, v36
	v_lshlrev_b64 v[36:37], 2, v[36:37]
	v_mov_b32_e32 v39, s5
	v_add_co_u32_e32 v36, vcc, s4, v36
	v_addc_co_u32_e32 v37, vcc, v39, v37, vcc
	v_ashrrev_i32_e32 v39, 31, v38
	v_lshlrev_b64 v[38:39], 2, v[38:39]
	v_mov_b32_e32 v41, s5
	v_add_co_u32_e32 v38, vcc, s4, v38
	v_addc_co_u32_e32 v39, vcc, v41, v39, vcc
	v_ashrrev_i32_e32 v41, 31, v40
	v_lshlrev_b64 v[40:41], 2, v[40:41]
	v_mov_b32_e32 v43, s5
	v_add_co_u32_e32 v40, vcc, s4, v40
	v_addc_co_u32_e32 v41, vcc, v43, v41, vcc
	v_ashrrev_i32_e32 v43, 31, v42
	v_lshlrev_b64 v[42:43], 2, v[42:43]
	v_mov_b32_e32 v45, s5
	v_add_co_u32_e32 v42, vcc, s4, v42
	v_addc_co_u32_e32 v43, vcc, v45, v43, vcc
	v_ashrrev_i32_e32 v45, 31, v44
	v_lshlrev_b64 v[44:45], 2, v[44:45]
	v_mov_b32_e32 v47, s5
	v_add_co_u32_e32 v44, vcc, s4, v44
	v_addc_co_u32_e32 v45, vcc, v47, v45, vcc
	v_ashrrev_i32_e32 v47, 31, v46
	v_lshlrev_b64 v[46:47], 2, v[46:47]
	v_mov_b32_e32 v49, s5
	v_add_co_u32_e32 v46, vcc, s4, v46
	v_addc_co_u32_e32 v47, vcc, v49, v47, vcc
	v_ashrrev_i32_e32 v49, 31, v48
	v_lshlrev_b64 v[48:49], 2, v[48:49]
	v_mov_b32_e32 v51, s5
	v_add_co_u32_e32 v48, vcc, s4, v48
	v_addc_co_u32_e32 v49, vcc, v51, v49, vcc
	v_ashrrev_i32_e32 v51, 31, v50
	v_lshlrev_b64 v[50:51], 2, v[50:51]
	v_mov_b32_e32 v53, s5
	v_add_co_u32_e32 v50, vcc, s4, v50
	v_addc_co_u32_e32 v51, vcc, v53, v51, vcc
	v_ashrrev_i32_e32 v53, 31, v52
	v_lshlrev_b64 v[52:53], 2, v[52:53]
	v_mov_b32_e32 v55, s5
	v_add_co_u32_e32 v52, vcc, s4, v52
	v_addc_co_u32_e32 v53, vcc, v55, v53, vcc
	v_ashrrev_i32_e32 v55, 31, v54
	v_lshlrev_b64 v[54:55], 2, v[54:55]
	v_mov_b32_e32 v57, s5
	v_add_co_u32_e32 v54, vcc, s4, v54
	v_addc_co_u32_e32 v55, vcc, v57, v55, vcc
	v_ashrrev_i32_e32 v57, 31, v56
	v_lshlrev_b64 v[56:57], 2, v[56:57]
	v_mov_b32_e32 v59, s5
	v_add_co_u32_e32 v56, vcc, s4, v56
	v_addc_co_u32_e32 v57, vcc, v59, v57, vcc
	v_ashrrev_i32_e32 v59, 31, v58
	v_lshlrev_b64 v[58:59], 2, v[58:59]
	v_mov_b32_e32 v61, s5
	v_add_co_u32_e32 v58, vcc, s4, v58
	v_addc_co_u32_e32 v59, vcc, v61, v59, vcc
	v_ashrrev_i32_e32 v61, 31, v60
	v_lshlrev_b64 v[60:61], 2, v[60:61]
	v_mov_b32_e32 v63, s5
	v_add_co_u32_e32 v60, vcc, s4, v60
	v_addc_co_u32_e32 v61, vcc, v63, v61, vcc
	v_ashrrev_i32_e32 v63, 31, v62
	v_lshlrev_b64 v[62:63], 2, v[62:63]
	v_mov_b32_e32 v65, s5
	v_add_co_u32_e32 v62, vcc, s4, v62
	v_addc_co_u32_e32 v63, vcc, v65, v63, vcc
	v_ashrrev_i32_e32 v65, 31, v64
	v_lshlrev_b64 v[64:65], 2, v[64:65]
	v_mov_b32_e32 v67, s5
	v_add_co_u32_e32 v64, vcc, s4, v64
	v_addc_co_u32_e32 v65, vcc, v67, v65, vcc
	v_ashrrev_i32_e32 v67, 31, v66
	v_lshlrev_b64 v[66:67], 2, v[66:67]
	v_mov_b32_e32 v69, s5
	v_add_co_u32_e32 v66, vcc, s4, v66
	v_addc_co_u32_e32 v67, vcc, v69, v67, vcc
	v_ashrrev_i32_e32 v69, 31, v68
	v_lshlrev_b64 v[68:69], 2, v[68:69]
	v_mov_b32_e32 v71, s5
	v_add_co_u32_e32 v68, vcc, s4, v68
	v_addc_co_u32_e32 v69, vcc, v71, v69, vcc
	v_ashrrev_i32_e32 v71, 31, v70
	v_lshlrev_b64 v[70:71], 2, v[70:71]
	v_mov_b32_e32 v73, s5
	v_add_co_u32_e32 v70, vcc, s4, v70
	v_addc_co_u32_e32 v71, vcc, v73, v71, vcc
	v_ashrrev_i32_e32 v73, 31, v72
	v_lshlrev_b64 v[72:73], 2, v[72:73]
	v_mov_b32_e32 v75, s5
	v_add_co_u32_e32 v72, vcc, s4, v72
	v_addc_co_u32_e32 v73, vcc, v75, v73, vcc
	v_ashrrev_i32_e32 v75, 31, v74
	v_lshlrev_b64 v[74:75], 2, v[74:75]
	v_mov_b32_e32 v77, s5
	v_add_co_u32_e32 v74, vcc, s4, v74
	v_addc_co_u32_e32 v75, vcc, v77, v75, vcc
	v_ashrrev_i32_e32 v77, 31, v76
	v_lshlrev_b64 v[76:77], 2, v[76:77]
	v_mov_b32_e32 v79, s5
	v_add_co_u32_e32 v76, vcc, s4, v76
	v_addc_co_u32_e32 v77, vcc, v79, v77, vcc
	v_ashrrev_i32_e32 v79, 31, v78
	v_lshlrev_b64 v[78:79], 2, v[78:79]
	v_mov_b32_e32 v81, s5
	v_add_co_u32_e32 v78, vcc, s4, v78
	v_addc_co_u32_e32 v79, vcc, v81, v79, vcc
	v_ashrrev_i32_e32 v81, 31, v80
	v_lshlrev_b64 v[80:81], 2, v[80:81]
	v_mov_b32_e32 v83, s5
	v_add_co_u32_e32 v80, vcc, s4, v80
	v_addc_co_u32_e32 v81, vcc, v83, v81, vcc
	v_ashrrev_i32_e32 v83, 31, v82
	v_lshlrev_b64 v[82:83], 2, v[82:83]
	v_mov_b32_e32 v85, s5
	v_add_co_u32_e32 v82, vcc, s4, v82
	v_addc_co_u32_e32 v83, vcc, v85, v83, vcc
	v_ashrrev_i32_e32 v85, 31, v84
	v_lshlrev_b64 v[84:85], 2, v[84:85]
	v_mov_b32_e32 v87, s5
	v_add_co_u32_e32 v84, vcc, s4, v84
	v_addc_co_u32_e32 v85, vcc, v87, v85, vcc
	v_ashrrev_i32_e32 v87, 31, v86
	v_lshlrev_b64 v[86:87], 2, v[86:87]
	v_mov_b32_e32 v109, s5
	v_add_co_u32_e32 v86, vcc, s4, v86
	global_load_dword v92, v[22:23], off
	global_load_dword v93, v[24:25], off
	;; [unrolled: 1-line block ×24, first 2 shown]
	v_addc_co_u32_e32 v87, vcc, v109, v87, vcc
	global_load_dword v117, v[70:71], off
	global_load_dword v118, v[72:73], off
	global_load_dword v119, v[74:75], off
	global_load_dword v120, v[76:77], off
	global_load_dword v121, v[78:79], off
	global_load_dword v122, v[80:81], off
	global_load_dword v123, v[82:83], off
	global_load_dword v124, v[86:87], off
	s_cmpk_lg_i32 s13, 0x84
	s_waitcnt vmcnt(39)
	buffer_store_dword v89, off, s[0:3], 0 offset:24
	global_load_dword v89, v[84:85], off
	v_mov_b32_e32 v109, 0
	s_waitcnt vmcnt(40)
	buffer_store_dword v90, off, s[0:3], 0 offset:28
	s_waitcnt vmcnt(40)
	buffer_store_dword v91, off, s[0:3], 0 offset:32
	;; [unrolled: 2-line block ×4, first 2 shown]
	buffer_store_dword v93, off, s[0:3], 0 offset:40
	s_waitcnt vmcnt(35)
	buffer_store_dword v95, off, s[0:3], 0 offset:48
	s_waitcnt vmcnt(35)
	;; [unrolled: 2-line block ×9, first 2 shown]
	buffer_store_dword v104, off, s[0:3], 0 offset:84
	buffer_store_dword v103, off, s[0:3], 0 offset:80
	s_waitcnt vmcnt(34)
	buffer_store_dword v106, off, s[0:3], 0 offset:92
	buffer_store_dword v105, off, s[0:3], 0 offset:88
	s_waitcnt vmcnt(34)
	;; [unrolled: 3-line block ×10, first 2 shown]
	buffer_store_dword v124, off, s[0:3], 0 offset:164
	s_waitcnt vmcnt(34)
	buffer_store_dword v89, off, s[0:3], 0 offset:160
	buffer_store_dword v88, off, s[0:3], 0 offset:168
	s_cselect_b64 s[10:11], -1, 0
	s_cmpk_eq_i32 s13, 0x84
	v_mov_b32_e32 v88, -1.0
	s_cbranch_scc1 .LBB42_3
; %bb.2:
	v_lshl_add_u32 v88, v0, 2, v109
	buffer_load_dword v89, v88, s[0:3], 0 offen
	s_waitcnt vmcnt(0)
	v_div_scale_f32 v90, s[4:5], v89, v89, 1.0
	v_rcp_f32_e32 v91, v90
	v_div_scale_f32 v92, vcc, 1.0, v89, 1.0
	v_fma_f32 v93, -v90, v91, 1.0
	v_fmac_f32_e32 v91, v93, v91
	v_mul_f32_e32 v93, v92, v91
	v_fma_f32 v94, -v90, v93, v92
	v_fmac_f32_e32 v93, v94, v91
	v_fma_f32 v90, -v90, v93, v92
	v_div_fmas_f32 v90, v90, v91, v93
	v_div_fixup_f32 v89, v90, v89, 1.0
	buffer_store_dword v89, v88, s[0:3], 0 offen
	v_xor_b32_e32 v88, 0x80000000, v89
.LBB42_3:
	ds_write_b32 v1, v88
	s_cmpk_eq_i32 s12, 0x79
	v_add_u32_e32 v88, 0xb0, v1
	v_add_u32_e32 v89, 0, v1
	s_mov_b64 s[4:5], -1
	s_cbranch_scc1 .LBB42_417
; %bb.4:
	buffer_load_dword v90, off, s[0:3], 0 offset:164
	v_cmp_eq_u32_e64 s[4:5], 42, v0
	s_waitcnt vmcnt(0)
	ds_write_b32 v88, v90
	s_waitcnt lgkmcnt(0)
	; wave barrier
	s_waitcnt lgkmcnt(0)
	s_and_saveexec_b64 s[6:7], s[4:5]
	s_cbranch_execz .LBB42_10
; %bb.5:
	s_and_b64 vcc, exec, s[10:11]
	s_cbranch_vccz .LBB42_7
; %bb.6:
	buffer_load_dword v90, v89, s[0:3], 0 offen
	ds_read_b32 v91, v88
	s_waitcnt vmcnt(0) lgkmcnt(0)
	v_mul_f32_e32 v90, v90, v91
	s_cbranch_execz .LBB42_8
	s_branch .LBB42_9
.LBB42_7:
                                        ; implicit-def: $vgpr90
.LBB42_8:
	ds_read_b32 v90, v88
.LBB42_9:
	v_mov_b32_e32 v91, 0
	ds_read_b32 v91, v91 offset:164
	s_waitcnt lgkmcnt(0)
	v_mul_f32_e32 v90, v90, v91
	buffer_store_dword v90, off, s[0:3], 0 offset:164
.LBB42_10:
	s_or_b64 exec, exec, s[6:7]
	buffer_load_dword v110, off, s[0:3], 0 offset:160
	v_or_b32_e32 v90, 8, v109
	v_add_u32_e32 v91, 16, v109
	v_add_u32_e32 v92, 24, v109
	;; [unrolled: 1-line block ×19, first 2 shown]
	v_cmp_lt_u32_e64 s[8:9], 40, v0
	s_waitcnt vmcnt(0)
	ds_write_b32 v88, v110
	s_waitcnt lgkmcnt(0)
	; wave barrier
	s_waitcnt lgkmcnt(0)
	s_and_saveexec_b64 s[6:7], s[8:9]
	s_cbranch_execz .LBB42_16
; %bb.11:
	s_andn2_b64 vcc, exec, s[10:11]
	s_cbranch_vccnz .LBB42_13
; %bb.12:
	buffer_load_dword v110, v89, s[0:3], 0 offen
	ds_read_b32 v111, v88
	s_waitcnt vmcnt(0) lgkmcnt(0)
	v_mul_f32_e32 v110, v110, v111
	s_cbranch_execz .LBB42_14
	s_branch .LBB42_15
.LBB42_13:
                                        ; implicit-def: $vgpr110
.LBB42_14:
	ds_read_b32 v110, v88
.LBB42_15:
	buffer_load_dword v111, off, s[0:3], 0 offset:164
	v_mov_b32_e32 v112, 0
	ds_read2_b32 v[112:113], v112 offset0:40 offset1:85
	s_waitcnt vmcnt(0) lgkmcnt(0)
	v_fma_f32 v111, v111, v113, v110
	v_cndmask_b32_e64 v110, v110, v111, s[4:5]
	v_mul_f32_e32 v110, v110, v112
	buffer_store_dword v110, off, s[0:3], 0 offset:160
.LBB42_16:
	s_or_b64 exec, exec, s[6:7]
	buffer_load_dword v110, off, s[0:3], 0 offset:156
	v_cmp_lt_u32_e64 s[6:7], 39, v0
	s_waitcnt vmcnt(0)
	ds_write_b32 v88, v110
	s_waitcnt lgkmcnt(0)
	; wave barrier
	s_waitcnt lgkmcnt(0)
	s_and_saveexec_b64 s[4:5], s[6:7]
	s_cbranch_execz .LBB42_26
; %bb.17:
	s_andn2_b64 vcc, exec, s[10:11]
	s_cbranch_vccnz .LBB42_19
; %bb.18:
	buffer_load_dword v110, v89, s[0:3], 0 offen
	ds_read_b32 v111, v88
	s_waitcnt vmcnt(0) lgkmcnt(0)
	v_mul_f32_e32 v110, v110, v111
	s_cbranch_execz .LBB42_20
	s_branch .LBB42_21
.LBB42_19:
                                        ; implicit-def: $vgpr110
.LBB42_20:
	ds_read_b32 v110, v88
.LBB42_21:
	s_and_saveexec_b64 s[12:13], s[8:9]
	s_cbranch_execz .LBB42_25
; %bb.22:
	v_subrev_u32_e32 v111, 40, v0
	s_movk_i32 s14, 0x150
	s_mov_b64 s[8:9], 0
.LBB42_23:                              ; =>This Inner Loop Header: Depth=1
	buffer_load_dword v112, v109, s[0:3], 0 offen
	v_mov_b32_e32 v113, s14
	ds_read_b32 v113, v113
	v_add_u32_e32 v111, -1, v111
	s_add_i32 s14, s14, 4
	v_cmp_eq_u32_e32 vcc, 0, v111
	v_add_u32_e32 v109, 4, v109
	s_or_b64 s[8:9], vcc, s[8:9]
	s_waitcnt vmcnt(0) lgkmcnt(0)
	v_fmac_f32_e32 v110, v112, v113
	s_andn2_b64 exec, exec, s[8:9]
	s_cbranch_execnz .LBB42_23
; %bb.24:
	s_or_b64 exec, exec, s[8:9]
.LBB42_25:
	s_or_b64 exec, exec, s[12:13]
	v_mov_b32_e32 v109, 0
	ds_read_b32 v109, v109 offset:156
	s_waitcnt lgkmcnt(0)
	v_mul_f32_e32 v109, v110, v109
	buffer_store_dword v109, off, s[0:3], 0 offset:156
.LBB42_26:
	s_or_b64 exec, exec, s[4:5]
	buffer_load_dword v109, off, s[0:3], 0 offset:152
	v_cmp_lt_u32_e64 s[4:5], 38, v0
	s_waitcnt vmcnt(0)
	ds_write_b32 v88, v109
	s_waitcnt lgkmcnt(0)
	; wave barrier
	s_waitcnt lgkmcnt(0)
	s_and_saveexec_b64 s[8:9], s[4:5]
	s_cbranch_execz .LBB42_36
; %bb.27:
	s_andn2_b64 vcc, exec, s[10:11]
	s_cbranch_vccnz .LBB42_29
; %bb.28:
	buffer_load_dword v109, v89, s[0:3], 0 offen
	ds_read_b32 v110, v88
	s_waitcnt vmcnt(0) lgkmcnt(0)
	v_mul_f32_e32 v109, v109, v110
	s_cbranch_execz .LBB42_30
	s_branch .LBB42_31
.LBB42_29:
                                        ; implicit-def: $vgpr109
.LBB42_30:
	ds_read_b32 v109, v88
.LBB42_31:
	s_and_saveexec_b64 s[12:13], s[6:7]
	s_cbranch_execz .LBB42_35
; %bb.32:
	v_mov_b32_e32 v110, 0
	v_add_u32_e32 v110, 0x9c, v110
	v_subrev_u32_e32 v111, 39, v0
	s_movk_i32 s14, 0x14c
	s_mov_b64 s[6:7], 0
.LBB42_33:                              ; =>This Inner Loop Header: Depth=1
	buffer_load_dword v112, v110, s[0:3], 0 offen
	v_mov_b32_e32 v113, s14
	ds_read_b32 v113, v113
	v_add_u32_e32 v111, -1, v111
	s_add_i32 s14, s14, 4
	v_cmp_eq_u32_e32 vcc, 0, v111
	v_add_u32_e32 v110, 4, v110
	s_or_b64 s[6:7], vcc, s[6:7]
	s_waitcnt vmcnt(0) lgkmcnt(0)
	v_fmac_f32_e32 v109, v112, v113
	s_andn2_b64 exec, exec, s[6:7]
	s_cbranch_execnz .LBB42_33
; %bb.34:
	s_or_b64 exec, exec, s[6:7]
.LBB42_35:
	s_or_b64 exec, exec, s[12:13]
	v_mov_b32_e32 v110, 0
	ds_read_b32 v110, v110 offset:152
	s_waitcnt lgkmcnt(0)
	v_mul_f32_e32 v109, v109, v110
	buffer_store_dword v109, off, s[0:3], 0 offset:152
.LBB42_36:
	s_or_b64 exec, exec, s[8:9]
	buffer_load_dword v109, off, s[0:3], 0 offset:148
	v_cmp_lt_u32_e64 s[6:7], 37, v0
	s_waitcnt vmcnt(0)
	ds_write_b32 v88, v109
	s_waitcnt lgkmcnt(0)
	; wave barrier
	s_waitcnt lgkmcnt(0)
	s_and_saveexec_b64 s[8:9], s[6:7]
	s_cbranch_execz .LBB42_46
; %bb.37:
	s_andn2_b64 vcc, exec, s[10:11]
	s_cbranch_vccnz .LBB42_39
; %bb.38:
	buffer_load_dword v109, v89, s[0:3], 0 offen
	ds_read_b32 v110, v88
	s_waitcnt vmcnt(0) lgkmcnt(0)
	v_mul_f32_e32 v109, v109, v110
	s_cbranch_execz .LBB42_40
	s_branch .LBB42_41
.LBB42_39:
                                        ; implicit-def: $vgpr109
.LBB42_40:
	ds_read_b32 v109, v88
.LBB42_41:
	s_and_saveexec_b64 s[12:13], s[4:5]
	s_cbranch_execz .LBB42_45
; %bb.42:
	v_subrev_u32_e32 v110, 38, v0
	s_movk_i32 s14, 0x148
	s_mov_b64 s[4:5], 0
.LBB42_43:                              ; =>This Inner Loop Header: Depth=1
	buffer_load_dword v111, v108, s[0:3], 0 offen
	v_mov_b32_e32 v112, s14
	ds_read_b32 v112, v112
	v_add_u32_e32 v110, -1, v110
	s_add_i32 s14, s14, 4
	v_cmp_eq_u32_e32 vcc, 0, v110
	v_add_u32_e32 v108, 4, v108
	s_or_b64 s[4:5], vcc, s[4:5]
	s_waitcnt vmcnt(0) lgkmcnt(0)
	v_fmac_f32_e32 v109, v111, v112
	s_andn2_b64 exec, exec, s[4:5]
	s_cbranch_execnz .LBB42_43
; %bb.44:
	s_or_b64 exec, exec, s[4:5]
.LBB42_45:
	s_or_b64 exec, exec, s[12:13]
	v_mov_b32_e32 v108, 0
	ds_read_b32 v108, v108 offset:148
	s_waitcnt lgkmcnt(0)
	v_mul_f32_e32 v108, v109, v108
	buffer_store_dword v108, off, s[0:3], 0 offset:148
.LBB42_46:
	s_or_b64 exec, exec, s[8:9]
	buffer_load_dword v108, off, s[0:3], 0 offset:144
	v_cmp_lt_u32_e64 s[4:5], 36, v0
	s_waitcnt vmcnt(0)
	ds_write_b32 v88, v108
	s_waitcnt lgkmcnt(0)
	; wave barrier
	s_waitcnt lgkmcnt(0)
	s_and_saveexec_b64 s[8:9], s[4:5]
	s_cbranch_execz .LBB42_56
; %bb.47:
	s_andn2_b64 vcc, exec, s[10:11]
	s_cbranch_vccnz .LBB42_49
; %bb.48:
	buffer_load_dword v108, v89, s[0:3], 0 offen
	ds_read_b32 v109, v88
	s_waitcnt vmcnt(0) lgkmcnt(0)
	v_mul_f32_e32 v108, v108, v109
	s_cbranch_execz .LBB42_50
	s_branch .LBB42_51
.LBB42_49:
                                        ; implicit-def: $vgpr108
.LBB42_50:
	ds_read_b32 v108, v88
.LBB42_51:
	s_and_saveexec_b64 s[12:13], s[6:7]
	s_cbranch_execz .LBB42_55
; %bb.52:
	v_mov_b32_e32 v109, 0
	v_add_u32_e32 v109, 0x94, v109
	v_subrev_u32_e32 v110, 37, v0
	s_movk_i32 s14, 0x144
	s_mov_b64 s[6:7], 0
.LBB42_53:                              ; =>This Inner Loop Header: Depth=1
	buffer_load_dword v111, v109, s[0:3], 0 offen
	v_mov_b32_e32 v112, s14
	ds_read_b32 v112, v112
	v_add_u32_e32 v110, -1, v110
	s_add_i32 s14, s14, 4
	v_cmp_eq_u32_e32 vcc, 0, v110
	v_add_u32_e32 v109, 4, v109
	s_or_b64 s[6:7], vcc, s[6:7]
	s_waitcnt vmcnt(0) lgkmcnt(0)
	v_fmac_f32_e32 v108, v111, v112
	s_andn2_b64 exec, exec, s[6:7]
	s_cbranch_execnz .LBB42_53
; %bb.54:
	s_or_b64 exec, exec, s[6:7]
.LBB42_55:
	s_or_b64 exec, exec, s[12:13]
	v_mov_b32_e32 v109, 0
	ds_read_b32 v109, v109 offset:144
	s_waitcnt lgkmcnt(0)
	v_mul_f32_e32 v108, v108, v109
	buffer_store_dword v108, off, s[0:3], 0 offset:144
.LBB42_56:
	s_or_b64 exec, exec, s[8:9]
	buffer_load_dword v108, off, s[0:3], 0 offset:140
	v_cmp_lt_u32_e64 s[6:7], 35, v0
	s_waitcnt vmcnt(0)
	ds_write_b32 v88, v108
	s_waitcnt lgkmcnt(0)
	; wave barrier
	s_waitcnt lgkmcnt(0)
	s_and_saveexec_b64 s[8:9], s[6:7]
	s_cbranch_execz .LBB42_66
; %bb.57:
	s_andn2_b64 vcc, exec, s[10:11]
	s_cbranch_vccnz .LBB42_59
; %bb.58:
	buffer_load_dword v108, v89, s[0:3], 0 offen
	ds_read_b32 v109, v88
	s_waitcnt vmcnt(0) lgkmcnt(0)
	v_mul_f32_e32 v108, v108, v109
	s_cbranch_execz .LBB42_60
	s_branch .LBB42_61
.LBB42_59:
                                        ; implicit-def: $vgpr108
.LBB42_60:
	ds_read_b32 v108, v88
.LBB42_61:
	s_and_saveexec_b64 s[12:13], s[4:5]
	s_cbranch_execz .LBB42_65
; %bb.62:
	v_subrev_u32_e32 v109, 36, v0
	s_movk_i32 s14, 0x140
	s_mov_b64 s[4:5], 0
.LBB42_63:                              ; =>This Inner Loop Header: Depth=1
	buffer_load_dword v110, v107, s[0:3], 0 offen
	v_mov_b32_e32 v111, s14
	ds_read_b32 v111, v111
	v_add_u32_e32 v109, -1, v109
	s_add_i32 s14, s14, 4
	v_cmp_eq_u32_e32 vcc, 0, v109
	v_add_u32_e32 v107, 4, v107
	s_or_b64 s[4:5], vcc, s[4:5]
	s_waitcnt vmcnt(0) lgkmcnt(0)
	v_fmac_f32_e32 v108, v110, v111
	s_andn2_b64 exec, exec, s[4:5]
	s_cbranch_execnz .LBB42_63
; %bb.64:
	s_or_b64 exec, exec, s[4:5]
.LBB42_65:
	s_or_b64 exec, exec, s[12:13]
	v_mov_b32_e32 v107, 0
	ds_read_b32 v107, v107 offset:140
	s_waitcnt lgkmcnt(0)
	v_mul_f32_e32 v107, v108, v107
	buffer_store_dword v107, off, s[0:3], 0 offset:140
.LBB42_66:
	s_or_b64 exec, exec, s[8:9]
	buffer_load_dword v107, off, s[0:3], 0 offset:136
	v_cmp_lt_u32_e64 s[4:5], 34, v0
	s_waitcnt vmcnt(0)
	ds_write_b32 v88, v107
	s_waitcnt lgkmcnt(0)
	; wave barrier
	s_waitcnt lgkmcnt(0)
	s_and_saveexec_b64 s[8:9], s[4:5]
	s_cbranch_execz .LBB42_76
; %bb.67:
	s_andn2_b64 vcc, exec, s[10:11]
	s_cbranch_vccnz .LBB42_69
; %bb.68:
	buffer_load_dword v107, v89, s[0:3], 0 offen
	ds_read_b32 v108, v88
	s_waitcnt vmcnt(0) lgkmcnt(0)
	v_mul_f32_e32 v107, v107, v108
	s_cbranch_execz .LBB42_70
	s_branch .LBB42_71
.LBB42_69:
                                        ; implicit-def: $vgpr107
.LBB42_70:
	ds_read_b32 v107, v88
.LBB42_71:
	s_and_saveexec_b64 s[12:13], s[6:7]
	s_cbranch_execz .LBB42_75
; %bb.72:
	v_mov_b32_e32 v108, 0
	v_add_u32_e32 v108, 0x8c, v108
	v_subrev_u32_e32 v109, 35, v0
	s_movk_i32 s14, 0x13c
	s_mov_b64 s[6:7], 0
.LBB42_73:                              ; =>This Inner Loop Header: Depth=1
	buffer_load_dword v110, v108, s[0:3], 0 offen
	v_mov_b32_e32 v111, s14
	ds_read_b32 v111, v111
	v_add_u32_e32 v109, -1, v109
	s_add_i32 s14, s14, 4
	v_cmp_eq_u32_e32 vcc, 0, v109
	v_add_u32_e32 v108, 4, v108
	s_or_b64 s[6:7], vcc, s[6:7]
	s_waitcnt vmcnt(0) lgkmcnt(0)
	v_fmac_f32_e32 v107, v110, v111
	s_andn2_b64 exec, exec, s[6:7]
	s_cbranch_execnz .LBB42_73
; %bb.74:
	s_or_b64 exec, exec, s[6:7]
.LBB42_75:
	s_or_b64 exec, exec, s[12:13]
	v_mov_b32_e32 v108, 0
	ds_read_b32 v108, v108 offset:136
	s_waitcnt lgkmcnt(0)
	v_mul_f32_e32 v107, v107, v108
	buffer_store_dword v107, off, s[0:3], 0 offset:136
.LBB42_76:
	s_or_b64 exec, exec, s[8:9]
	buffer_load_dword v107, off, s[0:3], 0 offset:132
	v_cmp_lt_u32_e64 s[6:7], 33, v0
	s_waitcnt vmcnt(0)
	ds_write_b32 v88, v107
	s_waitcnt lgkmcnt(0)
	; wave barrier
	s_waitcnt lgkmcnt(0)
	s_and_saveexec_b64 s[8:9], s[6:7]
	s_cbranch_execz .LBB42_86
; %bb.77:
	s_andn2_b64 vcc, exec, s[10:11]
	s_cbranch_vccnz .LBB42_79
; %bb.78:
	buffer_load_dword v107, v89, s[0:3], 0 offen
	ds_read_b32 v108, v88
	s_waitcnt vmcnt(0) lgkmcnt(0)
	v_mul_f32_e32 v107, v107, v108
	s_cbranch_execz .LBB42_80
	s_branch .LBB42_81
.LBB42_79:
                                        ; implicit-def: $vgpr107
.LBB42_80:
	ds_read_b32 v107, v88
.LBB42_81:
	s_and_saveexec_b64 s[12:13], s[4:5]
	s_cbranch_execz .LBB42_85
; %bb.82:
	v_subrev_u32_e32 v108, 34, v0
	s_movk_i32 s14, 0x138
	s_mov_b64 s[4:5], 0
.LBB42_83:                              ; =>This Inner Loop Header: Depth=1
	buffer_load_dword v109, v106, s[0:3], 0 offen
	v_mov_b32_e32 v110, s14
	ds_read_b32 v110, v110
	v_add_u32_e32 v108, -1, v108
	s_add_i32 s14, s14, 4
	v_cmp_eq_u32_e32 vcc, 0, v108
	v_add_u32_e32 v106, 4, v106
	s_or_b64 s[4:5], vcc, s[4:5]
	s_waitcnt vmcnt(0) lgkmcnt(0)
	v_fmac_f32_e32 v107, v109, v110
	s_andn2_b64 exec, exec, s[4:5]
	s_cbranch_execnz .LBB42_83
; %bb.84:
	s_or_b64 exec, exec, s[4:5]
.LBB42_85:
	s_or_b64 exec, exec, s[12:13]
	v_mov_b32_e32 v106, 0
	ds_read_b32 v106, v106 offset:132
	s_waitcnt lgkmcnt(0)
	v_mul_f32_e32 v106, v107, v106
	buffer_store_dword v106, off, s[0:3], 0 offset:132
.LBB42_86:
	s_or_b64 exec, exec, s[8:9]
	buffer_load_dword v106, off, s[0:3], 0 offset:128
	v_cmp_lt_u32_e64 s[4:5], 32, v0
	s_waitcnt vmcnt(0)
	ds_write_b32 v88, v106
	s_waitcnt lgkmcnt(0)
	; wave barrier
	s_waitcnt lgkmcnt(0)
	s_and_saveexec_b64 s[8:9], s[4:5]
	s_cbranch_execz .LBB42_96
; %bb.87:
	s_andn2_b64 vcc, exec, s[10:11]
	s_cbranch_vccnz .LBB42_89
; %bb.88:
	buffer_load_dword v106, v89, s[0:3], 0 offen
	ds_read_b32 v107, v88
	s_waitcnt vmcnt(0) lgkmcnt(0)
	v_mul_f32_e32 v106, v106, v107
	s_cbranch_execz .LBB42_90
	s_branch .LBB42_91
.LBB42_89:
                                        ; implicit-def: $vgpr106
.LBB42_90:
	ds_read_b32 v106, v88
.LBB42_91:
	s_and_saveexec_b64 s[12:13], s[6:7]
	s_cbranch_execz .LBB42_95
; %bb.92:
	v_mov_b32_e32 v107, 0
	v_add_u32_e32 v107, 0x84, v107
	v_subrev_u32_e32 v108, 33, v0
	s_movk_i32 s14, 0x134
	s_mov_b64 s[6:7], 0
.LBB42_93:                              ; =>This Inner Loop Header: Depth=1
	buffer_load_dword v109, v107, s[0:3], 0 offen
	v_mov_b32_e32 v110, s14
	ds_read_b32 v110, v110
	v_add_u32_e32 v108, -1, v108
	s_add_i32 s14, s14, 4
	v_cmp_eq_u32_e32 vcc, 0, v108
	v_add_u32_e32 v107, 4, v107
	s_or_b64 s[6:7], vcc, s[6:7]
	s_waitcnt vmcnt(0) lgkmcnt(0)
	v_fmac_f32_e32 v106, v109, v110
	s_andn2_b64 exec, exec, s[6:7]
	s_cbranch_execnz .LBB42_93
; %bb.94:
	s_or_b64 exec, exec, s[6:7]
.LBB42_95:
	s_or_b64 exec, exec, s[12:13]
	v_mov_b32_e32 v107, 0
	ds_read_b32 v107, v107 offset:128
	s_waitcnt lgkmcnt(0)
	v_mul_f32_e32 v106, v106, v107
	buffer_store_dword v106, off, s[0:3], 0 offset:128
.LBB42_96:
	s_or_b64 exec, exec, s[8:9]
	buffer_load_dword v106, off, s[0:3], 0 offset:124
	v_cmp_lt_u32_e64 s[6:7], 31, v0
	s_waitcnt vmcnt(0)
	ds_write_b32 v88, v106
	s_waitcnt lgkmcnt(0)
	; wave barrier
	s_waitcnt lgkmcnt(0)
	s_and_saveexec_b64 s[8:9], s[6:7]
	s_cbranch_execz .LBB42_106
; %bb.97:
	s_andn2_b64 vcc, exec, s[10:11]
	s_cbranch_vccnz .LBB42_99
; %bb.98:
	buffer_load_dword v106, v89, s[0:3], 0 offen
	ds_read_b32 v107, v88
	s_waitcnt vmcnt(0) lgkmcnt(0)
	v_mul_f32_e32 v106, v106, v107
	s_cbranch_execz .LBB42_100
	s_branch .LBB42_101
.LBB42_99:
                                        ; implicit-def: $vgpr106
.LBB42_100:
	ds_read_b32 v106, v88
.LBB42_101:
	s_and_saveexec_b64 s[12:13], s[4:5]
	s_cbranch_execz .LBB42_105
; %bb.102:
	v_subrev_u32_e32 v107, 32, v0
	s_movk_i32 s14, 0x130
	s_mov_b64 s[4:5], 0
.LBB42_103:                             ; =>This Inner Loop Header: Depth=1
	buffer_load_dword v108, v105, s[0:3], 0 offen
	v_mov_b32_e32 v109, s14
	ds_read_b32 v109, v109
	v_add_u32_e32 v107, -1, v107
	s_add_i32 s14, s14, 4
	v_cmp_eq_u32_e32 vcc, 0, v107
	v_add_u32_e32 v105, 4, v105
	s_or_b64 s[4:5], vcc, s[4:5]
	s_waitcnt vmcnt(0) lgkmcnt(0)
	v_fmac_f32_e32 v106, v108, v109
	s_andn2_b64 exec, exec, s[4:5]
	s_cbranch_execnz .LBB42_103
; %bb.104:
	s_or_b64 exec, exec, s[4:5]
.LBB42_105:
	s_or_b64 exec, exec, s[12:13]
	v_mov_b32_e32 v105, 0
	ds_read_b32 v105, v105 offset:124
	s_waitcnt lgkmcnt(0)
	v_mul_f32_e32 v105, v106, v105
	buffer_store_dword v105, off, s[0:3], 0 offset:124
.LBB42_106:
	s_or_b64 exec, exec, s[8:9]
	buffer_load_dword v105, off, s[0:3], 0 offset:120
	v_cmp_lt_u32_e64 s[4:5], 30, v0
	s_waitcnt vmcnt(0)
	ds_write_b32 v88, v105
	s_waitcnt lgkmcnt(0)
	; wave barrier
	s_waitcnt lgkmcnt(0)
	s_and_saveexec_b64 s[8:9], s[4:5]
	s_cbranch_execz .LBB42_116
; %bb.107:
	s_andn2_b64 vcc, exec, s[10:11]
	s_cbranch_vccnz .LBB42_109
; %bb.108:
	buffer_load_dword v105, v89, s[0:3], 0 offen
	ds_read_b32 v106, v88
	s_waitcnt vmcnt(0) lgkmcnt(0)
	v_mul_f32_e32 v105, v105, v106
	s_cbranch_execz .LBB42_110
	s_branch .LBB42_111
.LBB42_109:
                                        ; implicit-def: $vgpr105
.LBB42_110:
	ds_read_b32 v105, v88
.LBB42_111:
	s_and_saveexec_b64 s[12:13], s[6:7]
	s_cbranch_execz .LBB42_115
; %bb.112:
	v_mov_b32_e32 v106, 0
	v_add_u32_e32 v106, 0x7c, v106
	v_subrev_u32_e32 v107, 31, v0
	s_movk_i32 s14, 0x12c
	s_mov_b64 s[6:7], 0
.LBB42_113:                             ; =>This Inner Loop Header: Depth=1
	buffer_load_dword v108, v106, s[0:3], 0 offen
	v_mov_b32_e32 v109, s14
	ds_read_b32 v109, v109
	v_add_u32_e32 v107, -1, v107
	s_add_i32 s14, s14, 4
	v_cmp_eq_u32_e32 vcc, 0, v107
	v_add_u32_e32 v106, 4, v106
	s_or_b64 s[6:7], vcc, s[6:7]
	s_waitcnt vmcnt(0) lgkmcnt(0)
	v_fmac_f32_e32 v105, v108, v109
	s_andn2_b64 exec, exec, s[6:7]
	s_cbranch_execnz .LBB42_113
; %bb.114:
	s_or_b64 exec, exec, s[6:7]
.LBB42_115:
	s_or_b64 exec, exec, s[12:13]
	v_mov_b32_e32 v106, 0
	ds_read_b32 v106, v106 offset:120
	s_waitcnt lgkmcnt(0)
	v_mul_f32_e32 v105, v105, v106
	buffer_store_dword v105, off, s[0:3], 0 offset:120
.LBB42_116:
	s_or_b64 exec, exec, s[8:9]
	buffer_load_dword v105, off, s[0:3], 0 offset:116
	v_cmp_lt_u32_e64 s[6:7], 29, v0
	s_waitcnt vmcnt(0)
	ds_write_b32 v88, v105
	s_waitcnt lgkmcnt(0)
	; wave barrier
	s_waitcnt lgkmcnt(0)
	s_and_saveexec_b64 s[8:9], s[6:7]
	s_cbranch_execz .LBB42_126
; %bb.117:
	s_andn2_b64 vcc, exec, s[10:11]
	s_cbranch_vccnz .LBB42_119
; %bb.118:
	buffer_load_dword v105, v89, s[0:3], 0 offen
	ds_read_b32 v106, v88
	s_waitcnt vmcnt(0) lgkmcnt(0)
	v_mul_f32_e32 v105, v105, v106
	s_cbranch_execz .LBB42_120
	s_branch .LBB42_121
.LBB42_119:
                                        ; implicit-def: $vgpr105
.LBB42_120:
	ds_read_b32 v105, v88
.LBB42_121:
	s_and_saveexec_b64 s[12:13], s[4:5]
	s_cbranch_execz .LBB42_125
; %bb.122:
	v_subrev_u32_e32 v106, 30, v0
	s_movk_i32 s14, 0x128
	s_mov_b64 s[4:5], 0
.LBB42_123:                             ; =>This Inner Loop Header: Depth=1
	buffer_load_dword v107, v104, s[0:3], 0 offen
	v_mov_b32_e32 v108, s14
	ds_read_b32 v108, v108
	v_add_u32_e32 v106, -1, v106
	s_add_i32 s14, s14, 4
	v_cmp_eq_u32_e32 vcc, 0, v106
	v_add_u32_e32 v104, 4, v104
	s_or_b64 s[4:5], vcc, s[4:5]
	s_waitcnt vmcnt(0) lgkmcnt(0)
	v_fmac_f32_e32 v105, v107, v108
	s_andn2_b64 exec, exec, s[4:5]
	s_cbranch_execnz .LBB42_123
; %bb.124:
	s_or_b64 exec, exec, s[4:5]
.LBB42_125:
	s_or_b64 exec, exec, s[12:13]
	v_mov_b32_e32 v104, 0
	ds_read_b32 v104, v104 offset:116
	s_waitcnt lgkmcnt(0)
	v_mul_f32_e32 v104, v105, v104
	buffer_store_dword v104, off, s[0:3], 0 offset:116
.LBB42_126:
	s_or_b64 exec, exec, s[8:9]
	buffer_load_dword v104, off, s[0:3], 0 offset:112
	v_cmp_lt_u32_e64 s[4:5], 28, v0
	s_waitcnt vmcnt(0)
	ds_write_b32 v88, v104
	s_waitcnt lgkmcnt(0)
	; wave barrier
	s_waitcnt lgkmcnt(0)
	s_and_saveexec_b64 s[8:9], s[4:5]
	s_cbranch_execz .LBB42_136
; %bb.127:
	s_andn2_b64 vcc, exec, s[10:11]
	s_cbranch_vccnz .LBB42_129
; %bb.128:
	buffer_load_dword v104, v89, s[0:3], 0 offen
	ds_read_b32 v105, v88
	s_waitcnt vmcnt(0) lgkmcnt(0)
	v_mul_f32_e32 v104, v104, v105
	s_cbranch_execz .LBB42_130
	s_branch .LBB42_131
.LBB42_129:
                                        ; implicit-def: $vgpr104
.LBB42_130:
	ds_read_b32 v104, v88
.LBB42_131:
	s_and_saveexec_b64 s[12:13], s[6:7]
	s_cbranch_execz .LBB42_135
; %bb.132:
	v_mov_b32_e32 v105, 0
	v_add_u32_e32 v105, 0x74, v105
	v_subrev_u32_e32 v106, 29, v0
	s_movk_i32 s14, 0x124
	s_mov_b64 s[6:7], 0
.LBB42_133:                             ; =>This Inner Loop Header: Depth=1
	buffer_load_dword v107, v105, s[0:3], 0 offen
	v_mov_b32_e32 v108, s14
	ds_read_b32 v108, v108
	v_add_u32_e32 v106, -1, v106
	s_add_i32 s14, s14, 4
	v_cmp_eq_u32_e32 vcc, 0, v106
	v_add_u32_e32 v105, 4, v105
	s_or_b64 s[6:7], vcc, s[6:7]
	s_waitcnt vmcnt(0) lgkmcnt(0)
	v_fmac_f32_e32 v104, v107, v108
	s_andn2_b64 exec, exec, s[6:7]
	s_cbranch_execnz .LBB42_133
; %bb.134:
	s_or_b64 exec, exec, s[6:7]
.LBB42_135:
	s_or_b64 exec, exec, s[12:13]
	v_mov_b32_e32 v105, 0
	ds_read_b32 v105, v105 offset:112
	s_waitcnt lgkmcnt(0)
	v_mul_f32_e32 v104, v104, v105
	buffer_store_dword v104, off, s[0:3], 0 offset:112
.LBB42_136:
	s_or_b64 exec, exec, s[8:9]
	buffer_load_dword v104, off, s[0:3], 0 offset:108
	v_cmp_lt_u32_e64 s[6:7], 27, v0
	s_waitcnt vmcnt(0)
	ds_write_b32 v88, v104
	s_waitcnt lgkmcnt(0)
	; wave barrier
	s_waitcnt lgkmcnt(0)
	s_and_saveexec_b64 s[8:9], s[6:7]
	s_cbranch_execz .LBB42_146
; %bb.137:
	s_andn2_b64 vcc, exec, s[10:11]
	s_cbranch_vccnz .LBB42_139
; %bb.138:
	buffer_load_dword v104, v89, s[0:3], 0 offen
	ds_read_b32 v105, v88
	s_waitcnt vmcnt(0) lgkmcnt(0)
	v_mul_f32_e32 v104, v104, v105
	s_cbranch_execz .LBB42_140
	s_branch .LBB42_141
.LBB42_139:
                                        ; implicit-def: $vgpr104
.LBB42_140:
	ds_read_b32 v104, v88
.LBB42_141:
	s_and_saveexec_b64 s[12:13], s[4:5]
	s_cbranch_execz .LBB42_145
; %bb.142:
	v_subrev_u32_e32 v105, 28, v0
	s_movk_i32 s14, 0x120
	s_mov_b64 s[4:5], 0
.LBB42_143:                             ; =>This Inner Loop Header: Depth=1
	buffer_load_dword v106, v103, s[0:3], 0 offen
	v_mov_b32_e32 v107, s14
	ds_read_b32 v107, v107
	v_add_u32_e32 v105, -1, v105
	s_add_i32 s14, s14, 4
	v_cmp_eq_u32_e32 vcc, 0, v105
	v_add_u32_e32 v103, 4, v103
	s_or_b64 s[4:5], vcc, s[4:5]
	s_waitcnt vmcnt(0) lgkmcnt(0)
	v_fmac_f32_e32 v104, v106, v107
	s_andn2_b64 exec, exec, s[4:5]
	s_cbranch_execnz .LBB42_143
; %bb.144:
	s_or_b64 exec, exec, s[4:5]
.LBB42_145:
	s_or_b64 exec, exec, s[12:13]
	v_mov_b32_e32 v103, 0
	ds_read_b32 v103, v103 offset:108
	s_waitcnt lgkmcnt(0)
	v_mul_f32_e32 v103, v104, v103
	buffer_store_dword v103, off, s[0:3], 0 offset:108
.LBB42_146:
	s_or_b64 exec, exec, s[8:9]
	buffer_load_dword v103, off, s[0:3], 0 offset:104
	v_cmp_lt_u32_e64 s[4:5], 26, v0
	s_waitcnt vmcnt(0)
	ds_write_b32 v88, v103
	s_waitcnt lgkmcnt(0)
	; wave barrier
	s_waitcnt lgkmcnt(0)
	s_and_saveexec_b64 s[8:9], s[4:5]
	s_cbranch_execz .LBB42_156
; %bb.147:
	s_andn2_b64 vcc, exec, s[10:11]
	s_cbranch_vccnz .LBB42_149
; %bb.148:
	buffer_load_dword v103, v89, s[0:3], 0 offen
	ds_read_b32 v104, v88
	s_waitcnt vmcnt(0) lgkmcnt(0)
	v_mul_f32_e32 v103, v103, v104
	s_cbranch_execz .LBB42_150
	s_branch .LBB42_151
.LBB42_149:
                                        ; implicit-def: $vgpr103
.LBB42_150:
	ds_read_b32 v103, v88
.LBB42_151:
	s_and_saveexec_b64 s[12:13], s[6:7]
	s_cbranch_execz .LBB42_155
; %bb.152:
	v_mov_b32_e32 v104, 0
	v_add_u32_e32 v104, 0x6c, v104
	v_subrev_u32_e32 v105, 27, v0
	s_movk_i32 s14, 0x11c
	s_mov_b64 s[6:7], 0
.LBB42_153:                             ; =>This Inner Loop Header: Depth=1
	buffer_load_dword v106, v104, s[0:3], 0 offen
	v_mov_b32_e32 v107, s14
	ds_read_b32 v107, v107
	v_add_u32_e32 v105, -1, v105
	s_add_i32 s14, s14, 4
	v_cmp_eq_u32_e32 vcc, 0, v105
	v_add_u32_e32 v104, 4, v104
	s_or_b64 s[6:7], vcc, s[6:7]
	s_waitcnt vmcnt(0) lgkmcnt(0)
	v_fmac_f32_e32 v103, v106, v107
	s_andn2_b64 exec, exec, s[6:7]
	s_cbranch_execnz .LBB42_153
; %bb.154:
	s_or_b64 exec, exec, s[6:7]
.LBB42_155:
	s_or_b64 exec, exec, s[12:13]
	v_mov_b32_e32 v104, 0
	ds_read_b32 v104, v104 offset:104
	s_waitcnt lgkmcnt(0)
	v_mul_f32_e32 v103, v103, v104
	buffer_store_dword v103, off, s[0:3], 0 offset:104
.LBB42_156:
	s_or_b64 exec, exec, s[8:9]
	buffer_load_dword v103, off, s[0:3], 0 offset:100
	v_cmp_lt_u32_e64 s[6:7], 25, v0
	s_waitcnt vmcnt(0)
	ds_write_b32 v88, v103
	s_waitcnt lgkmcnt(0)
	; wave barrier
	s_waitcnt lgkmcnt(0)
	s_and_saveexec_b64 s[8:9], s[6:7]
	s_cbranch_execz .LBB42_166
; %bb.157:
	s_andn2_b64 vcc, exec, s[10:11]
	s_cbranch_vccnz .LBB42_159
; %bb.158:
	buffer_load_dword v103, v89, s[0:3], 0 offen
	ds_read_b32 v104, v88
	s_waitcnt vmcnt(0) lgkmcnt(0)
	v_mul_f32_e32 v103, v103, v104
	s_cbranch_execz .LBB42_160
	s_branch .LBB42_161
.LBB42_159:
                                        ; implicit-def: $vgpr103
.LBB42_160:
	ds_read_b32 v103, v88
.LBB42_161:
	s_and_saveexec_b64 s[12:13], s[4:5]
	s_cbranch_execz .LBB42_165
; %bb.162:
	v_subrev_u32_e32 v104, 26, v0
	s_movk_i32 s14, 0x118
	s_mov_b64 s[4:5], 0
.LBB42_163:                             ; =>This Inner Loop Header: Depth=1
	buffer_load_dword v105, v102, s[0:3], 0 offen
	v_mov_b32_e32 v106, s14
	ds_read_b32 v106, v106
	v_add_u32_e32 v104, -1, v104
	s_add_i32 s14, s14, 4
	v_cmp_eq_u32_e32 vcc, 0, v104
	v_add_u32_e32 v102, 4, v102
	s_or_b64 s[4:5], vcc, s[4:5]
	s_waitcnt vmcnt(0) lgkmcnt(0)
	v_fmac_f32_e32 v103, v105, v106
	s_andn2_b64 exec, exec, s[4:5]
	s_cbranch_execnz .LBB42_163
; %bb.164:
	s_or_b64 exec, exec, s[4:5]
.LBB42_165:
	s_or_b64 exec, exec, s[12:13]
	v_mov_b32_e32 v102, 0
	ds_read_b32 v102, v102 offset:100
	s_waitcnt lgkmcnt(0)
	v_mul_f32_e32 v102, v103, v102
	buffer_store_dword v102, off, s[0:3], 0 offset:100
.LBB42_166:
	s_or_b64 exec, exec, s[8:9]
	buffer_load_dword v102, off, s[0:3], 0 offset:96
	v_cmp_lt_u32_e64 s[4:5], 24, v0
	s_waitcnt vmcnt(0)
	ds_write_b32 v88, v102
	s_waitcnt lgkmcnt(0)
	; wave barrier
	s_waitcnt lgkmcnt(0)
	s_and_saveexec_b64 s[8:9], s[4:5]
	s_cbranch_execz .LBB42_176
; %bb.167:
	s_andn2_b64 vcc, exec, s[10:11]
	s_cbranch_vccnz .LBB42_169
; %bb.168:
	buffer_load_dword v102, v89, s[0:3], 0 offen
	ds_read_b32 v103, v88
	s_waitcnt vmcnt(0) lgkmcnt(0)
	v_mul_f32_e32 v102, v102, v103
	s_cbranch_execz .LBB42_170
	s_branch .LBB42_171
.LBB42_169:
                                        ; implicit-def: $vgpr102
.LBB42_170:
	ds_read_b32 v102, v88
.LBB42_171:
	s_and_saveexec_b64 s[12:13], s[6:7]
	s_cbranch_execz .LBB42_175
; %bb.172:
	v_mov_b32_e32 v103, 0
	v_add_u32_e32 v103, 0x64, v103
	v_subrev_u32_e32 v104, 25, v0
	s_movk_i32 s14, 0x114
	s_mov_b64 s[6:7], 0
.LBB42_173:                             ; =>This Inner Loop Header: Depth=1
	buffer_load_dword v105, v103, s[0:3], 0 offen
	v_mov_b32_e32 v106, s14
	ds_read_b32 v106, v106
	v_add_u32_e32 v104, -1, v104
	s_add_i32 s14, s14, 4
	v_cmp_eq_u32_e32 vcc, 0, v104
	v_add_u32_e32 v103, 4, v103
	s_or_b64 s[6:7], vcc, s[6:7]
	s_waitcnt vmcnt(0) lgkmcnt(0)
	v_fmac_f32_e32 v102, v105, v106
	s_andn2_b64 exec, exec, s[6:7]
	s_cbranch_execnz .LBB42_173
; %bb.174:
	s_or_b64 exec, exec, s[6:7]
.LBB42_175:
	s_or_b64 exec, exec, s[12:13]
	v_mov_b32_e32 v103, 0
	ds_read_b32 v103, v103 offset:96
	s_waitcnt lgkmcnt(0)
	v_mul_f32_e32 v102, v102, v103
	buffer_store_dword v102, off, s[0:3], 0 offset:96
.LBB42_176:
	s_or_b64 exec, exec, s[8:9]
	buffer_load_dword v102, off, s[0:3], 0 offset:92
	v_cmp_lt_u32_e64 s[6:7], 23, v0
	s_waitcnt vmcnt(0)
	ds_write_b32 v88, v102
	s_waitcnt lgkmcnt(0)
	; wave barrier
	s_waitcnt lgkmcnt(0)
	s_and_saveexec_b64 s[8:9], s[6:7]
	s_cbranch_execz .LBB42_186
; %bb.177:
	s_andn2_b64 vcc, exec, s[10:11]
	s_cbranch_vccnz .LBB42_179
; %bb.178:
	buffer_load_dword v102, v89, s[0:3], 0 offen
	ds_read_b32 v103, v88
	s_waitcnt vmcnt(0) lgkmcnt(0)
	v_mul_f32_e32 v102, v102, v103
	s_cbranch_execz .LBB42_180
	s_branch .LBB42_181
.LBB42_179:
                                        ; implicit-def: $vgpr102
.LBB42_180:
	ds_read_b32 v102, v88
.LBB42_181:
	s_and_saveexec_b64 s[12:13], s[4:5]
	s_cbranch_execz .LBB42_185
; %bb.182:
	v_subrev_u32_e32 v103, 24, v0
	s_movk_i32 s14, 0x110
	s_mov_b64 s[4:5], 0
.LBB42_183:                             ; =>This Inner Loop Header: Depth=1
	buffer_load_dword v104, v101, s[0:3], 0 offen
	v_mov_b32_e32 v105, s14
	ds_read_b32 v105, v105
	v_add_u32_e32 v103, -1, v103
	s_add_i32 s14, s14, 4
	v_cmp_eq_u32_e32 vcc, 0, v103
	v_add_u32_e32 v101, 4, v101
	s_or_b64 s[4:5], vcc, s[4:5]
	s_waitcnt vmcnt(0) lgkmcnt(0)
	v_fmac_f32_e32 v102, v104, v105
	s_andn2_b64 exec, exec, s[4:5]
	s_cbranch_execnz .LBB42_183
; %bb.184:
	s_or_b64 exec, exec, s[4:5]
.LBB42_185:
	s_or_b64 exec, exec, s[12:13]
	v_mov_b32_e32 v101, 0
	ds_read_b32 v101, v101 offset:92
	s_waitcnt lgkmcnt(0)
	v_mul_f32_e32 v101, v102, v101
	buffer_store_dword v101, off, s[0:3], 0 offset:92
.LBB42_186:
	s_or_b64 exec, exec, s[8:9]
	buffer_load_dword v101, off, s[0:3], 0 offset:88
	v_cmp_lt_u32_e64 s[4:5], 22, v0
	s_waitcnt vmcnt(0)
	ds_write_b32 v88, v101
	s_waitcnt lgkmcnt(0)
	; wave barrier
	s_waitcnt lgkmcnt(0)
	s_and_saveexec_b64 s[8:9], s[4:5]
	s_cbranch_execz .LBB42_196
; %bb.187:
	s_andn2_b64 vcc, exec, s[10:11]
	s_cbranch_vccnz .LBB42_189
; %bb.188:
	buffer_load_dword v101, v89, s[0:3], 0 offen
	ds_read_b32 v102, v88
	s_waitcnt vmcnt(0) lgkmcnt(0)
	v_mul_f32_e32 v101, v101, v102
	s_cbranch_execz .LBB42_190
	s_branch .LBB42_191
.LBB42_189:
                                        ; implicit-def: $vgpr101
.LBB42_190:
	ds_read_b32 v101, v88
.LBB42_191:
	s_and_saveexec_b64 s[12:13], s[6:7]
	s_cbranch_execz .LBB42_195
; %bb.192:
	v_mov_b32_e32 v102, 0
	v_add_u32_e32 v102, 0x5c, v102
	v_subrev_u32_e32 v103, 23, v0
	s_movk_i32 s14, 0x10c
	s_mov_b64 s[6:7], 0
.LBB42_193:                             ; =>This Inner Loop Header: Depth=1
	buffer_load_dword v104, v102, s[0:3], 0 offen
	v_mov_b32_e32 v105, s14
	ds_read_b32 v105, v105
	v_add_u32_e32 v103, -1, v103
	s_add_i32 s14, s14, 4
	v_cmp_eq_u32_e32 vcc, 0, v103
	v_add_u32_e32 v102, 4, v102
	s_or_b64 s[6:7], vcc, s[6:7]
	s_waitcnt vmcnt(0) lgkmcnt(0)
	v_fmac_f32_e32 v101, v104, v105
	s_andn2_b64 exec, exec, s[6:7]
	s_cbranch_execnz .LBB42_193
; %bb.194:
	s_or_b64 exec, exec, s[6:7]
.LBB42_195:
	s_or_b64 exec, exec, s[12:13]
	v_mov_b32_e32 v102, 0
	ds_read_b32 v102, v102 offset:88
	s_waitcnt lgkmcnt(0)
	v_mul_f32_e32 v101, v101, v102
	buffer_store_dword v101, off, s[0:3], 0 offset:88
.LBB42_196:
	s_or_b64 exec, exec, s[8:9]
	buffer_load_dword v101, off, s[0:3], 0 offset:84
	v_cmp_lt_u32_e64 s[6:7], 21, v0
	s_waitcnt vmcnt(0)
	ds_write_b32 v88, v101
	s_waitcnt lgkmcnt(0)
	; wave barrier
	s_waitcnt lgkmcnt(0)
	s_and_saveexec_b64 s[8:9], s[6:7]
	s_cbranch_execz .LBB42_206
; %bb.197:
	s_andn2_b64 vcc, exec, s[10:11]
	s_cbranch_vccnz .LBB42_199
; %bb.198:
	buffer_load_dword v101, v89, s[0:3], 0 offen
	ds_read_b32 v102, v88
	s_waitcnt vmcnt(0) lgkmcnt(0)
	v_mul_f32_e32 v101, v101, v102
	s_cbranch_execz .LBB42_200
	s_branch .LBB42_201
.LBB42_199:
                                        ; implicit-def: $vgpr101
.LBB42_200:
	ds_read_b32 v101, v88
.LBB42_201:
	s_and_saveexec_b64 s[12:13], s[4:5]
	s_cbranch_execz .LBB42_205
; %bb.202:
	v_subrev_u32_e32 v102, 22, v0
	s_movk_i32 s14, 0x108
	s_mov_b64 s[4:5], 0
.LBB42_203:                             ; =>This Inner Loop Header: Depth=1
	buffer_load_dword v103, v100, s[0:3], 0 offen
	v_mov_b32_e32 v104, s14
	ds_read_b32 v104, v104
	v_add_u32_e32 v102, -1, v102
	s_add_i32 s14, s14, 4
	v_cmp_eq_u32_e32 vcc, 0, v102
	v_add_u32_e32 v100, 4, v100
	s_or_b64 s[4:5], vcc, s[4:5]
	s_waitcnt vmcnt(0) lgkmcnt(0)
	v_fmac_f32_e32 v101, v103, v104
	s_andn2_b64 exec, exec, s[4:5]
	s_cbranch_execnz .LBB42_203
; %bb.204:
	s_or_b64 exec, exec, s[4:5]
.LBB42_205:
	s_or_b64 exec, exec, s[12:13]
	v_mov_b32_e32 v100, 0
	ds_read_b32 v100, v100 offset:84
	s_waitcnt lgkmcnt(0)
	v_mul_f32_e32 v100, v101, v100
	buffer_store_dword v100, off, s[0:3], 0 offset:84
.LBB42_206:
	s_or_b64 exec, exec, s[8:9]
	buffer_load_dword v100, off, s[0:3], 0 offset:80
	v_cmp_lt_u32_e64 s[4:5], 20, v0
	s_waitcnt vmcnt(0)
	ds_write_b32 v88, v100
	s_waitcnt lgkmcnt(0)
	; wave barrier
	s_waitcnt lgkmcnt(0)
	s_and_saveexec_b64 s[8:9], s[4:5]
	s_cbranch_execz .LBB42_216
; %bb.207:
	s_andn2_b64 vcc, exec, s[10:11]
	s_cbranch_vccnz .LBB42_209
; %bb.208:
	buffer_load_dword v100, v89, s[0:3], 0 offen
	ds_read_b32 v101, v88
	s_waitcnt vmcnt(0) lgkmcnt(0)
	v_mul_f32_e32 v100, v100, v101
	s_cbranch_execz .LBB42_210
	s_branch .LBB42_211
.LBB42_209:
                                        ; implicit-def: $vgpr100
.LBB42_210:
	ds_read_b32 v100, v88
.LBB42_211:
	s_and_saveexec_b64 s[12:13], s[6:7]
	s_cbranch_execz .LBB42_215
; %bb.212:
	v_mov_b32_e32 v101, 0
	v_add_u32_e32 v101, 0x54, v101
	v_subrev_u32_e32 v102, 21, v0
	s_movk_i32 s14, 0x104
	s_mov_b64 s[6:7], 0
.LBB42_213:                             ; =>This Inner Loop Header: Depth=1
	buffer_load_dword v103, v101, s[0:3], 0 offen
	v_mov_b32_e32 v104, s14
	ds_read_b32 v104, v104
	v_add_u32_e32 v102, -1, v102
	s_add_i32 s14, s14, 4
	v_cmp_eq_u32_e32 vcc, 0, v102
	v_add_u32_e32 v101, 4, v101
	s_or_b64 s[6:7], vcc, s[6:7]
	s_waitcnt vmcnt(0) lgkmcnt(0)
	v_fmac_f32_e32 v100, v103, v104
	s_andn2_b64 exec, exec, s[6:7]
	s_cbranch_execnz .LBB42_213
; %bb.214:
	s_or_b64 exec, exec, s[6:7]
.LBB42_215:
	s_or_b64 exec, exec, s[12:13]
	v_mov_b32_e32 v101, 0
	ds_read_b32 v101, v101 offset:80
	s_waitcnt lgkmcnt(0)
	v_mul_f32_e32 v100, v100, v101
	buffer_store_dword v100, off, s[0:3], 0 offset:80
.LBB42_216:
	s_or_b64 exec, exec, s[8:9]
	buffer_load_dword v100, off, s[0:3], 0 offset:76
	v_cmp_lt_u32_e64 s[6:7], 19, v0
	s_waitcnt vmcnt(0)
	ds_write_b32 v88, v100
	s_waitcnt lgkmcnt(0)
	; wave barrier
	s_waitcnt lgkmcnt(0)
	s_and_saveexec_b64 s[8:9], s[6:7]
	s_cbranch_execz .LBB42_226
; %bb.217:
	s_andn2_b64 vcc, exec, s[10:11]
	s_cbranch_vccnz .LBB42_219
; %bb.218:
	buffer_load_dword v100, v89, s[0:3], 0 offen
	ds_read_b32 v101, v88
	s_waitcnt vmcnt(0) lgkmcnt(0)
	v_mul_f32_e32 v100, v100, v101
	s_cbranch_execz .LBB42_220
	s_branch .LBB42_221
.LBB42_219:
                                        ; implicit-def: $vgpr100
.LBB42_220:
	ds_read_b32 v100, v88
.LBB42_221:
	s_and_saveexec_b64 s[12:13], s[4:5]
	s_cbranch_execz .LBB42_225
; %bb.222:
	v_subrev_u32_e32 v101, 20, v0
	s_movk_i32 s14, 0x100
	s_mov_b64 s[4:5], 0
.LBB42_223:                             ; =>This Inner Loop Header: Depth=1
	buffer_load_dword v102, v99, s[0:3], 0 offen
	v_mov_b32_e32 v103, s14
	ds_read_b32 v103, v103
	v_add_u32_e32 v101, -1, v101
	s_add_i32 s14, s14, 4
	v_cmp_eq_u32_e32 vcc, 0, v101
	v_add_u32_e32 v99, 4, v99
	s_or_b64 s[4:5], vcc, s[4:5]
	s_waitcnt vmcnt(0) lgkmcnt(0)
	v_fmac_f32_e32 v100, v102, v103
	s_andn2_b64 exec, exec, s[4:5]
	s_cbranch_execnz .LBB42_223
; %bb.224:
	s_or_b64 exec, exec, s[4:5]
.LBB42_225:
	s_or_b64 exec, exec, s[12:13]
	v_mov_b32_e32 v99, 0
	ds_read_b32 v99, v99 offset:76
	s_waitcnt lgkmcnt(0)
	v_mul_f32_e32 v99, v100, v99
	buffer_store_dword v99, off, s[0:3], 0 offset:76
.LBB42_226:
	s_or_b64 exec, exec, s[8:9]
	buffer_load_dword v99, off, s[0:3], 0 offset:72
	v_cmp_lt_u32_e64 s[4:5], 18, v0
	s_waitcnt vmcnt(0)
	ds_write_b32 v88, v99
	s_waitcnt lgkmcnt(0)
	; wave barrier
	s_waitcnt lgkmcnt(0)
	s_and_saveexec_b64 s[8:9], s[4:5]
	s_cbranch_execz .LBB42_236
; %bb.227:
	s_andn2_b64 vcc, exec, s[10:11]
	s_cbranch_vccnz .LBB42_229
; %bb.228:
	buffer_load_dword v99, v89, s[0:3], 0 offen
	ds_read_b32 v100, v88
	s_waitcnt vmcnt(0) lgkmcnt(0)
	v_mul_f32_e32 v99, v99, v100
	s_cbranch_execz .LBB42_230
	s_branch .LBB42_231
.LBB42_229:
                                        ; implicit-def: $vgpr99
.LBB42_230:
	ds_read_b32 v99, v88
.LBB42_231:
	s_and_saveexec_b64 s[12:13], s[6:7]
	s_cbranch_execz .LBB42_235
; %bb.232:
	v_mov_b32_e32 v100, 0
	v_add_u32_e32 v100, 0x4c, v100
	v_subrev_u32_e32 v101, 19, v0
	s_movk_i32 s14, 0xfc
	s_mov_b64 s[6:7], 0
.LBB42_233:                             ; =>This Inner Loop Header: Depth=1
	buffer_load_dword v102, v100, s[0:3], 0 offen
	v_mov_b32_e32 v103, s14
	ds_read_b32 v103, v103
	v_add_u32_e32 v101, -1, v101
	s_add_i32 s14, s14, 4
	v_cmp_eq_u32_e32 vcc, 0, v101
	v_add_u32_e32 v100, 4, v100
	s_or_b64 s[6:7], vcc, s[6:7]
	s_waitcnt vmcnt(0) lgkmcnt(0)
	v_fmac_f32_e32 v99, v102, v103
	s_andn2_b64 exec, exec, s[6:7]
	s_cbranch_execnz .LBB42_233
; %bb.234:
	s_or_b64 exec, exec, s[6:7]
.LBB42_235:
	s_or_b64 exec, exec, s[12:13]
	v_mov_b32_e32 v100, 0
	ds_read_b32 v100, v100 offset:72
	s_waitcnt lgkmcnt(0)
	v_mul_f32_e32 v99, v99, v100
	buffer_store_dword v99, off, s[0:3], 0 offset:72
.LBB42_236:
	s_or_b64 exec, exec, s[8:9]
	buffer_load_dword v99, off, s[0:3], 0 offset:68
	v_cmp_lt_u32_e64 s[6:7], 17, v0
	s_waitcnt vmcnt(0)
	ds_write_b32 v88, v99
	s_waitcnt lgkmcnt(0)
	; wave barrier
	s_waitcnt lgkmcnt(0)
	s_and_saveexec_b64 s[8:9], s[6:7]
	s_cbranch_execz .LBB42_246
; %bb.237:
	s_andn2_b64 vcc, exec, s[10:11]
	s_cbranch_vccnz .LBB42_239
; %bb.238:
	buffer_load_dword v99, v89, s[0:3], 0 offen
	ds_read_b32 v100, v88
	s_waitcnt vmcnt(0) lgkmcnt(0)
	v_mul_f32_e32 v99, v99, v100
	s_cbranch_execz .LBB42_240
	s_branch .LBB42_241
.LBB42_239:
                                        ; implicit-def: $vgpr99
.LBB42_240:
	ds_read_b32 v99, v88
.LBB42_241:
	s_and_saveexec_b64 s[12:13], s[4:5]
	s_cbranch_execz .LBB42_245
; %bb.242:
	v_subrev_u32_e32 v100, 18, v0
	s_movk_i32 s14, 0xf8
	s_mov_b64 s[4:5], 0
.LBB42_243:                             ; =>This Inner Loop Header: Depth=1
	buffer_load_dword v101, v98, s[0:3], 0 offen
	v_mov_b32_e32 v102, s14
	ds_read_b32 v102, v102
	v_add_u32_e32 v100, -1, v100
	s_add_i32 s14, s14, 4
	v_cmp_eq_u32_e32 vcc, 0, v100
	v_add_u32_e32 v98, 4, v98
	s_or_b64 s[4:5], vcc, s[4:5]
	s_waitcnt vmcnt(0) lgkmcnt(0)
	v_fmac_f32_e32 v99, v101, v102
	s_andn2_b64 exec, exec, s[4:5]
	s_cbranch_execnz .LBB42_243
; %bb.244:
	s_or_b64 exec, exec, s[4:5]
.LBB42_245:
	s_or_b64 exec, exec, s[12:13]
	v_mov_b32_e32 v98, 0
	ds_read_b32 v98, v98 offset:68
	s_waitcnt lgkmcnt(0)
	v_mul_f32_e32 v98, v99, v98
	buffer_store_dword v98, off, s[0:3], 0 offset:68
.LBB42_246:
	s_or_b64 exec, exec, s[8:9]
	buffer_load_dword v98, off, s[0:3], 0 offset:64
	v_cmp_lt_u32_e64 s[4:5], 16, v0
	s_waitcnt vmcnt(0)
	ds_write_b32 v88, v98
	s_waitcnt lgkmcnt(0)
	; wave barrier
	s_waitcnt lgkmcnt(0)
	s_and_saveexec_b64 s[8:9], s[4:5]
	s_cbranch_execz .LBB42_256
; %bb.247:
	s_andn2_b64 vcc, exec, s[10:11]
	s_cbranch_vccnz .LBB42_249
; %bb.248:
	buffer_load_dword v98, v89, s[0:3], 0 offen
	ds_read_b32 v99, v88
	s_waitcnt vmcnt(0) lgkmcnt(0)
	v_mul_f32_e32 v98, v98, v99
	s_cbranch_execz .LBB42_250
	s_branch .LBB42_251
.LBB42_249:
                                        ; implicit-def: $vgpr98
.LBB42_250:
	ds_read_b32 v98, v88
.LBB42_251:
	s_and_saveexec_b64 s[12:13], s[6:7]
	s_cbranch_execz .LBB42_255
; %bb.252:
	v_mov_b32_e32 v99, 0
	v_add_u32_e32 v99, 0x44, v99
	v_subrev_u32_e32 v100, 17, v0
	s_movk_i32 s14, 0xf4
	s_mov_b64 s[6:7], 0
.LBB42_253:                             ; =>This Inner Loop Header: Depth=1
	buffer_load_dword v101, v99, s[0:3], 0 offen
	v_mov_b32_e32 v102, s14
	ds_read_b32 v102, v102
	v_add_u32_e32 v100, -1, v100
	s_add_i32 s14, s14, 4
	v_cmp_eq_u32_e32 vcc, 0, v100
	v_add_u32_e32 v99, 4, v99
	s_or_b64 s[6:7], vcc, s[6:7]
	s_waitcnt vmcnt(0) lgkmcnt(0)
	v_fmac_f32_e32 v98, v101, v102
	s_andn2_b64 exec, exec, s[6:7]
	s_cbranch_execnz .LBB42_253
; %bb.254:
	s_or_b64 exec, exec, s[6:7]
.LBB42_255:
	s_or_b64 exec, exec, s[12:13]
	v_mov_b32_e32 v99, 0
	ds_read_b32 v99, v99 offset:64
	s_waitcnt lgkmcnt(0)
	v_mul_f32_e32 v98, v98, v99
	buffer_store_dword v98, off, s[0:3], 0 offset:64
.LBB42_256:
	s_or_b64 exec, exec, s[8:9]
	buffer_load_dword v98, off, s[0:3], 0 offset:60
	v_cmp_lt_u32_e64 s[6:7], 15, v0
	s_waitcnt vmcnt(0)
	ds_write_b32 v88, v98
	s_waitcnt lgkmcnt(0)
	; wave barrier
	s_waitcnt lgkmcnt(0)
	s_and_saveexec_b64 s[8:9], s[6:7]
	s_cbranch_execz .LBB42_266
; %bb.257:
	s_andn2_b64 vcc, exec, s[10:11]
	s_cbranch_vccnz .LBB42_259
; %bb.258:
	buffer_load_dword v98, v89, s[0:3], 0 offen
	ds_read_b32 v99, v88
	s_waitcnt vmcnt(0) lgkmcnt(0)
	v_mul_f32_e32 v98, v98, v99
	s_cbranch_execz .LBB42_260
	s_branch .LBB42_261
.LBB42_259:
                                        ; implicit-def: $vgpr98
.LBB42_260:
	ds_read_b32 v98, v88
.LBB42_261:
	s_and_saveexec_b64 s[12:13], s[4:5]
	s_cbranch_execz .LBB42_265
; %bb.262:
	v_add_u32_e32 v99, -16, v0
	s_movk_i32 s14, 0xf0
	s_mov_b64 s[4:5], 0
.LBB42_263:                             ; =>This Inner Loop Header: Depth=1
	buffer_load_dword v100, v97, s[0:3], 0 offen
	v_mov_b32_e32 v101, s14
	ds_read_b32 v101, v101
	v_add_u32_e32 v99, -1, v99
	s_add_i32 s14, s14, 4
	v_cmp_eq_u32_e32 vcc, 0, v99
	v_add_u32_e32 v97, 4, v97
	s_or_b64 s[4:5], vcc, s[4:5]
	s_waitcnt vmcnt(0) lgkmcnt(0)
	v_fmac_f32_e32 v98, v100, v101
	s_andn2_b64 exec, exec, s[4:5]
	s_cbranch_execnz .LBB42_263
; %bb.264:
	s_or_b64 exec, exec, s[4:5]
.LBB42_265:
	s_or_b64 exec, exec, s[12:13]
	v_mov_b32_e32 v97, 0
	ds_read_b32 v97, v97 offset:60
	s_waitcnt lgkmcnt(0)
	v_mul_f32_e32 v97, v98, v97
	buffer_store_dword v97, off, s[0:3], 0 offset:60
.LBB42_266:
	s_or_b64 exec, exec, s[8:9]
	buffer_load_dword v97, off, s[0:3], 0 offset:56
	v_cmp_lt_u32_e64 s[4:5], 14, v0
	s_waitcnt vmcnt(0)
	ds_write_b32 v88, v97
	s_waitcnt lgkmcnt(0)
	; wave barrier
	s_waitcnt lgkmcnt(0)
	s_and_saveexec_b64 s[8:9], s[4:5]
	s_cbranch_execz .LBB42_276
; %bb.267:
	s_andn2_b64 vcc, exec, s[10:11]
	s_cbranch_vccnz .LBB42_269
; %bb.268:
	buffer_load_dword v97, v89, s[0:3], 0 offen
	ds_read_b32 v98, v88
	s_waitcnt vmcnt(0) lgkmcnt(0)
	v_mul_f32_e32 v97, v97, v98
	s_cbranch_execz .LBB42_270
	s_branch .LBB42_271
.LBB42_269:
                                        ; implicit-def: $vgpr97
.LBB42_270:
	ds_read_b32 v97, v88
.LBB42_271:
	s_and_saveexec_b64 s[12:13], s[6:7]
	s_cbranch_execz .LBB42_275
; %bb.272:
	v_mov_b32_e32 v98, 0
	v_add_u32_e32 v98, 60, v98
	v_add_u32_e32 v99, -15, v0
	s_movk_i32 s14, 0xec
	s_mov_b64 s[6:7], 0
.LBB42_273:                             ; =>This Inner Loop Header: Depth=1
	buffer_load_dword v100, v98, s[0:3], 0 offen
	v_mov_b32_e32 v101, s14
	ds_read_b32 v101, v101
	v_add_u32_e32 v99, -1, v99
	s_add_i32 s14, s14, 4
	v_cmp_eq_u32_e32 vcc, 0, v99
	v_add_u32_e32 v98, 4, v98
	s_or_b64 s[6:7], vcc, s[6:7]
	s_waitcnt vmcnt(0) lgkmcnt(0)
	v_fmac_f32_e32 v97, v100, v101
	s_andn2_b64 exec, exec, s[6:7]
	s_cbranch_execnz .LBB42_273
; %bb.274:
	s_or_b64 exec, exec, s[6:7]
.LBB42_275:
	s_or_b64 exec, exec, s[12:13]
	v_mov_b32_e32 v98, 0
	ds_read_b32 v98, v98 offset:56
	s_waitcnt lgkmcnt(0)
	v_mul_f32_e32 v97, v97, v98
	buffer_store_dword v97, off, s[0:3], 0 offset:56
.LBB42_276:
	s_or_b64 exec, exec, s[8:9]
	buffer_load_dword v97, off, s[0:3], 0 offset:52
	v_cmp_lt_u32_e64 s[6:7], 13, v0
	s_waitcnt vmcnt(0)
	ds_write_b32 v88, v97
	s_waitcnt lgkmcnt(0)
	; wave barrier
	s_waitcnt lgkmcnt(0)
	s_and_saveexec_b64 s[8:9], s[6:7]
	s_cbranch_execz .LBB42_286
; %bb.277:
	s_andn2_b64 vcc, exec, s[10:11]
	s_cbranch_vccnz .LBB42_279
; %bb.278:
	buffer_load_dword v97, v89, s[0:3], 0 offen
	ds_read_b32 v98, v88
	s_waitcnt vmcnt(0) lgkmcnt(0)
	v_mul_f32_e32 v97, v97, v98
	s_cbranch_execz .LBB42_280
	s_branch .LBB42_281
.LBB42_279:
                                        ; implicit-def: $vgpr97
.LBB42_280:
	ds_read_b32 v97, v88
.LBB42_281:
	s_and_saveexec_b64 s[12:13], s[4:5]
	s_cbranch_execz .LBB42_285
; %bb.282:
	v_add_u32_e32 v98, -14, v0
	s_movk_i32 s14, 0xe8
	s_mov_b64 s[4:5], 0
.LBB42_283:                             ; =>This Inner Loop Header: Depth=1
	buffer_load_dword v99, v96, s[0:3], 0 offen
	v_mov_b32_e32 v100, s14
	ds_read_b32 v100, v100
	v_add_u32_e32 v98, -1, v98
	s_add_i32 s14, s14, 4
	v_cmp_eq_u32_e32 vcc, 0, v98
	v_add_u32_e32 v96, 4, v96
	s_or_b64 s[4:5], vcc, s[4:5]
	s_waitcnt vmcnt(0) lgkmcnt(0)
	v_fmac_f32_e32 v97, v99, v100
	s_andn2_b64 exec, exec, s[4:5]
	s_cbranch_execnz .LBB42_283
; %bb.284:
	s_or_b64 exec, exec, s[4:5]
.LBB42_285:
	s_or_b64 exec, exec, s[12:13]
	v_mov_b32_e32 v96, 0
	ds_read_b32 v96, v96 offset:52
	s_waitcnt lgkmcnt(0)
	v_mul_f32_e32 v96, v97, v96
	buffer_store_dword v96, off, s[0:3], 0 offset:52
.LBB42_286:
	s_or_b64 exec, exec, s[8:9]
	buffer_load_dword v96, off, s[0:3], 0 offset:48
	v_cmp_lt_u32_e64 s[4:5], 12, v0
	s_waitcnt vmcnt(0)
	ds_write_b32 v88, v96
	s_waitcnt lgkmcnt(0)
	; wave barrier
	s_waitcnt lgkmcnt(0)
	s_and_saveexec_b64 s[8:9], s[4:5]
	s_cbranch_execz .LBB42_296
; %bb.287:
	s_andn2_b64 vcc, exec, s[10:11]
	s_cbranch_vccnz .LBB42_289
; %bb.288:
	buffer_load_dword v96, v89, s[0:3], 0 offen
	ds_read_b32 v97, v88
	s_waitcnt vmcnt(0) lgkmcnt(0)
	v_mul_f32_e32 v96, v96, v97
	s_cbranch_execz .LBB42_290
	s_branch .LBB42_291
.LBB42_289:
                                        ; implicit-def: $vgpr96
.LBB42_290:
	ds_read_b32 v96, v88
.LBB42_291:
	s_and_saveexec_b64 s[12:13], s[6:7]
	s_cbranch_execz .LBB42_295
; %bb.292:
	v_mov_b32_e32 v97, 0
	v_add_u32_e32 v97, 52, v97
	v_add_u32_e32 v98, -13, v0
	s_movk_i32 s14, 0xe4
	s_mov_b64 s[6:7], 0
.LBB42_293:                             ; =>This Inner Loop Header: Depth=1
	buffer_load_dword v99, v97, s[0:3], 0 offen
	v_mov_b32_e32 v100, s14
	ds_read_b32 v100, v100
	v_add_u32_e32 v98, -1, v98
	s_add_i32 s14, s14, 4
	v_cmp_eq_u32_e32 vcc, 0, v98
	v_add_u32_e32 v97, 4, v97
	s_or_b64 s[6:7], vcc, s[6:7]
	s_waitcnt vmcnt(0) lgkmcnt(0)
	v_fmac_f32_e32 v96, v99, v100
	s_andn2_b64 exec, exec, s[6:7]
	s_cbranch_execnz .LBB42_293
; %bb.294:
	s_or_b64 exec, exec, s[6:7]
.LBB42_295:
	s_or_b64 exec, exec, s[12:13]
	v_mov_b32_e32 v97, 0
	ds_read_b32 v97, v97 offset:48
	s_waitcnt lgkmcnt(0)
	v_mul_f32_e32 v96, v96, v97
	buffer_store_dword v96, off, s[0:3], 0 offset:48
.LBB42_296:
	s_or_b64 exec, exec, s[8:9]
	buffer_load_dword v96, off, s[0:3], 0 offset:44
	v_cmp_lt_u32_e64 s[6:7], 11, v0
	s_waitcnt vmcnt(0)
	ds_write_b32 v88, v96
	s_waitcnt lgkmcnt(0)
	; wave barrier
	s_waitcnt lgkmcnt(0)
	s_and_saveexec_b64 s[8:9], s[6:7]
	s_cbranch_execz .LBB42_306
; %bb.297:
	s_andn2_b64 vcc, exec, s[10:11]
	s_cbranch_vccnz .LBB42_299
; %bb.298:
	buffer_load_dword v96, v89, s[0:3], 0 offen
	ds_read_b32 v97, v88
	s_waitcnt vmcnt(0) lgkmcnt(0)
	v_mul_f32_e32 v96, v96, v97
	s_cbranch_execz .LBB42_300
	s_branch .LBB42_301
.LBB42_299:
                                        ; implicit-def: $vgpr96
.LBB42_300:
	ds_read_b32 v96, v88
.LBB42_301:
	s_and_saveexec_b64 s[12:13], s[4:5]
	s_cbranch_execz .LBB42_305
; %bb.302:
	v_add_u32_e32 v97, -12, v0
	s_movk_i32 s14, 0xe0
	s_mov_b64 s[4:5], 0
.LBB42_303:                             ; =>This Inner Loop Header: Depth=1
	buffer_load_dword v98, v95, s[0:3], 0 offen
	v_mov_b32_e32 v99, s14
	ds_read_b32 v99, v99
	v_add_u32_e32 v97, -1, v97
	s_add_i32 s14, s14, 4
	v_cmp_eq_u32_e32 vcc, 0, v97
	v_add_u32_e32 v95, 4, v95
	s_or_b64 s[4:5], vcc, s[4:5]
	s_waitcnt vmcnt(0) lgkmcnt(0)
	v_fmac_f32_e32 v96, v98, v99
	s_andn2_b64 exec, exec, s[4:5]
	s_cbranch_execnz .LBB42_303
; %bb.304:
	s_or_b64 exec, exec, s[4:5]
.LBB42_305:
	s_or_b64 exec, exec, s[12:13]
	v_mov_b32_e32 v95, 0
	ds_read_b32 v95, v95 offset:44
	s_waitcnt lgkmcnt(0)
	v_mul_f32_e32 v95, v96, v95
	buffer_store_dword v95, off, s[0:3], 0 offset:44
.LBB42_306:
	s_or_b64 exec, exec, s[8:9]
	buffer_load_dword v95, off, s[0:3], 0 offset:40
	v_cmp_lt_u32_e64 s[4:5], 10, v0
	s_waitcnt vmcnt(0)
	ds_write_b32 v88, v95
	s_waitcnt lgkmcnt(0)
	; wave barrier
	s_waitcnt lgkmcnt(0)
	s_and_saveexec_b64 s[8:9], s[4:5]
	s_cbranch_execz .LBB42_316
; %bb.307:
	s_andn2_b64 vcc, exec, s[10:11]
	s_cbranch_vccnz .LBB42_309
; %bb.308:
	buffer_load_dword v95, v89, s[0:3], 0 offen
	ds_read_b32 v96, v88
	s_waitcnt vmcnt(0) lgkmcnt(0)
	v_mul_f32_e32 v95, v95, v96
	s_cbranch_execz .LBB42_310
	s_branch .LBB42_311
.LBB42_309:
                                        ; implicit-def: $vgpr95
.LBB42_310:
	ds_read_b32 v95, v88
.LBB42_311:
	s_and_saveexec_b64 s[12:13], s[6:7]
	s_cbranch_execz .LBB42_315
; %bb.312:
	v_mov_b32_e32 v96, 0
	v_add_u32_e32 v96, 44, v96
	v_add_u32_e32 v97, -11, v0
	s_movk_i32 s14, 0xdc
	s_mov_b64 s[6:7], 0
.LBB42_313:                             ; =>This Inner Loop Header: Depth=1
	buffer_load_dword v98, v96, s[0:3], 0 offen
	v_mov_b32_e32 v99, s14
	ds_read_b32 v99, v99
	v_add_u32_e32 v97, -1, v97
	s_add_i32 s14, s14, 4
	v_cmp_eq_u32_e32 vcc, 0, v97
	v_add_u32_e32 v96, 4, v96
	s_or_b64 s[6:7], vcc, s[6:7]
	s_waitcnt vmcnt(0) lgkmcnt(0)
	v_fmac_f32_e32 v95, v98, v99
	s_andn2_b64 exec, exec, s[6:7]
	s_cbranch_execnz .LBB42_313
; %bb.314:
	s_or_b64 exec, exec, s[6:7]
.LBB42_315:
	s_or_b64 exec, exec, s[12:13]
	v_mov_b32_e32 v96, 0
	ds_read_b32 v96, v96 offset:40
	s_waitcnt lgkmcnt(0)
	v_mul_f32_e32 v95, v95, v96
	buffer_store_dword v95, off, s[0:3], 0 offset:40
.LBB42_316:
	s_or_b64 exec, exec, s[8:9]
	buffer_load_dword v95, off, s[0:3], 0 offset:36
	v_cmp_lt_u32_e64 s[6:7], 9, v0
	s_waitcnt vmcnt(0)
	ds_write_b32 v88, v95
	s_waitcnt lgkmcnt(0)
	; wave barrier
	s_waitcnt lgkmcnt(0)
	s_and_saveexec_b64 s[8:9], s[6:7]
	s_cbranch_execz .LBB42_326
; %bb.317:
	s_andn2_b64 vcc, exec, s[10:11]
	s_cbranch_vccnz .LBB42_319
; %bb.318:
	buffer_load_dword v95, v89, s[0:3], 0 offen
	ds_read_b32 v96, v88
	s_waitcnt vmcnt(0) lgkmcnt(0)
	v_mul_f32_e32 v95, v95, v96
	s_cbranch_execz .LBB42_320
	s_branch .LBB42_321
.LBB42_319:
                                        ; implicit-def: $vgpr95
.LBB42_320:
	ds_read_b32 v95, v88
.LBB42_321:
	s_and_saveexec_b64 s[12:13], s[4:5]
	s_cbranch_execz .LBB42_325
; %bb.322:
	v_add_u32_e32 v96, -10, v0
	s_movk_i32 s14, 0xd8
	s_mov_b64 s[4:5], 0
.LBB42_323:                             ; =>This Inner Loop Header: Depth=1
	buffer_load_dword v97, v94, s[0:3], 0 offen
	v_mov_b32_e32 v98, s14
	ds_read_b32 v98, v98
	v_add_u32_e32 v96, -1, v96
	s_add_i32 s14, s14, 4
	v_cmp_eq_u32_e32 vcc, 0, v96
	v_add_u32_e32 v94, 4, v94
	s_or_b64 s[4:5], vcc, s[4:5]
	s_waitcnt vmcnt(0) lgkmcnt(0)
	v_fmac_f32_e32 v95, v97, v98
	s_andn2_b64 exec, exec, s[4:5]
	s_cbranch_execnz .LBB42_323
; %bb.324:
	s_or_b64 exec, exec, s[4:5]
.LBB42_325:
	s_or_b64 exec, exec, s[12:13]
	v_mov_b32_e32 v94, 0
	ds_read_b32 v94, v94 offset:36
	s_waitcnt lgkmcnt(0)
	v_mul_f32_e32 v94, v95, v94
	buffer_store_dword v94, off, s[0:3], 0 offset:36
.LBB42_326:
	s_or_b64 exec, exec, s[8:9]
	buffer_load_dword v94, off, s[0:3], 0 offset:32
	v_cmp_lt_u32_e64 s[4:5], 8, v0
	s_waitcnt vmcnt(0)
	ds_write_b32 v88, v94
	s_waitcnt lgkmcnt(0)
	; wave barrier
	s_waitcnt lgkmcnt(0)
	s_and_saveexec_b64 s[8:9], s[4:5]
	s_cbranch_execz .LBB42_336
; %bb.327:
	s_andn2_b64 vcc, exec, s[10:11]
	s_cbranch_vccnz .LBB42_329
; %bb.328:
	buffer_load_dword v94, v89, s[0:3], 0 offen
	ds_read_b32 v95, v88
	s_waitcnt vmcnt(0) lgkmcnt(0)
	v_mul_f32_e32 v94, v94, v95
	s_cbranch_execz .LBB42_330
	s_branch .LBB42_331
.LBB42_329:
                                        ; implicit-def: $vgpr94
.LBB42_330:
	ds_read_b32 v94, v88
.LBB42_331:
	s_and_saveexec_b64 s[12:13], s[6:7]
	s_cbranch_execz .LBB42_335
; %bb.332:
	v_mov_b32_e32 v95, 0
	v_add_u32_e32 v95, 36, v95
	v_add_u32_e32 v96, -9, v0
	s_movk_i32 s14, 0xd4
	s_mov_b64 s[6:7], 0
.LBB42_333:                             ; =>This Inner Loop Header: Depth=1
	buffer_load_dword v97, v95, s[0:3], 0 offen
	v_mov_b32_e32 v98, s14
	ds_read_b32 v98, v98
	v_add_u32_e32 v96, -1, v96
	s_add_i32 s14, s14, 4
	v_cmp_eq_u32_e32 vcc, 0, v96
	v_add_u32_e32 v95, 4, v95
	s_or_b64 s[6:7], vcc, s[6:7]
	s_waitcnt vmcnt(0) lgkmcnt(0)
	v_fmac_f32_e32 v94, v97, v98
	s_andn2_b64 exec, exec, s[6:7]
	s_cbranch_execnz .LBB42_333
; %bb.334:
	s_or_b64 exec, exec, s[6:7]
.LBB42_335:
	s_or_b64 exec, exec, s[12:13]
	v_mov_b32_e32 v95, 0
	ds_read_b32 v95, v95 offset:32
	s_waitcnt lgkmcnt(0)
	v_mul_f32_e32 v94, v94, v95
	buffer_store_dword v94, off, s[0:3], 0 offset:32
.LBB42_336:
	s_or_b64 exec, exec, s[8:9]
	buffer_load_dword v94, off, s[0:3], 0 offset:28
	v_cmp_lt_u32_e64 s[6:7], 7, v0
	s_waitcnt vmcnt(0)
	ds_write_b32 v88, v94
	s_waitcnt lgkmcnt(0)
	; wave barrier
	s_waitcnt lgkmcnt(0)
	s_and_saveexec_b64 s[8:9], s[6:7]
	s_cbranch_execz .LBB42_346
; %bb.337:
	s_andn2_b64 vcc, exec, s[10:11]
	s_cbranch_vccnz .LBB42_339
; %bb.338:
	buffer_load_dword v94, v89, s[0:3], 0 offen
	ds_read_b32 v95, v88
	s_waitcnt vmcnt(0) lgkmcnt(0)
	v_mul_f32_e32 v94, v94, v95
	s_cbranch_execz .LBB42_340
	s_branch .LBB42_341
.LBB42_339:
                                        ; implicit-def: $vgpr94
.LBB42_340:
	ds_read_b32 v94, v88
.LBB42_341:
	s_and_saveexec_b64 s[12:13], s[4:5]
	s_cbranch_execz .LBB42_345
; %bb.342:
	v_add_u32_e32 v95, -8, v0
	s_movk_i32 s14, 0xd0
	s_mov_b64 s[4:5], 0
.LBB42_343:                             ; =>This Inner Loop Header: Depth=1
	buffer_load_dword v96, v93, s[0:3], 0 offen
	v_mov_b32_e32 v97, s14
	ds_read_b32 v97, v97
	v_add_u32_e32 v95, -1, v95
	s_add_i32 s14, s14, 4
	v_cmp_eq_u32_e32 vcc, 0, v95
	v_add_u32_e32 v93, 4, v93
	s_or_b64 s[4:5], vcc, s[4:5]
	s_waitcnt vmcnt(0) lgkmcnt(0)
	v_fmac_f32_e32 v94, v96, v97
	s_andn2_b64 exec, exec, s[4:5]
	s_cbranch_execnz .LBB42_343
; %bb.344:
	s_or_b64 exec, exec, s[4:5]
.LBB42_345:
	s_or_b64 exec, exec, s[12:13]
	v_mov_b32_e32 v93, 0
	ds_read_b32 v93, v93 offset:28
	s_waitcnt lgkmcnt(0)
	v_mul_f32_e32 v93, v94, v93
	buffer_store_dword v93, off, s[0:3], 0 offset:28
.LBB42_346:
	s_or_b64 exec, exec, s[8:9]
	buffer_load_dword v93, off, s[0:3], 0 offset:24
	v_cmp_lt_u32_e64 s[4:5], 6, v0
	s_waitcnt vmcnt(0)
	ds_write_b32 v88, v93
	s_waitcnt lgkmcnt(0)
	; wave barrier
	s_waitcnt lgkmcnt(0)
	s_and_saveexec_b64 s[8:9], s[4:5]
	s_cbranch_execz .LBB42_356
; %bb.347:
	s_andn2_b64 vcc, exec, s[10:11]
	s_cbranch_vccnz .LBB42_349
; %bb.348:
	buffer_load_dword v93, v89, s[0:3], 0 offen
	ds_read_b32 v94, v88
	s_waitcnt vmcnt(0) lgkmcnt(0)
	v_mul_f32_e32 v93, v93, v94
	s_cbranch_execz .LBB42_350
	s_branch .LBB42_351
.LBB42_349:
                                        ; implicit-def: $vgpr93
.LBB42_350:
	ds_read_b32 v93, v88
.LBB42_351:
	s_and_saveexec_b64 s[12:13], s[6:7]
	s_cbranch_execz .LBB42_355
; %bb.352:
	v_mov_b32_e32 v94, 0
	v_add_u32_e32 v94, 28, v94
	v_add_u32_e32 v95, -7, v0
	s_movk_i32 s14, 0xcc
	s_mov_b64 s[6:7], 0
.LBB42_353:                             ; =>This Inner Loop Header: Depth=1
	buffer_load_dword v96, v94, s[0:3], 0 offen
	v_mov_b32_e32 v97, s14
	ds_read_b32 v97, v97
	v_add_u32_e32 v95, -1, v95
	s_add_i32 s14, s14, 4
	v_cmp_eq_u32_e32 vcc, 0, v95
	v_add_u32_e32 v94, 4, v94
	s_or_b64 s[6:7], vcc, s[6:7]
	s_waitcnt vmcnt(0) lgkmcnt(0)
	v_fmac_f32_e32 v93, v96, v97
	s_andn2_b64 exec, exec, s[6:7]
	s_cbranch_execnz .LBB42_353
; %bb.354:
	s_or_b64 exec, exec, s[6:7]
.LBB42_355:
	s_or_b64 exec, exec, s[12:13]
	v_mov_b32_e32 v94, 0
	ds_read_b32 v94, v94 offset:24
	s_waitcnt lgkmcnt(0)
	v_mul_f32_e32 v93, v93, v94
	buffer_store_dword v93, off, s[0:3], 0 offset:24
.LBB42_356:
	s_or_b64 exec, exec, s[8:9]
	buffer_load_dword v93, off, s[0:3], 0 offset:20
	v_cmp_lt_u32_e64 s[6:7], 5, v0
	s_waitcnt vmcnt(0)
	ds_write_b32 v88, v93
	s_waitcnt lgkmcnt(0)
	; wave barrier
	s_waitcnt lgkmcnt(0)
	s_and_saveexec_b64 s[8:9], s[6:7]
	s_cbranch_execz .LBB42_366
; %bb.357:
	s_andn2_b64 vcc, exec, s[10:11]
	s_cbranch_vccnz .LBB42_359
; %bb.358:
	buffer_load_dword v93, v89, s[0:3], 0 offen
	ds_read_b32 v94, v88
	s_waitcnt vmcnt(0) lgkmcnt(0)
	v_mul_f32_e32 v93, v93, v94
	s_cbranch_execz .LBB42_360
	s_branch .LBB42_361
.LBB42_359:
                                        ; implicit-def: $vgpr93
.LBB42_360:
	ds_read_b32 v93, v88
.LBB42_361:
	s_and_saveexec_b64 s[12:13], s[4:5]
	s_cbranch_execz .LBB42_365
; %bb.362:
	v_add_u32_e32 v94, -6, v0
	s_movk_i32 s14, 0xc8
	s_mov_b64 s[4:5], 0
.LBB42_363:                             ; =>This Inner Loop Header: Depth=1
	buffer_load_dword v95, v92, s[0:3], 0 offen
	v_mov_b32_e32 v96, s14
	ds_read_b32 v96, v96
	v_add_u32_e32 v94, -1, v94
	s_add_i32 s14, s14, 4
	v_cmp_eq_u32_e32 vcc, 0, v94
	v_add_u32_e32 v92, 4, v92
	s_or_b64 s[4:5], vcc, s[4:5]
	s_waitcnt vmcnt(0) lgkmcnt(0)
	v_fmac_f32_e32 v93, v95, v96
	s_andn2_b64 exec, exec, s[4:5]
	s_cbranch_execnz .LBB42_363
; %bb.364:
	s_or_b64 exec, exec, s[4:5]
.LBB42_365:
	s_or_b64 exec, exec, s[12:13]
	v_mov_b32_e32 v92, 0
	ds_read_b32 v92, v92 offset:20
	s_waitcnt lgkmcnt(0)
	v_mul_f32_e32 v92, v93, v92
	buffer_store_dword v92, off, s[0:3], 0 offset:20
.LBB42_366:
	s_or_b64 exec, exec, s[8:9]
	buffer_load_dword v92, off, s[0:3], 0 offset:16
	v_cmp_lt_u32_e64 s[4:5], 4, v0
	s_waitcnt vmcnt(0)
	ds_write_b32 v88, v92
	s_waitcnt lgkmcnt(0)
	; wave barrier
	s_waitcnt lgkmcnt(0)
	s_and_saveexec_b64 s[8:9], s[4:5]
	s_cbranch_execz .LBB42_376
; %bb.367:
	s_andn2_b64 vcc, exec, s[10:11]
	s_cbranch_vccnz .LBB42_369
; %bb.368:
	buffer_load_dword v92, v89, s[0:3], 0 offen
	ds_read_b32 v93, v88
	s_waitcnt vmcnt(0) lgkmcnt(0)
	v_mul_f32_e32 v92, v92, v93
	s_cbranch_execz .LBB42_370
	s_branch .LBB42_371
.LBB42_369:
                                        ; implicit-def: $vgpr92
.LBB42_370:
	ds_read_b32 v92, v88
.LBB42_371:
	s_and_saveexec_b64 s[12:13], s[6:7]
	s_cbranch_execz .LBB42_375
; %bb.372:
	v_mov_b32_e32 v93, 0
	v_add_u32_e32 v93, 20, v93
	v_add_u32_e32 v94, -5, v0
	s_movk_i32 s14, 0xc4
	s_mov_b64 s[6:7], 0
.LBB42_373:                             ; =>This Inner Loop Header: Depth=1
	buffer_load_dword v95, v93, s[0:3], 0 offen
	v_mov_b32_e32 v96, s14
	ds_read_b32 v96, v96
	v_add_u32_e32 v94, -1, v94
	s_add_i32 s14, s14, 4
	v_cmp_eq_u32_e32 vcc, 0, v94
	v_add_u32_e32 v93, 4, v93
	s_or_b64 s[6:7], vcc, s[6:7]
	s_waitcnt vmcnt(0) lgkmcnt(0)
	v_fmac_f32_e32 v92, v95, v96
	s_andn2_b64 exec, exec, s[6:7]
	s_cbranch_execnz .LBB42_373
; %bb.374:
	s_or_b64 exec, exec, s[6:7]
.LBB42_375:
	s_or_b64 exec, exec, s[12:13]
	v_mov_b32_e32 v93, 0
	ds_read_b32 v93, v93 offset:16
	s_waitcnt lgkmcnt(0)
	v_mul_f32_e32 v92, v92, v93
	buffer_store_dword v92, off, s[0:3], 0 offset:16
.LBB42_376:
	s_or_b64 exec, exec, s[8:9]
	buffer_load_dword v92, off, s[0:3], 0 offset:12
	v_cmp_lt_u32_e64 s[6:7], 3, v0
	s_waitcnt vmcnt(0)
	ds_write_b32 v88, v92
	s_waitcnt lgkmcnt(0)
	; wave barrier
	s_waitcnt lgkmcnt(0)
	s_and_saveexec_b64 s[8:9], s[6:7]
	s_cbranch_execz .LBB42_386
; %bb.377:
	s_andn2_b64 vcc, exec, s[10:11]
	s_cbranch_vccnz .LBB42_379
; %bb.378:
	buffer_load_dword v92, v89, s[0:3], 0 offen
	ds_read_b32 v93, v88
	s_waitcnt vmcnt(0) lgkmcnt(0)
	v_mul_f32_e32 v92, v92, v93
	s_cbranch_execz .LBB42_380
	s_branch .LBB42_381
.LBB42_379:
                                        ; implicit-def: $vgpr92
.LBB42_380:
	ds_read_b32 v92, v88
.LBB42_381:
	s_and_saveexec_b64 s[12:13], s[4:5]
	s_cbranch_execz .LBB42_385
; %bb.382:
	v_add_u32_e32 v93, -4, v0
	s_movk_i32 s14, 0xc0
	s_mov_b64 s[4:5], 0
.LBB42_383:                             ; =>This Inner Loop Header: Depth=1
	buffer_load_dword v94, v91, s[0:3], 0 offen
	v_mov_b32_e32 v95, s14
	ds_read_b32 v95, v95
	v_add_u32_e32 v93, -1, v93
	s_add_i32 s14, s14, 4
	v_cmp_eq_u32_e32 vcc, 0, v93
	v_add_u32_e32 v91, 4, v91
	s_or_b64 s[4:5], vcc, s[4:5]
	s_waitcnt vmcnt(0) lgkmcnt(0)
	v_fmac_f32_e32 v92, v94, v95
	s_andn2_b64 exec, exec, s[4:5]
	s_cbranch_execnz .LBB42_383
; %bb.384:
	s_or_b64 exec, exec, s[4:5]
.LBB42_385:
	s_or_b64 exec, exec, s[12:13]
	v_mov_b32_e32 v91, 0
	ds_read_b32 v91, v91 offset:12
	s_waitcnt lgkmcnt(0)
	v_mul_f32_e32 v91, v92, v91
	buffer_store_dword v91, off, s[0:3], 0 offset:12
.LBB42_386:
	s_or_b64 exec, exec, s[8:9]
	buffer_load_dword v91, off, s[0:3], 0 offset:8
	v_cmp_lt_u32_e64 s[4:5], 2, v0
	s_waitcnt vmcnt(0)
	ds_write_b32 v88, v91
	s_waitcnt lgkmcnt(0)
	; wave barrier
	s_waitcnt lgkmcnt(0)
	s_and_saveexec_b64 s[8:9], s[4:5]
	s_cbranch_execz .LBB42_396
; %bb.387:
	s_andn2_b64 vcc, exec, s[10:11]
	s_cbranch_vccnz .LBB42_389
; %bb.388:
	buffer_load_dword v91, v89, s[0:3], 0 offen
	ds_read_b32 v92, v88
	s_waitcnt vmcnt(0) lgkmcnt(0)
	v_mul_f32_e32 v91, v91, v92
	s_cbranch_execz .LBB42_390
	s_branch .LBB42_391
.LBB42_389:
                                        ; implicit-def: $vgpr91
.LBB42_390:
	ds_read_b32 v91, v88
.LBB42_391:
	s_and_saveexec_b64 s[12:13], s[6:7]
	s_cbranch_execz .LBB42_395
; %bb.392:
	v_mov_b32_e32 v92, 0
	v_or_b32_e32 v92, 12, v92
	v_add_u32_e32 v93, -3, v0
	s_movk_i32 s14, 0xbc
	s_mov_b64 s[6:7], 0
.LBB42_393:                             ; =>This Inner Loop Header: Depth=1
	buffer_load_dword v94, v92, s[0:3], 0 offen
	v_mov_b32_e32 v95, s14
	ds_read_b32 v95, v95
	v_add_u32_e32 v93, -1, v93
	s_add_i32 s14, s14, 4
	v_cmp_eq_u32_e32 vcc, 0, v93
	v_add_u32_e32 v92, 4, v92
	s_or_b64 s[6:7], vcc, s[6:7]
	s_waitcnt vmcnt(0) lgkmcnt(0)
	v_fmac_f32_e32 v91, v94, v95
	s_andn2_b64 exec, exec, s[6:7]
	s_cbranch_execnz .LBB42_393
; %bb.394:
	s_or_b64 exec, exec, s[6:7]
.LBB42_395:
	s_or_b64 exec, exec, s[12:13]
	v_mov_b32_e32 v92, 0
	ds_read_b32 v92, v92 offset:8
	s_waitcnt lgkmcnt(0)
	v_mul_f32_e32 v91, v91, v92
	buffer_store_dword v91, off, s[0:3], 0 offset:8
.LBB42_396:
	s_or_b64 exec, exec, s[8:9]
	buffer_load_dword v91, off, s[0:3], 0 offset:4
	v_cmp_lt_u32_e64 s[6:7], 1, v0
	s_waitcnt vmcnt(0)
	ds_write_b32 v88, v91
	s_waitcnt lgkmcnt(0)
	; wave barrier
	s_waitcnt lgkmcnt(0)
	s_and_saveexec_b64 s[8:9], s[6:7]
	s_cbranch_execz .LBB42_406
; %bb.397:
	s_andn2_b64 vcc, exec, s[10:11]
	s_cbranch_vccnz .LBB42_399
; %bb.398:
	buffer_load_dword v91, v89, s[0:3], 0 offen
	ds_read_b32 v92, v88
	s_waitcnt vmcnt(0) lgkmcnt(0)
	v_mul_f32_e32 v91, v91, v92
	s_cbranch_execz .LBB42_400
	s_branch .LBB42_401
.LBB42_399:
                                        ; implicit-def: $vgpr91
.LBB42_400:
	ds_read_b32 v91, v88
.LBB42_401:
	s_and_saveexec_b64 s[12:13], s[4:5]
	s_cbranch_execz .LBB42_405
; %bb.402:
	v_add_u32_e32 v92, -2, v0
	s_movk_i32 s14, 0xb8
	s_mov_b64 s[4:5], 0
.LBB42_403:                             ; =>This Inner Loop Header: Depth=1
	buffer_load_dword v93, v90, s[0:3], 0 offen
	v_mov_b32_e32 v94, s14
	ds_read_b32 v94, v94
	v_add_u32_e32 v92, -1, v92
	s_add_i32 s14, s14, 4
	v_cmp_eq_u32_e32 vcc, 0, v92
	v_add_u32_e32 v90, 4, v90
	s_or_b64 s[4:5], vcc, s[4:5]
	s_waitcnt vmcnt(0) lgkmcnt(0)
	v_fmac_f32_e32 v91, v93, v94
	s_andn2_b64 exec, exec, s[4:5]
	s_cbranch_execnz .LBB42_403
; %bb.404:
	s_or_b64 exec, exec, s[4:5]
.LBB42_405:
	s_or_b64 exec, exec, s[12:13]
	v_mov_b32_e32 v90, 0
	ds_read_b32 v90, v90 offset:4
	s_waitcnt lgkmcnt(0)
	v_mul_f32_e32 v90, v91, v90
	buffer_store_dword v90, off, s[0:3], 0 offset:4
.LBB42_406:
	s_or_b64 exec, exec, s[8:9]
	buffer_load_dword v90, off, s[0:3], 0
	v_cmp_ne_u32_e32 vcc, 0, v0
	s_waitcnt vmcnt(0)
	ds_write_b32 v88, v90
	s_waitcnt lgkmcnt(0)
	; wave barrier
	s_waitcnt lgkmcnt(0)
	s_and_saveexec_b64 s[4:5], vcc
	s_cbranch_execz .LBB42_416
; %bb.407:
	s_andn2_b64 vcc, exec, s[10:11]
	s_cbranch_vccnz .LBB42_409
; %bb.408:
	buffer_load_dword v90, v89, s[0:3], 0 offen
	ds_read_b32 v91, v88
	s_waitcnt vmcnt(0) lgkmcnt(0)
	v_mul_f32_e32 v90, v90, v91
	s_cbranch_execz .LBB42_410
	s_branch .LBB42_411
.LBB42_409:
                                        ; implicit-def: $vgpr90
.LBB42_410:
	ds_read_b32 v90, v88
.LBB42_411:
	s_and_saveexec_b64 s[8:9], s[6:7]
	s_cbranch_execz .LBB42_415
; %bb.412:
	v_mov_b32_e32 v91, 0
	v_or_b32_e32 v91, 4, v91
	v_add_u32_e32 v92, -1, v0
	s_movk_i32 s12, 0xb4
	s_mov_b64 s[6:7], 0
.LBB42_413:                             ; =>This Inner Loop Header: Depth=1
	buffer_load_dword v93, v91, s[0:3], 0 offen
	v_mov_b32_e32 v94, s12
	ds_read_b32 v94, v94
	v_add_u32_e32 v92, -1, v92
	s_add_i32 s12, s12, 4
	v_cmp_eq_u32_e32 vcc, 0, v92
	v_add_u32_e32 v91, 4, v91
	s_or_b64 s[6:7], vcc, s[6:7]
	s_waitcnt vmcnt(0) lgkmcnt(0)
	v_fmac_f32_e32 v90, v93, v94
	s_andn2_b64 exec, exec, s[6:7]
	s_cbranch_execnz .LBB42_413
; %bb.414:
	s_or_b64 exec, exec, s[6:7]
.LBB42_415:
	s_or_b64 exec, exec, s[8:9]
	v_mov_b32_e32 v91, 0
	ds_read_b32 v91, v91
	s_waitcnt lgkmcnt(0)
	v_mul_f32_e32 v90, v90, v91
	buffer_store_dword v90, off, s[0:3], 0
.LBB42_416:
	s_or_b64 exec, exec, s[4:5]
	s_mov_b64 s[4:5], 0
.LBB42_417:
	s_and_b64 vcc, exec, s[4:5]
	s_cbranch_vccz .LBB42_831
; %bb.418:
	buffer_load_dword v90, off, s[0:3], 0 offset:4
	v_cmp_eq_u32_e64 s[6:7], 0, v0
	s_waitcnt vmcnt(0)
	ds_write_b32 v88, v90
	s_waitcnt lgkmcnt(0)
	; wave barrier
	s_waitcnt lgkmcnt(0)
	s_and_saveexec_b64 s[4:5], s[6:7]
	s_cbranch_execz .LBB42_424
; %bb.419:
	s_and_b64 vcc, exec, s[10:11]
	s_cbranch_vccz .LBB42_421
; %bb.420:
	buffer_load_dword v90, v89, s[0:3], 0 offen
	ds_read_b32 v91, v88
	s_waitcnt vmcnt(0) lgkmcnt(0)
	v_mul_f32_e32 v90, v90, v91
	s_cbranch_execz .LBB42_422
	s_branch .LBB42_423
.LBB42_421:
                                        ; implicit-def: $vgpr90
.LBB42_422:
	ds_read_b32 v90, v88
.LBB42_423:
	v_mov_b32_e32 v91, 0
	ds_read_b32 v91, v91 offset:4
	s_waitcnt lgkmcnt(0)
	v_mul_f32_e32 v90, v90, v91
	buffer_store_dword v90, off, s[0:3], 0 offset:4
.LBB42_424:
	s_or_b64 exec, exec, s[4:5]
	buffer_load_dword v90, off, s[0:3], 0 offset:8
	v_cndmask_b32_e64 v91, 0, 1, s[10:11]
	v_cmp_gt_u32_e32 vcc, 2, v0
	v_cmp_ne_u32_e64 s[4:5], 1, v91
	s_waitcnt vmcnt(0)
	ds_write_b32 v88, v90
	s_waitcnt lgkmcnt(0)
	; wave barrier
	s_waitcnt lgkmcnt(0)
	s_and_saveexec_b64 s[8:9], vcc
	s_cbranch_execz .LBB42_432
; %bb.425:
	s_and_b64 vcc, exec, s[4:5]
	s_cbranch_vccnz .LBB42_427
; %bb.426:
	buffer_load_dword v90, v89, s[0:3], 0 offen
	ds_read_b32 v91, v88
	s_waitcnt vmcnt(0) lgkmcnt(0)
	v_mul_f32_e32 v90, v90, v91
	s_cbranch_execz .LBB42_428
	s_branch .LBB42_429
.LBB42_427:
                                        ; implicit-def: $vgpr90
.LBB42_428:
	ds_read_b32 v90, v88
.LBB42_429:
	s_and_saveexec_b64 s[10:11], s[6:7]
	s_cbranch_execz .LBB42_431
; %bb.430:
	buffer_load_dword v91, v89, s[0:3], 0 offen offset:4
	ds_read_b32 v92, v88 offset:4
	s_waitcnt vmcnt(0) lgkmcnt(0)
	v_fmac_f32_e32 v90, v91, v92
.LBB42_431:
	s_or_b64 exec, exec, s[10:11]
	v_mov_b32_e32 v91, 0
	ds_read_b32 v91, v91 offset:8
	s_waitcnt lgkmcnt(0)
	v_mul_f32_e32 v90, v90, v91
	buffer_store_dword v90, off, s[0:3], 0 offset:8
.LBB42_432:
	s_or_b64 exec, exec, s[8:9]
	buffer_load_dword v90, off, s[0:3], 0 offset:12
	v_cmp_gt_u32_e32 vcc, 3, v0
	s_waitcnt vmcnt(0)
	ds_write_b32 v88, v90
	s_waitcnt lgkmcnt(0)
	; wave barrier
	s_waitcnt lgkmcnt(0)
	s_and_saveexec_b64 s[8:9], vcc
	s_cbranch_execz .LBB42_440
; %bb.433:
	s_and_b64 vcc, exec, s[4:5]
	s_cbranch_vccnz .LBB42_435
; %bb.434:
	buffer_load_dword v90, v89, s[0:3], 0 offen
	ds_read_b32 v91, v88
	s_waitcnt vmcnt(0) lgkmcnt(0)
	v_mul_f32_e32 v90, v90, v91
	s_cbranch_execz .LBB42_436
	s_branch .LBB42_437
.LBB42_435:
                                        ; implicit-def: $vgpr90
.LBB42_436:
	ds_read_b32 v90, v88
.LBB42_437:
	v_cmp_ne_u32_e32 vcc, 2, v0
	s_and_saveexec_b64 s[10:11], vcc
	s_cbranch_execz .LBB42_439
; %bb.438:
	buffer_load_dword v91, v89, s[0:3], 0 offen offset:4
	buffer_load_dword v92, off, s[0:3], 0 offset:8
	v_mov_b32_e32 v93, 0
	ds_read_b32 v94, v88 offset:4
	ds_read_b32 v93, v93 offset:184
	s_waitcnt vmcnt(1) lgkmcnt(1)
	v_fmac_f32_e32 v90, v91, v94
	s_waitcnt vmcnt(0) lgkmcnt(0)
	v_fma_f32 v91, v92, v93, v90
	v_cndmask_b32_e64 v90, v90, v91, s[6:7]
.LBB42_439:
	s_or_b64 exec, exec, s[10:11]
	v_mov_b32_e32 v91, 0
	ds_read_b32 v91, v91 offset:12
	s_waitcnt lgkmcnt(0)
	v_mul_f32_e32 v90, v90, v91
	buffer_store_dword v90, off, s[0:3], 0 offset:12
.LBB42_440:
	s_or_b64 exec, exec, s[8:9]
	buffer_load_dword v90, off, s[0:3], 0 offset:16
	v_cmp_gt_u32_e32 vcc, 4, v0
	s_waitcnt vmcnt(0)
	ds_write_b32 v88, v90
	s_waitcnt lgkmcnt(0)
	; wave barrier
	s_waitcnt lgkmcnt(0)
	s_and_saveexec_b64 s[6:7], vcc
	s_cbranch_execz .LBB42_450
; %bb.441:
	s_and_b64 vcc, exec, s[4:5]
	s_cbranch_vccnz .LBB42_443
; %bb.442:
	buffer_load_dword v90, v89, s[0:3], 0 offen
	ds_read_b32 v91, v88
	s_waitcnt vmcnt(0) lgkmcnt(0)
	v_mul_f32_e32 v90, v90, v91
	s_cbranch_execz .LBB42_444
	s_branch .LBB42_445
.LBB42_443:
                                        ; implicit-def: $vgpr90
.LBB42_444:
	ds_read_b32 v90, v88
.LBB42_445:
	v_cmp_ne_u32_e32 vcc, 3, v0
	s_and_saveexec_b64 s[8:9], vcc
	s_cbranch_execz .LBB42_449
; %bb.446:
	v_mov_b32_e32 v92, 0
	v_add_u32_e32 v91, 0xb4, v1
	v_add3_u32 v92, v1, v92, 4
	s_mov_b64 s[10:11], 0
	v_mov_b32_e32 v93, v0
.LBB42_447:                             ; =>This Inner Loop Header: Depth=1
	buffer_load_dword v94, v92, s[0:3], 0 offen
	ds_read_b32 v95, v91
	v_add_u32_e32 v93, 1, v93
	v_cmp_lt_u32_e32 vcc, 2, v93
	v_add_u32_e32 v91, 4, v91
	v_add_u32_e32 v92, 4, v92
	s_or_b64 s[10:11], vcc, s[10:11]
	s_waitcnt vmcnt(0) lgkmcnt(0)
	v_fmac_f32_e32 v90, v94, v95
	s_andn2_b64 exec, exec, s[10:11]
	s_cbranch_execnz .LBB42_447
; %bb.448:
	s_or_b64 exec, exec, s[10:11]
.LBB42_449:
	s_or_b64 exec, exec, s[8:9]
	v_mov_b32_e32 v91, 0
	ds_read_b32 v91, v91 offset:16
	s_waitcnt lgkmcnt(0)
	v_mul_f32_e32 v90, v90, v91
	buffer_store_dword v90, off, s[0:3], 0 offset:16
.LBB42_450:
	s_or_b64 exec, exec, s[6:7]
	buffer_load_dword v90, off, s[0:3], 0 offset:20
	v_cmp_gt_u32_e32 vcc, 5, v0
	s_waitcnt vmcnt(0)
	ds_write_b32 v88, v90
	s_waitcnt lgkmcnt(0)
	; wave barrier
	s_waitcnt lgkmcnt(0)
	s_and_saveexec_b64 s[6:7], vcc
	s_cbranch_execz .LBB42_460
; %bb.451:
	s_and_b64 vcc, exec, s[4:5]
	s_cbranch_vccnz .LBB42_453
; %bb.452:
	buffer_load_dword v90, v89, s[0:3], 0 offen
	ds_read_b32 v91, v88
	s_waitcnt vmcnt(0) lgkmcnt(0)
	v_mul_f32_e32 v90, v90, v91
	s_cbranch_execz .LBB42_454
	s_branch .LBB42_455
.LBB42_453:
                                        ; implicit-def: $vgpr90
.LBB42_454:
	ds_read_b32 v90, v88
.LBB42_455:
	v_cmp_ne_u32_e32 vcc, 4, v0
	s_and_saveexec_b64 s[8:9], vcc
	s_cbranch_execz .LBB42_459
; %bb.456:
	v_mov_b32_e32 v92, 0
	v_add_u32_e32 v91, 0xb4, v1
	v_add3_u32 v92, v1, v92, 4
	s_mov_b64 s[10:11], 0
	v_mov_b32_e32 v93, v0
.LBB42_457:                             ; =>This Inner Loop Header: Depth=1
	buffer_load_dword v94, v92, s[0:3], 0 offen
	ds_read_b32 v95, v91
	v_add_u32_e32 v93, 1, v93
	v_cmp_lt_u32_e32 vcc, 3, v93
	v_add_u32_e32 v91, 4, v91
	v_add_u32_e32 v92, 4, v92
	s_or_b64 s[10:11], vcc, s[10:11]
	s_waitcnt vmcnt(0) lgkmcnt(0)
	v_fmac_f32_e32 v90, v94, v95
	s_andn2_b64 exec, exec, s[10:11]
	s_cbranch_execnz .LBB42_457
; %bb.458:
	s_or_b64 exec, exec, s[10:11]
.LBB42_459:
	s_or_b64 exec, exec, s[8:9]
	v_mov_b32_e32 v91, 0
	ds_read_b32 v91, v91 offset:20
	s_waitcnt lgkmcnt(0)
	v_mul_f32_e32 v90, v90, v91
	buffer_store_dword v90, off, s[0:3], 0 offset:20
.LBB42_460:
	;; [unrolled: 56-line block ×37, first 2 shown]
	s_or_b64 exec, exec, s[6:7]
	buffer_load_dword v90, off, s[0:3], 0 offset:164
	v_cmp_gt_u32_e64 s[6:7], 41, v0
	s_waitcnt vmcnt(0)
	ds_write_b32 v88, v90
	s_waitcnt lgkmcnt(0)
	; wave barrier
	s_waitcnt lgkmcnt(0)
	s_and_saveexec_b64 s[8:9], s[6:7]
	s_cbranch_execz .LBB42_820
; %bb.811:
	s_and_b64 vcc, exec, s[4:5]
	s_cbranch_vccnz .LBB42_813
; %bb.812:
	buffer_load_dword v90, v89, s[0:3], 0 offen
	ds_read_b32 v91, v88
	s_waitcnt vmcnt(0) lgkmcnt(0)
	v_mul_f32_e32 v90, v90, v91
	s_cbranch_execz .LBB42_814
	s_branch .LBB42_815
.LBB42_813:
                                        ; implicit-def: $vgpr90
.LBB42_814:
	ds_read_b32 v90, v88
.LBB42_815:
	v_cmp_ne_u32_e32 vcc, 40, v0
	s_and_saveexec_b64 s[10:11], vcc
	s_cbranch_execz .LBB42_819
; %bb.816:
	v_mov_b32_e32 v92, 0
	v_add_u32_e32 v91, 0xb4, v1
	v_add3_u32 v92, v1, v92, 4
	s_mov_b64 s[12:13], 0
	v_mov_b32_e32 v93, v0
.LBB42_817:                             ; =>This Inner Loop Header: Depth=1
	buffer_load_dword v94, v92, s[0:3], 0 offen
	ds_read_b32 v95, v91
	v_add_u32_e32 v93, 1, v93
	v_cmp_lt_u32_e32 vcc, 39, v93
	v_add_u32_e32 v91, 4, v91
	v_add_u32_e32 v92, 4, v92
	s_or_b64 s[12:13], vcc, s[12:13]
	s_waitcnt vmcnt(0) lgkmcnt(0)
	v_fmac_f32_e32 v90, v94, v95
	s_andn2_b64 exec, exec, s[12:13]
	s_cbranch_execnz .LBB42_817
; %bb.818:
	s_or_b64 exec, exec, s[12:13]
.LBB42_819:
	s_or_b64 exec, exec, s[10:11]
	v_mov_b32_e32 v91, 0
	ds_read_b32 v91, v91 offset:164
	s_waitcnt lgkmcnt(0)
	v_mul_f32_e32 v90, v90, v91
	buffer_store_dword v90, off, s[0:3], 0 offset:164
.LBB42_820:
	s_or_b64 exec, exec, s[8:9]
	buffer_load_dword v90, off, s[0:3], 0 offset:168
	v_cmp_ne_u32_e32 vcc, 42, v0
	s_waitcnt vmcnt(0)
	ds_write_b32 v88, v90
	s_waitcnt lgkmcnt(0)
	; wave barrier
	s_waitcnt lgkmcnt(0)
	s_and_saveexec_b64 s[8:9], vcc
	s_cbranch_execz .LBB42_830
; %bb.821:
	s_and_b64 vcc, exec, s[4:5]
	s_cbranch_vccnz .LBB42_823
; %bb.822:
	buffer_load_dword v89, v89, s[0:3], 0 offen
	ds_read_b32 v90, v88
	s_waitcnt vmcnt(0) lgkmcnt(0)
	v_mul_f32_e32 v89, v89, v90
	s_cbranch_execz .LBB42_824
	s_branch .LBB42_825
.LBB42_823:
                                        ; implicit-def: $vgpr89
.LBB42_824:
	ds_read_b32 v89, v88
.LBB42_825:
	s_and_saveexec_b64 s[4:5], s[6:7]
	s_cbranch_execz .LBB42_829
; %bb.826:
	v_mov_b32_e32 v90, 0
	v_add_u32_e32 v88, 0xb4, v1
	v_add3_u32 v1, v1, v90, 4
	s_mov_b64 s[6:7], 0
.LBB42_827:                             ; =>This Inner Loop Header: Depth=1
	buffer_load_dword v90, v1, s[0:3], 0 offen
	ds_read_b32 v91, v88
	v_add_u32_e32 v0, 1, v0
	v_cmp_lt_u32_e32 vcc, 40, v0
	v_add_u32_e32 v88, 4, v88
	v_add_u32_e32 v1, 4, v1
	s_or_b64 s[6:7], vcc, s[6:7]
	s_waitcnt vmcnt(0) lgkmcnt(0)
	v_fmac_f32_e32 v89, v90, v91
	s_andn2_b64 exec, exec, s[6:7]
	s_cbranch_execnz .LBB42_827
; %bb.828:
	s_or_b64 exec, exec, s[6:7]
.LBB42_829:
	s_or_b64 exec, exec, s[4:5]
	v_mov_b32_e32 v0, 0
	ds_read_b32 v0, v0 offset:168
	s_waitcnt lgkmcnt(0)
	v_mul_f32_e32 v0, v89, v0
	buffer_store_dword v0, off, s[0:3], 0 offset:168
.LBB42_830:
	s_or_b64 exec, exec, s[8:9]
.LBB42_831:
	buffer_load_dword v0, off, s[0:3], 0
	buffer_load_dword v1, off, s[0:3], 0 offset:4
	buffer_load_dword v88, off, s[0:3], 0 offset:8
	;; [unrolled: 1-line block ×31, first 2 shown]
	s_waitcnt vmcnt(31)
	global_store_dword v[4:5], v0, off
	buffer_load_dword v0, off, s[0:3], 0 offset:128
	s_nop 0
	buffer_load_dword v4, off, s[0:3], 0 offset:132
	buffer_load_dword v5, off, s[0:3], 0 offset:136
	;; [unrolled: 1-line block ×7, first 2 shown]
	s_waitcnt vmcnt(39)
	global_store_dword v[2:3], v1, off
	buffer_load_dword v1, off, s[0:3], 0 offset:160
	s_nop 0
	buffer_load_dword v2, off, s[0:3], 0 offset:164
	buffer_load_dword v3, off, s[0:3], 0 offset:168
	s_waitcnt vmcnt(42)
	global_store_dword v[6:7], v88, off
	s_waitcnt vmcnt(42)
	global_store_dword v[8:9], v89, off
	;; [unrolled: 2-line block ×41, first 2 shown]
.LBB42_832:
	s_endpgm
	.section	.rodata,"a",@progbits
	.p2align	6, 0x0
	.amdhsa_kernel _ZN9rocsolver6v33100L18trti2_kernel_smallILi43EfPfEEv13rocblas_fill_17rocblas_diagonal_T1_iil
		.amdhsa_group_segment_fixed_size 348
		.amdhsa_private_segment_fixed_size 176
		.amdhsa_kernarg_size 32
		.amdhsa_user_sgpr_count 8
		.amdhsa_user_sgpr_private_segment_buffer 1
		.amdhsa_user_sgpr_dispatch_ptr 0
		.amdhsa_user_sgpr_queue_ptr 0
		.amdhsa_user_sgpr_kernarg_segment_ptr 1
		.amdhsa_user_sgpr_dispatch_id 0
		.amdhsa_user_sgpr_flat_scratch_init 1
		.amdhsa_user_sgpr_kernarg_preload_length 0
		.amdhsa_user_sgpr_kernarg_preload_offset 0
		.amdhsa_user_sgpr_private_segment_size 0
		.amdhsa_uses_dynamic_stack 0
		.amdhsa_system_sgpr_private_segment_wavefront_offset 1
		.amdhsa_system_sgpr_workgroup_id_x 1
		.amdhsa_system_sgpr_workgroup_id_y 0
		.amdhsa_system_sgpr_workgroup_id_z 0
		.amdhsa_system_sgpr_workgroup_info 0
		.amdhsa_system_vgpr_workitem_id 0
		.amdhsa_next_free_vgpr 125
		.amdhsa_next_free_sgpr 20
		.amdhsa_accum_offset 128
		.amdhsa_reserve_vcc 1
		.amdhsa_reserve_flat_scratch 0
		.amdhsa_float_round_mode_32 0
		.amdhsa_float_round_mode_16_64 0
		.amdhsa_float_denorm_mode_32 3
		.amdhsa_float_denorm_mode_16_64 3
		.amdhsa_dx10_clamp 1
		.amdhsa_ieee_mode 1
		.amdhsa_fp16_overflow 0
		.amdhsa_tg_split 0
		.amdhsa_exception_fp_ieee_invalid_op 0
		.amdhsa_exception_fp_denorm_src 0
		.amdhsa_exception_fp_ieee_div_zero 0
		.amdhsa_exception_fp_ieee_overflow 0
		.amdhsa_exception_fp_ieee_underflow 0
		.amdhsa_exception_fp_ieee_inexact 0
		.amdhsa_exception_int_div_zero 0
	.end_amdhsa_kernel
	.section	.text._ZN9rocsolver6v33100L18trti2_kernel_smallILi43EfPfEEv13rocblas_fill_17rocblas_diagonal_T1_iil,"axG",@progbits,_ZN9rocsolver6v33100L18trti2_kernel_smallILi43EfPfEEv13rocblas_fill_17rocblas_diagonal_T1_iil,comdat
.Lfunc_end42:
	.size	_ZN9rocsolver6v33100L18trti2_kernel_smallILi43EfPfEEv13rocblas_fill_17rocblas_diagonal_T1_iil, .Lfunc_end42-_ZN9rocsolver6v33100L18trti2_kernel_smallILi43EfPfEEv13rocblas_fill_17rocblas_diagonal_T1_iil
                                        ; -- End function
	.section	.AMDGPU.csdata,"",@progbits
; Kernel info:
; codeLenInByte = 21128
; NumSgprs: 24
; NumVgprs: 125
; NumAgprs: 0
; TotalNumVgprs: 125
; ScratchSize: 176
; MemoryBound: 0
; FloatMode: 240
; IeeeMode: 1
; LDSByteSize: 348 bytes/workgroup (compile time only)
; SGPRBlocks: 2
; VGPRBlocks: 15
; NumSGPRsForWavesPerEU: 24
; NumVGPRsForWavesPerEU: 125
; AccumOffset: 128
; Occupancy: 4
; WaveLimiterHint : 0
; COMPUTE_PGM_RSRC2:SCRATCH_EN: 1
; COMPUTE_PGM_RSRC2:USER_SGPR: 8
; COMPUTE_PGM_RSRC2:TRAP_HANDLER: 0
; COMPUTE_PGM_RSRC2:TGID_X_EN: 1
; COMPUTE_PGM_RSRC2:TGID_Y_EN: 0
; COMPUTE_PGM_RSRC2:TGID_Z_EN: 0
; COMPUTE_PGM_RSRC2:TIDIG_COMP_CNT: 0
; COMPUTE_PGM_RSRC3_GFX90A:ACCUM_OFFSET: 31
; COMPUTE_PGM_RSRC3_GFX90A:TG_SPLIT: 0
	.section	.text._ZN9rocsolver6v33100L18trti2_kernel_smallILi44EfPfEEv13rocblas_fill_17rocblas_diagonal_T1_iil,"axG",@progbits,_ZN9rocsolver6v33100L18trti2_kernel_smallILi44EfPfEEv13rocblas_fill_17rocblas_diagonal_T1_iil,comdat
	.globl	_ZN9rocsolver6v33100L18trti2_kernel_smallILi44EfPfEEv13rocblas_fill_17rocblas_diagonal_T1_iil ; -- Begin function _ZN9rocsolver6v33100L18trti2_kernel_smallILi44EfPfEEv13rocblas_fill_17rocblas_diagonal_T1_iil
	.p2align	8
	.type	_ZN9rocsolver6v33100L18trti2_kernel_smallILi44EfPfEEv13rocblas_fill_17rocblas_diagonal_T1_iil,@function
_ZN9rocsolver6v33100L18trti2_kernel_smallILi44EfPfEEv13rocblas_fill_17rocblas_diagonal_T1_iil: ; @_ZN9rocsolver6v33100L18trti2_kernel_smallILi44EfPfEEv13rocblas_fill_17rocblas_diagonal_T1_iil
; %bb.0:
	s_add_u32 s0, s0, s9
	s_addc_u32 s1, s1, 0
	v_cmp_gt_u32_e32 vcc, 44, v0
	s_and_saveexec_b64 s[6:7], vcc
	s_cbranch_execz .LBB43_852
; %bb.1:
	s_load_dwordx8 s[12:19], s[4:5], 0x0
	s_ashr_i32 s6, s8, 31
	v_lshlrev_b32_e32 v1, 2, v0
	s_waitcnt lgkmcnt(0)
	s_mul_i32 s7, s8, s19
	s_mul_hi_u32 s9, s8, s18
	s_add_i32 s7, s9, s7
	s_mul_i32 s6, s6, s18
	s_add_i32 s7, s7, s6
	s_mul_i32 s6, s8, s18
	s_ashr_i32 s5, s16, 31
	s_lshl_b64 s[6:7], s[6:7], 2
	s_mov_b32 s4, s16
	s_add_u32 s6, s14, s6
	s_addc_u32 s7, s15, s7
	s_lshl_b64 s[4:5], s[4:5], 2
	s_add_u32 s4, s6, s4
	s_addc_u32 s5, s7, s5
	v_mov_b32_e32 v3, s5
	v_add_co_u32_e32 v2, vcc, s4, v1
	s_ashr_i32 s7, s17, 31
	s_mov_b32 s6, s17
	v_addc_co_u32_e32 v3, vcc, 0, v3, vcc
	s_lshl_b64 s[6:7], s[6:7], 2
	v_add_co_u32_e32 v4, vcc, s6, v2
	s_add_i32 s6, s17, s17
	v_add_u32_e32 v8, s6, v0
	v_mov_b32_e32 v5, s7
	v_ashrrev_i32_e32 v9, 31, v8
	v_addc_co_u32_e32 v5, vcc, v3, v5, vcc
	v_lshlrev_b64 v[6:7], 2, v[8:9]
	v_add_u32_e32 v10, s17, v8
	v_mov_b32_e32 v9, s5
	v_add_co_u32_e32 v6, vcc, s4, v6
	v_ashrrev_i32_e32 v11, 31, v10
	v_addc_co_u32_e32 v7, vcc, v9, v7, vcc
	v_lshlrev_b64 v[8:9], 2, v[10:11]
	v_add_u32_e32 v12, s17, v10
	v_mov_b32_e32 v11, s5
	v_add_co_u32_e32 v8, vcc, s4, v8
	v_ashrrev_i32_e32 v13, 31, v12
	v_addc_co_u32_e32 v9, vcc, v11, v9, vcc
	v_lshlrev_b64 v[10:11], 2, v[12:13]
	v_add_u32_e32 v14, s17, v12
	v_mov_b32_e32 v13, s5
	v_add_co_u32_e32 v10, vcc, s4, v10
	v_ashrrev_i32_e32 v15, 31, v14
	v_addc_co_u32_e32 v11, vcc, v13, v11, vcc
	v_lshlrev_b64 v[12:13], 2, v[14:15]
	v_add_u32_e32 v16, s17, v14
	v_mov_b32_e32 v15, s5
	v_add_co_u32_e32 v12, vcc, s4, v12
	v_ashrrev_i32_e32 v17, 31, v16
	global_load_dword v21, v1, s[4:5]
	v_addc_co_u32_e32 v13, vcc, v15, v13, vcc
	v_lshlrev_b64 v[14:15], 2, v[16:17]
	v_add_u32_e32 v18, s17, v16
	v_mov_b32_e32 v17, s5
	v_add_co_u32_e32 v14, vcc, s4, v14
	v_ashrrev_i32_e32 v19, 31, v18
	v_addc_co_u32_e32 v15, vcc, v17, v15, vcc
	v_lshlrev_b64 v[16:17], 2, v[18:19]
	v_mov_b32_e32 v19, s5
	v_add_co_u32_e32 v16, vcc, s4, v16
	global_load_dword v25, v[4:5], off
	global_load_dword v23, v[6:7], off
	;; [unrolled: 1-line block ×3, first 2 shown]
	v_addc_co_u32_e32 v17, vcc, v19, v17, vcc
	global_load_dword v29, v[10:11], off
	global_load_dword v31, v[12:13], off
	;; [unrolled: 1-line block ×4, first 2 shown]
	v_add_u32_e32 v20, s17, v18
	v_add_u32_e32 v22, s17, v20
	;; [unrolled: 1-line block ×36, first 2 shown]
	v_ashrrev_i32_e32 v19, 31, v18
	v_lshlrev_b64 v[18:19], 2, v[18:19]
	v_mov_b32_e32 v37, s5
	v_add_co_u32_e32 v18, vcc, s4, v18
	v_addc_co_u32_e32 v19, vcc, v37, v19, vcc
	global_load_dword v90, v[18:19], off
	v_mov_b32_e32 v39, s5
	v_mov_b32_e32 v41, s5
	;; [unrolled: 1-line block ×17, first 2 shown]
	s_waitcnt vmcnt(8)
	buffer_store_dword v21, off, s[0:3], 0
	v_ashrrev_i32_e32 v21, 31, v20
	v_lshlrev_b64 v[20:21], 2, v[20:21]
	v_add_co_u32_e32 v20, vcc, s4, v20
	v_addc_co_u32_e32 v21, vcc, v37, v21, vcc
	global_load_dword v91, v[20:21], off
	s_waitcnt vmcnt(9)
	buffer_store_dword v25, off, s[0:3], 0 offset:4
	s_waitcnt vmcnt(8)
	buffer_store_dword v27, off, s[0:3], 0 offset:12
	buffer_store_dword v23, off, s[0:3], 0 offset:8
	s_waitcnt vmcnt(9)
	buffer_store_dword v29, off, s[0:3], 0 offset:16
	s_waitcnt vmcnt(9)
	;; [unrolled: 2-line block ×4, first 2 shown]
	buffer_store_dword v35, off, s[0:3], 0 offset:28
	v_ashrrev_i32_e32 v23, 31, v22
	v_lshlrev_b64 v[22:23], 2, v[22:23]
	v_mov_b32_e32 v25, s5
	v_add_co_u32_e32 v22, vcc, s4, v22
	v_addc_co_u32_e32 v23, vcc, v25, v23, vcc
	v_ashrrev_i32_e32 v25, 31, v24
	v_lshlrev_b64 v[24:25], 2, v[24:25]
	v_mov_b32_e32 v27, s5
	v_add_co_u32_e32 v24, vcc, s4, v24
	v_addc_co_u32_e32 v25, vcc, v27, v25, vcc
	;; [unrolled: 5-line block ×6, first 2 shown]
	v_ashrrev_i32_e32 v35, 31, v34
	v_lshlrev_b64 v[34:35], 2, v[34:35]
	v_add_co_u32_e32 v34, vcc, s4, v34
	v_addc_co_u32_e32 v35, vcc, v37, v35, vcc
	v_ashrrev_i32_e32 v37, 31, v36
	v_lshlrev_b64 v[36:37], 2, v[36:37]
	v_add_co_u32_e32 v36, vcc, s4, v36
	v_addc_co_u32_e32 v37, vcc, v39, v37, vcc
	v_ashrrev_i32_e32 v39, 31, v38
	v_lshlrev_b64 v[38:39], 2, v[38:39]
	v_add_co_u32_e32 v38, vcc, s4, v38
	v_addc_co_u32_e32 v39, vcc, v41, v39, vcc
	v_ashrrev_i32_e32 v41, 31, v40
	v_lshlrev_b64 v[40:41], 2, v[40:41]
	v_add_co_u32_e32 v40, vcc, s4, v40
	v_addc_co_u32_e32 v41, vcc, v43, v41, vcc
	v_ashrrev_i32_e32 v43, 31, v42
	v_lshlrev_b64 v[42:43], 2, v[42:43]
	v_add_co_u32_e32 v42, vcc, s4, v42
	v_addc_co_u32_e32 v43, vcc, v45, v43, vcc
	v_ashrrev_i32_e32 v45, 31, v44
	v_lshlrev_b64 v[44:45], 2, v[44:45]
	v_add_co_u32_e32 v44, vcc, s4, v44
	v_addc_co_u32_e32 v45, vcc, v47, v45, vcc
	v_ashrrev_i32_e32 v47, 31, v46
	v_lshlrev_b64 v[46:47], 2, v[46:47]
	v_add_co_u32_e32 v46, vcc, s4, v46
	v_addc_co_u32_e32 v47, vcc, v49, v47, vcc
	v_ashrrev_i32_e32 v49, 31, v48
	v_lshlrev_b64 v[48:49], 2, v[48:49]
	v_add_co_u32_e32 v48, vcc, s4, v48
	v_addc_co_u32_e32 v49, vcc, v51, v49, vcc
	v_ashrrev_i32_e32 v51, 31, v50
	v_lshlrev_b64 v[50:51], 2, v[50:51]
	v_add_co_u32_e32 v50, vcc, s4, v50
	v_addc_co_u32_e32 v51, vcc, v53, v51, vcc
	v_ashrrev_i32_e32 v53, 31, v52
	v_lshlrev_b64 v[52:53], 2, v[52:53]
	v_add_co_u32_e32 v52, vcc, s4, v52
	v_addc_co_u32_e32 v53, vcc, v55, v53, vcc
	v_ashrrev_i32_e32 v55, 31, v54
	v_lshlrev_b64 v[54:55], 2, v[54:55]
	v_add_co_u32_e32 v54, vcc, s4, v54
	v_addc_co_u32_e32 v55, vcc, v57, v55, vcc
	v_ashrrev_i32_e32 v57, 31, v56
	v_lshlrev_b64 v[56:57], 2, v[56:57]
	v_add_co_u32_e32 v56, vcc, s4, v56
	v_addc_co_u32_e32 v57, vcc, v59, v57, vcc
	v_ashrrev_i32_e32 v59, 31, v58
	v_lshlrev_b64 v[58:59], 2, v[58:59]
	v_add_co_u32_e32 v58, vcc, s4, v58
	v_addc_co_u32_e32 v59, vcc, v61, v59, vcc
	v_ashrrev_i32_e32 v61, 31, v60
	v_lshlrev_b64 v[60:61], 2, v[60:61]
	global_load_dword v92, v[22:23], off
	global_load_dword v93, v[24:25], off
	global_load_dword v94, v[26:27], off
	global_load_dword v95, v[28:29], off
	global_load_dword v96, v[30:31], off
	global_load_dword v97, v[32:33], off
	global_load_dword v98, v[34:35], off
	global_load_dword v99, v[36:37], off
	v_add_co_u32_e32 v60, vcc, s4, v60
	v_addc_co_u32_e32 v61, vcc, v63, v61, vcc
	v_ashrrev_i32_e32 v63, 31, v62
	v_lshlrev_b64 v[62:63], 2, v[62:63]
	v_add_co_u32_e32 v62, vcc, s4, v62
	v_addc_co_u32_e32 v63, vcc, v65, v63, vcc
	v_ashrrev_i32_e32 v65, 31, v64
	v_lshlrev_b64 v[64:65], 2, v[64:65]
	;; [unrolled: 4-line block ×5, first 2 shown]
	v_mov_b32_e32 v73, s5
	v_add_co_u32_e32 v70, vcc, s4, v70
	v_addc_co_u32_e32 v71, vcc, v73, v71, vcc
	v_ashrrev_i32_e32 v73, 31, v72
	v_lshlrev_b64 v[72:73], 2, v[72:73]
	v_mov_b32_e32 v75, s5
	v_add_co_u32_e32 v72, vcc, s4, v72
	v_addc_co_u32_e32 v73, vcc, v75, v73, vcc
	v_ashrrev_i32_e32 v75, 31, v74
	v_lshlrev_b64 v[74:75], 2, v[74:75]
	;; [unrolled: 5-line block ×8, first 2 shown]
	v_mov_b32_e32 v89, s5
	v_add_co_u32_e32 v86, vcc, s4, v86
	global_load_dword v100, v[38:39], off
	global_load_dword v101, v[40:41], off
	;; [unrolled: 1-line block ×16, first 2 shown]
	v_addc_co_u32_e32 v87, vcc, v89, v87, vcc
	global_load_dword v117, v[70:71], off
	global_load_dword v118, v[72:73], off
	;; [unrolled: 1-line block ×7, first 2 shown]
	v_ashrrev_i32_e32 v89, 31, v88
	s_waitcnt vmcnt(38)
	buffer_store_dword v91, off, s[0:3], 0 offset:32
	global_load_dword v91, v[86:87], off
	s_nop 0
	global_load_dword v124, v[84:85], off
	v_lshlrev_b64 v[88:89], 2, v[88:89]
	v_mov_b32_e32 v111, s5
	v_add_co_u32_e32 v88, vcc, s4, v88
	v_addc_co_u32_e32 v89, vcc, v111, v89, vcc
	s_waitcnt vmcnt(33)
	buffer_store_dword v92, off, s[0:3], 0 offset:36
	global_load_dword v92, v[88:89], off
	s_cmpk_lg_i32 s13, 0x84
	s_waitcnt vmcnt(33)
	buffer_store_dword v94, off, s[0:3], 0 offset:44
	v_mov_b32_e32 v111, 0
	buffer_store_dword v93, off, s[0:3], 0 offset:40
	s_waitcnt vmcnt(34)
	buffer_store_dword v95, off, s[0:3], 0 offset:48
	s_waitcnt vmcnt(34)
	;; [unrolled: 2-line block ×9, first 2 shown]
	buffer_store_dword v104, off, s[0:3], 0 offset:84
	buffer_store_dword v103, off, s[0:3], 0 offset:80
	s_waitcnt vmcnt(33)
	buffer_store_dword v106, off, s[0:3], 0 offset:92
	buffer_store_dword v105, off, s[0:3], 0 offset:88
	s_waitcnt vmcnt(33)
	;; [unrolled: 3-line block ×10, first 2 shown]
	buffer_store_dword v91, off, s[0:3], 0 offset:164
	s_waitcnt vmcnt(33)
	buffer_store_dword v124, off, s[0:3], 0 offset:160
	buffer_store_dword v90, off, s[0:3], 0 offset:172
	s_waitcnt vmcnt(33)
	buffer_store_dword v92, off, s[0:3], 0 offset:168
	s_cselect_b64 s[8:9], -1, 0
	s_cmpk_eq_i32 s13, 0x84
	v_mov_b32_e32 v90, -1.0
	s_cbranch_scc1 .LBB43_3
; %bb.2:
	v_lshl_add_u32 v90, v0, 2, v111
	buffer_load_dword v91, v90, s[0:3], 0 offen
	s_waitcnt vmcnt(0)
	v_div_scale_f32 v92, s[4:5], v91, v91, 1.0
	v_rcp_f32_e32 v93, v92
	v_div_scale_f32 v94, vcc, 1.0, v91, 1.0
	v_fma_f32 v95, -v92, v93, 1.0
	v_fmac_f32_e32 v93, v95, v93
	v_mul_f32_e32 v95, v94, v93
	v_fma_f32 v96, -v92, v95, v94
	v_fmac_f32_e32 v95, v96, v93
	v_fma_f32 v92, -v92, v95, v94
	v_div_fmas_f32 v92, v92, v93, v95
	v_div_fixup_f32 v91, v92, v91, 1.0
	buffer_store_dword v91, v90, s[0:3], 0 offen
	v_xor_b32_e32 v90, 0x80000000, v91
.LBB43_3:
	ds_write_b32 v1, v90
	s_cmpk_eq_i32 s12, 0x79
	v_add_u32_e32 v90, 0xb0, v1
	v_add_u32_e32 v91, 0, v1
	s_mov_b64 s[4:5], -1
	s_cbranch_scc1 .LBB43_427
; %bb.4:
	buffer_load_dword v92, off, s[0:3], 0 offset:168
	v_cmp_eq_u32_e64 s[4:5], 43, v0
	s_waitcnt vmcnt(0)
	ds_write_b32 v90, v92
	s_waitcnt lgkmcnt(0)
	; wave barrier
	s_waitcnt lgkmcnt(0)
	s_and_saveexec_b64 s[6:7], s[4:5]
	s_cbranch_execz .LBB43_10
; %bb.5:
	s_and_b64 vcc, exec, s[8:9]
	s_cbranch_vccz .LBB43_7
; %bb.6:
	buffer_load_dword v92, v91, s[0:3], 0 offen
	ds_read_b32 v93, v90
	s_waitcnt vmcnt(0) lgkmcnt(0)
	v_mul_f32_e32 v92, v92, v93
	s_cbranch_execz .LBB43_8
	s_branch .LBB43_9
.LBB43_7:
                                        ; implicit-def: $vgpr92
.LBB43_8:
	ds_read_b32 v92, v90
.LBB43_9:
	v_mov_b32_e32 v93, 0
	ds_read_b32 v93, v93 offset:168
	s_waitcnt lgkmcnt(0)
	v_mul_f32_e32 v92, v92, v93
	buffer_store_dword v92, off, s[0:3], 0 offset:168
.LBB43_10:
	s_or_b64 exec, exec, s[6:7]
	buffer_load_dword v112, off, s[0:3], 0 offset:164
	v_or_b32_e32 v92, 8, v111
	v_add_u32_e32 v93, 16, v111
	v_add_u32_e32 v94, 24, v111
	;; [unrolled: 1-line block ×19, first 2 shown]
	v_cmp_lt_u32_e64 s[6:7], 41, v0
	s_waitcnt vmcnt(0)
	ds_write_b32 v90, v112
	s_waitcnt lgkmcnt(0)
	; wave barrier
	s_waitcnt lgkmcnt(0)
	s_and_saveexec_b64 s[10:11], s[6:7]
	s_cbranch_execz .LBB43_16
; %bb.11:
	s_andn2_b64 vcc, exec, s[8:9]
	s_cbranch_vccnz .LBB43_13
; %bb.12:
	buffer_load_dword v112, v91, s[0:3], 0 offen
	ds_read_b32 v113, v90
	s_waitcnt vmcnt(0) lgkmcnt(0)
	v_mul_f32_e32 v112, v112, v113
	s_cbranch_execz .LBB43_14
	s_branch .LBB43_15
.LBB43_13:
                                        ; implicit-def: $vgpr112
.LBB43_14:
	ds_read_b32 v112, v90
.LBB43_15:
	buffer_load_dword v113, off, s[0:3], 0 offset:168
	v_mov_b32_e32 v114, 0
	ds_read2_b32 v[114:115], v114 offset0:41 offset1:86
	s_waitcnt vmcnt(0) lgkmcnt(0)
	v_fma_f32 v113, v113, v115, v112
	v_cndmask_b32_e64 v112, v112, v113, s[4:5]
	v_mul_f32_e32 v112, v112, v114
	buffer_store_dword v112, off, s[0:3], 0 offset:164
.LBB43_16:
	s_or_b64 exec, exec, s[10:11]
	buffer_load_dword v112, off, s[0:3], 0 offset:160
	v_cmp_lt_u32_e64 s[4:5], 40, v0
	s_waitcnt vmcnt(0)
	ds_write_b32 v90, v112
	s_waitcnt lgkmcnt(0)
	; wave barrier
	s_waitcnt lgkmcnt(0)
	s_and_saveexec_b64 s[10:11], s[4:5]
	s_cbranch_execz .LBB43_26
; %bb.17:
	s_andn2_b64 vcc, exec, s[8:9]
	s_cbranch_vccnz .LBB43_19
; %bb.18:
	buffer_load_dword v112, v91, s[0:3], 0 offen
	ds_read_b32 v113, v90
	s_waitcnt vmcnt(0) lgkmcnt(0)
	v_mul_f32_e32 v112, v112, v113
	s_cbranch_execz .LBB43_20
	s_branch .LBB43_21
.LBB43_19:
                                        ; implicit-def: $vgpr112
.LBB43_20:
	ds_read_b32 v112, v90
.LBB43_21:
	s_and_saveexec_b64 s[12:13], s[6:7]
	s_cbranch_execz .LBB43_25
; %bb.22:
	v_mov_b32_e32 v113, 0
	v_add_u32_e32 v113, 0xa4, v113
	v_subrev_u32_e32 v114, 41, v0
	s_movk_i32 s14, 0x154
	s_mov_b64 s[6:7], 0
.LBB43_23:                              ; =>This Inner Loop Header: Depth=1
	buffer_load_dword v115, v113, s[0:3], 0 offen
	v_mov_b32_e32 v116, s14
	ds_read_b32 v116, v116
	v_add_u32_e32 v114, -1, v114
	s_add_i32 s14, s14, 4
	v_cmp_eq_u32_e32 vcc, 0, v114
	v_add_u32_e32 v113, 4, v113
	s_or_b64 s[6:7], vcc, s[6:7]
	s_waitcnt vmcnt(0) lgkmcnt(0)
	v_fmac_f32_e32 v112, v115, v116
	s_andn2_b64 exec, exec, s[6:7]
	s_cbranch_execnz .LBB43_23
; %bb.24:
	s_or_b64 exec, exec, s[6:7]
.LBB43_25:
	s_or_b64 exec, exec, s[12:13]
	v_mov_b32_e32 v113, 0
	ds_read_b32 v113, v113 offset:160
	s_waitcnt lgkmcnt(0)
	v_mul_f32_e32 v112, v112, v113
	buffer_store_dword v112, off, s[0:3], 0 offset:160
.LBB43_26:
	s_or_b64 exec, exec, s[10:11]
	buffer_load_dword v112, off, s[0:3], 0 offset:156
	v_cmp_lt_u32_e64 s[6:7], 39, v0
	s_waitcnt vmcnt(0)
	ds_write_b32 v90, v112
	s_waitcnt lgkmcnt(0)
	; wave barrier
	s_waitcnt lgkmcnt(0)
	s_and_saveexec_b64 s[10:11], s[6:7]
	s_cbranch_execz .LBB43_36
; %bb.27:
	s_andn2_b64 vcc, exec, s[8:9]
	s_cbranch_vccnz .LBB43_29
; %bb.28:
	buffer_load_dword v112, v91, s[0:3], 0 offen
	ds_read_b32 v113, v90
	s_waitcnt vmcnt(0) lgkmcnt(0)
	v_mul_f32_e32 v112, v112, v113
	s_cbranch_execz .LBB43_30
	s_branch .LBB43_31
.LBB43_29:
                                        ; implicit-def: $vgpr112
.LBB43_30:
	ds_read_b32 v112, v90
.LBB43_31:
	s_and_saveexec_b64 s[12:13], s[4:5]
	s_cbranch_execz .LBB43_35
; %bb.32:
	v_subrev_u32_e32 v113, 40, v0
	s_movk_i32 s14, 0x150
	s_mov_b64 s[4:5], 0
.LBB43_33:                              ; =>This Inner Loop Header: Depth=1
	buffer_load_dword v114, v111, s[0:3], 0 offen
	v_mov_b32_e32 v115, s14
	ds_read_b32 v115, v115
	v_add_u32_e32 v113, -1, v113
	s_add_i32 s14, s14, 4
	v_cmp_eq_u32_e32 vcc, 0, v113
	v_add_u32_e32 v111, 4, v111
	s_or_b64 s[4:5], vcc, s[4:5]
	s_waitcnt vmcnt(0) lgkmcnt(0)
	v_fmac_f32_e32 v112, v114, v115
	s_andn2_b64 exec, exec, s[4:5]
	s_cbranch_execnz .LBB43_33
; %bb.34:
	s_or_b64 exec, exec, s[4:5]
.LBB43_35:
	s_or_b64 exec, exec, s[12:13]
	v_mov_b32_e32 v111, 0
	ds_read_b32 v111, v111 offset:156
	s_waitcnt lgkmcnt(0)
	v_mul_f32_e32 v111, v112, v111
	buffer_store_dword v111, off, s[0:3], 0 offset:156
.LBB43_36:
	s_or_b64 exec, exec, s[10:11]
	buffer_load_dword v111, off, s[0:3], 0 offset:152
	v_cmp_lt_u32_e64 s[4:5], 38, v0
	s_waitcnt vmcnt(0)
	ds_write_b32 v90, v111
	s_waitcnt lgkmcnt(0)
	; wave barrier
	s_waitcnt lgkmcnt(0)
	s_and_saveexec_b64 s[10:11], s[4:5]
	s_cbranch_execz .LBB43_46
; %bb.37:
	s_andn2_b64 vcc, exec, s[8:9]
	s_cbranch_vccnz .LBB43_39
; %bb.38:
	buffer_load_dword v111, v91, s[0:3], 0 offen
	ds_read_b32 v112, v90
	s_waitcnt vmcnt(0) lgkmcnt(0)
	v_mul_f32_e32 v111, v111, v112
	s_cbranch_execz .LBB43_40
	s_branch .LBB43_41
.LBB43_39:
                                        ; implicit-def: $vgpr111
.LBB43_40:
	ds_read_b32 v111, v90
.LBB43_41:
	s_and_saveexec_b64 s[12:13], s[6:7]
	s_cbranch_execz .LBB43_45
; %bb.42:
	v_mov_b32_e32 v112, 0
	v_add_u32_e32 v112, 0x9c, v112
	v_subrev_u32_e32 v113, 39, v0
	s_movk_i32 s14, 0x14c
	s_mov_b64 s[6:7], 0
.LBB43_43:                              ; =>This Inner Loop Header: Depth=1
	buffer_load_dword v114, v112, s[0:3], 0 offen
	v_mov_b32_e32 v115, s14
	ds_read_b32 v115, v115
	v_add_u32_e32 v113, -1, v113
	s_add_i32 s14, s14, 4
	v_cmp_eq_u32_e32 vcc, 0, v113
	v_add_u32_e32 v112, 4, v112
	s_or_b64 s[6:7], vcc, s[6:7]
	s_waitcnt vmcnt(0) lgkmcnt(0)
	v_fmac_f32_e32 v111, v114, v115
	s_andn2_b64 exec, exec, s[6:7]
	s_cbranch_execnz .LBB43_43
; %bb.44:
	s_or_b64 exec, exec, s[6:7]
.LBB43_45:
	s_or_b64 exec, exec, s[12:13]
	v_mov_b32_e32 v112, 0
	ds_read_b32 v112, v112 offset:152
	s_waitcnt lgkmcnt(0)
	v_mul_f32_e32 v111, v111, v112
	buffer_store_dword v111, off, s[0:3], 0 offset:152
.LBB43_46:
	s_or_b64 exec, exec, s[10:11]
	buffer_load_dword v111, off, s[0:3], 0 offset:148
	v_cmp_lt_u32_e64 s[6:7], 37, v0
	s_waitcnt vmcnt(0)
	ds_write_b32 v90, v111
	s_waitcnt lgkmcnt(0)
	; wave barrier
	s_waitcnt lgkmcnt(0)
	s_and_saveexec_b64 s[10:11], s[6:7]
	s_cbranch_execz .LBB43_56
; %bb.47:
	s_andn2_b64 vcc, exec, s[8:9]
	s_cbranch_vccnz .LBB43_49
; %bb.48:
	buffer_load_dword v111, v91, s[0:3], 0 offen
	ds_read_b32 v112, v90
	s_waitcnt vmcnt(0) lgkmcnt(0)
	v_mul_f32_e32 v111, v111, v112
	s_cbranch_execz .LBB43_50
	s_branch .LBB43_51
.LBB43_49:
                                        ; implicit-def: $vgpr111
.LBB43_50:
	ds_read_b32 v111, v90
.LBB43_51:
	s_and_saveexec_b64 s[12:13], s[4:5]
	s_cbranch_execz .LBB43_55
; %bb.52:
	v_subrev_u32_e32 v112, 38, v0
	s_movk_i32 s14, 0x148
	s_mov_b64 s[4:5], 0
.LBB43_53:                              ; =>This Inner Loop Header: Depth=1
	buffer_load_dword v113, v110, s[0:3], 0 offen
	v_mov_b32_e32 v114, s14
	ds_read_b32 v114, v114
	v_add_u32_e32 v112, -1, v112
	s_add_i32 s14, s14, 4
	v_cmp_eq_u32_e32 vcc, 0, v112
	v_add_u32_e32 v110, 4, v110
	s_or_b64 s[4:5], vcc, s[4:5]
	s_waitcnt vmcnt(0) lgkmcnt(0)
	v_fmac_f32_e32 v111, v113, v114
	s_andn2_b64 exec, exec, s[4:5]
	s_cbranch_execnz .LBB43_53
; %bb.54:
	s_or_b64 exec, exec, s[4:5]
.LBB43_55:
	s_or_b64 exec, exec, s[12:13]
	v_mov_b32_e32 v110, 0
	ds_read_b32 v110, v110 offset:148
	s_waitcnt lgkmcnt(0)
	v_mul_f32_e32 v110, v111, v110
	buffer_store_dword v110, off, s[0:3], 0 offset:148
.LBB43_56:
	s_or_b64 exec, exec, s[10:11]
	buffer_load_dword v110, off, s[0:3], 0 offset:144
	v_cmp_lt_u32_e64 s[4:5], 36, v0
	s_waitcnt vmcnt(0)
	ds_write_b32 v90, v110
	s_waitcnt lgkmcnt(0)
	; wave barrier
	s_waitcnt lgkmcnt(0)
	s_and_saveexec_b64 s[10:11], s[4:5]
	s_cbranch_execz .LBB43_66
; %bb.57:
	s_andn2_b64 vcc, exec, s[8:9]
	s_cbranch_vccnz .LBB43_59
; %bb.58:
	buffer_load_dword v110, v91, s[0:3], 0 offen
	ds_read_b32 v111, v90
	s_waitcnt vmcnt(0) lgkmcnt(0)
	v_mul_f32_e32 v110, v110, v111
	s_cbranch_execz .LBB43_60
	s_branch .LBB43_61
.LBB43_59:
                                        ; implicit-def: $vgpr110
.LBB43_60:
	ds_read_b32 v110, v90
.LBB43_61:
	s_and_saveexec_b64 s[12:13], s[6:7]
	s_cbranch_execz .LBB43_65
; %bb.62:
	v_mov_b32_e32 v111, 0
	v_add_u32_e32 v111, 0x94, v111
	v_subrev_u32_e32 v112, 37, v0
	s_movk_i32 s14, 0x144
	s_mov_b64 s[6:7], 0
.LBB43_63:                              ; =>This Inner Loop Header: Depth=1
	buffer_load_dword v113, v111, s[0:3], 0 offen
	v_mov_b32_e32 v114, s14
	ds_read_b32 v114, v114
	v_add_u32_e32 v112, -1, v112
	s_add_i32 s14, s14, 4
	v_cmp_eq_u32_e32 vcc, 0, v112
	v_add_u32_e32 v111, 4, v111
	s_or_b64 s[6:7], vcc, s[6:7]
	s_waitcnt vmcnt(0) lgkmcnt(0)
	v_fmac_f32_e32 v110, v113, v114
	s_andn2_b64 exec, exec, s[6:7]
	s_cbranch_execnz .LBB43_63
; %bb.64:
	s_or_b64 exec, exec, s[6:7]
.LBB43_65:
	s_or_b64 exec, exec, s[12:13]
	v_mov_b32_e32 v111, 0
	ds_read_b32 v111, v111 offset:144
	s_waitcnt lgkmcnt(0)
	v_mul_f32_e32 v110, v110, v111
	buffer_store_dword v110, off, s[0:3], 0 offset:144
.LBB43_66:
	s_or_b64 exec, exec, s[10:11]
	buffer_load_dword v110, off, s[0:3], 0 offset:140
	v_cmp_lt_u32_e64 s[6:7], 35, v0
	s_waitcnt vmcnt(0)
	ds_write_b32 v90, v110
	s_waitcnt lgkmcnt(0)
	; wave barrier
	s_waitcnt lgkmcnt(0)
	s_and_saveexec_b64 s[10:11], s[6:7]
	s_cbranch_execz .LBB43_76
; %bb.67:
	s_andn2_b64 vcc, exec, s[8:9]
	s_cbranch_vccnz .LBB43_69
; %bb.68:
	buffer_load_dword v110, v91, s[0:3], 0 offen
	ds_read_b32 v111, v90
	s_waitcnt vmcnt(0) lgkmcnt(0)
	v_mul_f32_e32 v110, v110, v111
	s_cbranch_execz .LBB43_70
	s_branch .LBB43_71
.LBB43_69:
                                        ; implicit-def: $vgpr110
.LBB43_70:
	ds_read_b32 v110, v90
.LBB43_71:
	s_and_saveexec_b64 s[12:13], s[4:5]
	s_cbranch_execz .LBB43_75
; %bb.72:
	v_subrev_u32_e32 v111, 36, v0
	s_movk_i32 s14, 0x140
	s_mov_b64 s[4:5], 0
.LBB43_73:                              ; =>This Inner Loop Header: Depth=1
	buffer_load_dword v112, v109, s[0:3], 0 offen
	v_mov_b32_e32 v113, s14
	ds_read_b32 v113, v113
	v_add_u32_e32 v111, -1, v111
	s_add_i32 s14, s14, 4
	v_cmp_eq_u32_e32 vcc, 0, v111
	v_add_u32_e32 v109, 4, v109
	s_or_b64 s[4:5], vcc, s[4:5]
	s_waitcnt vmcnt(0) lgkmcnt(0)
	v_fmac_f32_e32 v110, v112, v113
	s_andn2_b64 exec, exec, s[4:5]
	s_cbranch_execnz .LBB43_73
; %bb.74:
	s_or_b64 exec, exec, s[4:5]
.LBB43_75:
	s_or_b64 exec, exec, s[12:13]
	v_mov_b32_e32 v109, 0
	ds_read_b32 v109, v109 offset:140
	s_waitcnt lgkmcnt(0)
	v_mul_f32_e32 v109, v110, v109
	buffer_store_dword v109, off, s[0:3], 0 offset:140
.LBB43_76:
	s_or_b64 exec, exec, s[10:11]
	buffer_load_dword v109, off, s[0:3], 0 offset:136
	v_cmp_lt_u32_e64 s[4:5], 34, v0
	s_waitcnt vmcnt(0)
	ds_write_b32 v90, v109
	s_waitcnt lgkmcnt(0)
	; wave barrier
	s_waitcnt lgkmcnt(0)
	s_and_saveexec_b64 s[10:11], s[4:5]
	s_cbranch_execz .LBB43_86
; %bb.77:
	s_andn2_b64 vcc, exec, s[8:9]
	s_cbranch_vccnz .LBB43_79
; %bb.78:
	buffer_load_dword v109, v91, s[0:3], 0 offen
	ds_read_b32 v110, v90
	s_waitcnt vmcnt(0) lgkmcnt(0)
	v_mul_f32_e32 v109, v109, v110
	s_cbranch_execz .LBB43_80
	s_branch .LBB43_81
.LBB43_79:
                                        ; implicit-def: $vgpr109
.LBB43_80:
	ds_read_b32 v109, v90
.LBB43_81:
	s_and_saveexec_b64 s[12:13], s[6:7]
	s_cbranch_execz .LBB43_85
; %bb.82:
	v_mov_b32_e32 v110, 0
	v_add_u32_e32 v110, 0x8c, v110
	v_subrev_u32_e32 v111, 35, v0
	s_movk_i32 s14, 0x13c
	s_mov_b64 s[6:7], 0
.LBB43_83:                              ; =>This Inner Loop Header: Depth=1
	buffer_load_dword v112, v110, s[0:3], 0 offen
	v_mov_b32_e32 v113, s14
	ds_read_b32 v113, v113
	v_add_u32_e32 v111, -1, v111
	s_add_i32 s14, s14, 4
	v_cmp_eq_u32_e32 vcc, 0, v111
	v_add_u32_e32 v110, 4, v110
	s_or_b64 s[6:7], vcc, s[6:7]
	s_waitcnt vmcnt(0) lgkmcnt(0)
	v_fmac_f32_e32 v109, v112, v113
	s_andn2_b64 exec, exec, s[6:7]
	s_cbranch_execnz .LBB43_83
; %bb.84:
	s_or_b64 exec, exec, s[6:7]
.LBB43_85:
	s_or_b64 exec, exec, s[12:13]
	v_mov_b32_e32 v110, 0
	ds_read_b32 v110, v110 offset:136
	s_waitcnt lgkmcnt(0)
	v_mul_f32_e32 v109, v109, v110
	buffer_store_dword v109, off, s[0:3], 0 offset:136
.LBB43_86:
	s_or_b64 exec, exec, s[10:11]
	buffer_load_dword v109, off, s[0:3], 0 offset:132
	v_cmp_lt_u32_e64 s[6:7], 33, v0
	s_waitcnt vmcnt(0)
	ds_write_b32 v90, v109
	s_waitcnt lgkmcnt(0)
	; wave barrier
	s_waitcnt lgkmcnt(0)
	s_and_saveexec_b64 s[10:11], s[6:7]
	s_cbranch_execz .LBB43_96
; %bb.87:
	s_andn2_b64 vcc, exec, s[8:9]
	s_cbranch_vccnz .LBB43_89
; %bb.88:
	buffer_load_dword v109, v91, s[0:3], 0 offen
	ds_read_b32 v110, v90
	s_waitcnt vmcnt(0) lgkmcnt(0)
	v_mul_f32_e32 v109, v109, v110
	s_cbranch_execz .LBB43_90
	s_branch .LBB43_91
.LBB43_89:
                                        ; implicit-def: $vgpr109
.LBB43_90:
	ds_read_b32 v109, v90
.LBB43_91:
	s_and_saveexec_b64 s[12:13], s[4:5]
	s_cbranch_execz .LBB43_95
; %bb.92:
	v_subrev_u32_e32 v110, 34, v0
	s_movk_i32 s14, 0x138
	s_mov_b64 s[4:5], 0
.LBB43_93:                              ; =>This Inner Loop Header: Depth=1
	buffer_load_dword v111, v108, s[0:3], 0 offen
	v_mov_b32_e32 v112, s14
	ds_read_b32 v112, v112
	v_add_u32_e32 v110, -1, v110
	s_add_i32 s14, s14, 4
	v_cmp_eq_u32_e32 vcc, 0, v110
	v_add_u32_e32 v108, 4, v108
	s_or_b64 s[4:5], vcc, s[4:5]
	s_waitcnt vmcnt(0) lgkmcnt(0)
	v_fmac_f32_e32 v109, v111, v112
	s_andn2_b64 exec, exec, s[4:5]
	s_cbranch_execnz .LBB43_93
; %bb.94:
	s_or_b64 exec, exec, s[4:5]
.LBB43_95:
	s_or_b64 exec, exec, s[12:13]
	v_mov_b32_e32 v108, 0
	ds_read_b32 v108, v108 offset:132
	s_waitcnt lgkmcnt(0)
	v_mul_f32_e32 v108, v109, v108
	buffer_store_dword v108, off, s[0:3], 0 offset:132
.LBB43_96:
	s_or_b64 exec, exec, s[10:11]
	buffer_load_dword v108, off, s[0:3], 0 offset:128
	v_cmp_lt_u32_e64 s[4:5], 32, v0
	s_waitcnt vmcnt(0)
	ds_write_b32 v90, v108
	s_waitcnt lgkmcnt(0)
	; wave barrier
	s_waitcnt lgkmcnt(0)
	s_and_saveexec_b64 s[10:11], s[4:5]
	s_cbranch_execz .LBB43_106
; %bb.97:
	s_andn2_b64 vcc, exec, s[8:9]
	s_cbranch_vccnz .LBB43_99
; %bb.98:
	buffer_load_dword v108, v91, s[0:3], 0 offen
	ds_read_b32 v109, v90
	s_waitcnt vmcnt(0) lgkmcnt(0)
	v_mul_f32_e32 v108, v108, v109
	s_cbranch_execz .LBB43_100
	s_branch .LBB43_101
.LBB43_99:
                                        ; implicit-def: $vgpr108
.LBB43_100:
	ds_read_b32 v108, v90
.LBB43_101:
	s_and_saveexec_b64 s[12:13], s[6:7]
	s_cbranch_execz .LBB43_105
; %bb.102:
	v_mov_b32_e32 v109, 0
	v_add_u32_e32 v109, 0x84, v109
	v_subrev_u32_e32 v110, 33, v0
	s_movk_i32 s14, 0x134
	s_mov_b64 s[6:7], 0
.LBB43_103:                             ; =>This Inner Loop Header: Depth=1
	buffer_load_dword v111, v109, s[0:3], 0 offen
	v_mov_b32_e32 v112, s14
	ds_read_b32 v112, v112
	v_add_u32_e32 v110, -1, v110
	s_add_i32 s14, s14, 4
	v_cmp_eq_u32_e32 vcc, 0, v110
	v_add_u32_e32 v109, 4, v109
	s_or_b64 s[6:7], vcc, s[6:7]
	s_waitcnt vmcnt(0) lgkmcnt(0)
	v_fmac_f32_e32 v108, v111, v112
	s_andn2_b64 exec, exec, s[6:7]
	s_cbranch_execnz .LBB43_103
; %bb.104:
	s_or_b64 exec, exec, s[6:7]
.LBB43_105:
	s_or_b64 exec, exec, s[12:13]
	v_mov_b32_e32 v109, 0
	ds_read_b32 v109, v109 offset:128
	s_waitcnt lgkmcnt(0)
	v_mul_f32_e32 v108, v108, v109
	buffer_store_dword v108, off, s[0:3], 0 offset:128
.LBB43_106:
	s_or_b64 exec, exec, s[10:11]
	buffer_load_dword v108, off, s[0:3], 0 offset:124
	v_cmp_lt_u32_e64 s[6:7], 31, v0
	s_waitcnt vmcnt(0)
	ds_write_b32 v90, v108
	s_waitcnt lgkmcnt(0)
	; wave barrier
	s_waitcnt lgkmcnt(0)
	s_and_saveexec_b64 s[10:11], s[6:7]
	s_cbranch_execz .LBB43_116
; %bb.107:
	s_andn2_b64 vcc, exec, s[8:9]
	s_cbranch_vccnz .LBB43_109
; %bb.108:
	buffer_load_dword v108, v91, s[0:3], 0 offen
	ds_read_b32 v109, v90
	s_waitcnt vmcnt(0) lgkmcnt(0)
	v_mul_f32_e32 v108, v108, v109
	s_cbranch_execz .LBB43_110
	s_branch .LBB43_111
.LBB43_109:
                                        ; implicit-def: $vgpr108
.LBB43_110:
	ds_read_b32 v108, v90
.LBB43_111:
	s_and_saveexec_b64 s[12:13], s[4:5]
	s_cbranch_execz .LBB43_115
; %bb.112:
	v_subrev_u32_e32 v109, 32, v0
	s_movk_i32 s14, 0x130
	s_mov_b64 s[4:5], 0
.LBB43_113:                             ; =>This Inner Loop Header: Depth=1
	buffer_load_dword v110, v107, s[0:3], 0 offen
	v_mov_b32_e32 v111, s14
	ds_read_b32 v111, v111
	v_add_u32_e32 v109, -1, v109
	s_add_i32 s14, s14, 4
	v_cmp_eq_u32_e32 vcc, 0, v109
	v_add_u32_e32 v107, 4, v107
	s_or_b64 s[4:5], vcc, s[4:5]
	s_waitcnt vmcnt(0) lgkmcnt(0)
	v_fmac_f32_e32 v108, v110, v111
	s_andn2_b64 exec, exec, s[4:5]
	s_cbranch_execnz .LBB43_113
; %bb.114:
	s_or_b64 exec, exec, s[4:5]
.LBB43_115:
	s_or_b64 exec, exec, s[12:13]
	v_mov_b32_e32 v107, 0
	ds_read_b32 v107, v107 offset:124
	s_waitcnt lgkmcnt(0)
	v_mul_f32_e32 v107, v108, v107
	buffer_store_dword v107, off, s[0:3], 0 offset:124
.LBB43_116:
	s_or_b64 exec, exec, s[10:11]
	buffer_load_dword v107, off, s[0:3], 0 offset:120
	v_cmp_lt_u32_e64 s[4:5], 30, v0
	s_waitcnt vmcnt(0)
	ds_write_b32 v90, v107
	s_waitcnt lgkmcnt(0)
	; wave barrier
	s_waitcnt lgkmcnt(0)
	s_and_saveexec_b64 s[10:11], s[4:5]
	s_cbranch_execz .LBB43_126
; %bb.117:
	s_andn2_b64 vcc, exec, s[8:9]
	s_cbranch_vccnz .LBB43_119
; %bb.118:
	buffer_load_dword v107, v91, s[0:3], 0 offen
	ds_read_b32 v108, v90
	s_waitcnt vmcnt(0) lgkmcnt(0)
	v_mul_f32_e32 v107, v107, v108
	s_cbranch_execz .LBB43_120
	s_branch .LBB43_121
.LBB43_119:
                                        ; implicit-def: $vgpr107
.LBB43_120:
	ds_read_b32 v107, v90
.LBB43_121:
	s_and_saveexec_b64 s[12:13], s[6:7]
	s_cbranch_execz .LBB43_125
; %bb.122:
	v_mov_b32_e32 v108, 0
	v_add_u32_e32 v108, 0x7c, v108
	v_subrev_u32_e32 v109, 31, v0
	s_movk_i32 s14, 0x12c
	s_mov_b64 s[6:7], 0
.LBB43_123:                             ; =>This Inner Loop Header: Depth=1
	buffer_load_dword v110, v108, s[0:3], 0 offen
	v_mov_b32_e32 v111, s14
	ds_read_b32 v111, v111
	v_add_u32_e32 v109, -1, v109
	s_add_i32 s14, s14, 4
	v_cmp_eq_u32_e32 vcc, 0, v109
	v_add_u32_e32 v108, 4, v108
	s_or_b64 s[6:7], vcc, s[6:7]
	s_waitcnt vmcnt(0) lgkmcnt(0)
	v_fmac_f32_e32 v107, v110, v111
	s_andn2_b64 exec, exec, s[6:7]
	s_cbranch_execnz .LBB43_123
; %bb.124:
	s_or_b64 exec, exec, s[6:7]
.LBB43_125:
	s_or_b64 exec, exec, s[12:13]
	v_mov_b32_e32 v108, 0
	ds_read_b32 v108, v108 offset:120
	s_waitcnt lgkmcnt(0)
	v_mul_f32_e32 v107, v107, v108
	buffer_store_dword v107, off, s[0:3], 0 offset:120
.LBB43_126:
	s_or_b64 exec, exec, s[10:11]
	buffer_load_dword v107, off, s[0:3], 0 offset:116
	v_cmp_lt_u32_e64 s[6:7], 29, v0
	s_waitcnt vmcnt(0)
	ds_write_b32 v90, v107
	s_waitcnt lgkmcnt(0)
	; wave barrier
	s_waitcnt lgkmcnt(0)
	s_and_saveexec_b64 s[10:11], s[6:7]
	s_cbranch_execz .LBB43_136
; %bb.127:
	s_andn2_b64 vcc, exec, s[8:9]
	s_cbranch_vccnz .LBB43_129
; %bb.128:
	buffer_load_dword v107, v91, s[0:3], 0 offen
	ds_read_b32 v108, v90
	s_waitcnt vmcnt(0) lgkmcnt(0)
	v_mul_f32_e32 v107, v107, v108
	s_cbranch_execz .LBB43_130
	s_branch .LBB43_131
.LBB43_129:
                                        ; implicit-def: $vgpr107
.LBB43_130:
	ds_read_b32 v107, v90
.LBB43_131:
	s_and_saveexec_b64 s[12:13], s[4:5]
	s_cbranch_execz .LBB43_135
; %bb.132:
	v_subrev_u32_e32 v108, 30, v0
	s_movk_i32 s14, 0x128
	s_mov_b64 s[4:5], 0
.LBB43_133:                             ; =>This Inner Loop Header: Depth=1
	buffer_load_dword v109, v106, s[0:3], 0 offen
	v_mov_b32_e32 v110, s14
	ds_read_b32 v110, v110
	v_add_u32_e32 v108, -1, v108
	s_add_i32 s14, s14, 4
	v_cmp_eq_u32_e32 vcc, 0, v108
	v_add_u32_e32 v106, 4, v106
	s_or_b64 s[4:5], vcc, s[4:5]
	s_waitcnt vmcnt(0) lgkmcnt(0)
	v_fmac_f32_e32 v107, v109, v110
	s_andn2_b64 exec, exec, s[4:5]
	s_cbranch_execnz .LBB43_133
; %bb.134:
	s_or_b64 exec, exec, s[4:5]
.LBB43_135:
	s_or_b64 exec, exec, s[12:13]
	v_mov_b32_e32 v106, 0
	ds_read_b32 v106, v106 offset:116
	s_waitcnt lgkmcnt(0)
	v_mul_f32_e32 v106, v107, v106
	buffer_store_dword v106, off, s[0:3], 0 offset:116
.LBB43_136:
	s_or_b64 exec, exec, s[10:11]
	buffer_load_dword v106, off, s[0:3], 0 offset:112
	v_cmp_lt_u32_e64 s[4:5], 28, v0
	s_waitcnt vmcnt(0)
	ds_write_b32 v90, v106
	s_waitcnt lgkmcnt(0)
	; wave barrier
	s_waitcnt lgkmcnt(0)
	s_and_saveexec_b64 s[10:11], s[4:5]
	s_cbranch_execz .LBB43_146
; %bb.137:
	s_andn2_b64 vcc, exec, s[8:9]
	s_cbranch_vccnz .LBB43_139
; %bb.138:
	buffer_load_dword v106, v91, s[0:3], 0 offen
	ds_read_b32 v107, v90
	s_waitcnt vmcnt(0) lgkmcnt(0)
	v_mul_f32_e32 v106, v106, v107
	s_cbranch_execz .LBB43_140
	s_branch .LBB43_141
.LBB43_139:
                                        ; implicit-def: $vgpr106
.LBB43_140:
	ds_read_b32 v106, v90
.LBB43_141:
	s_and_saveexec_b64 s[12:13], s[6:7]
	s_cbranch_execz .LBB43_145
; %bb.142:
	v_mov_b32_e32 v107, 0
	v_add_u32_e32 v107, 0x74, v107
	v_subrev_u32_e32 v108, 29, v0
	s_movk_i32 s14, 0x124
	s_mov_b64 s[6:7], 0
.LBB43_143:                             ; =>This Inner Loop Header: Depth=1
	buffer_load_dword v109, v107, s[0:3], 0 offen
	v_mov_b32_e32 v110, s14
	ds_read_b32 v110, v110
	v_add_u32_e32 v108, -1, v108
	s_add_i32 s14, s14, 4
	v_cmp_eq_u32_e32 vcc, 0, v108
	v_add_u32_e32 v107, 4, v107
	s_or_b64 s[6:7], vcc, s[6:7]
	s_waitcnt vmcnt(0) lgkmcnt(0)
	v_fmac_f32_e32 v106, v109, v110
	s_andn2_b64 exec, exec, s[6:7]
	s_cbranch_execnz .LBB43_143
; %bb.144:
	s_or_b64 exec, exec, s[6:7]
.LBB43_145:
	s_or_b64 exec, exec, s[12:13]
	v_mov_b32_e32 v107, 0
	ds_read_b32 v107, v107 offset:112
	s_waitcnt lgkmcnt(0)
	v_mul_f32_e32 v106, v106, v107
	buffer_store_dword v106, off, s[0:3], 0 offset:112
.LBB43_146:
	s_or_b64 exec, exec, s[10:11]
	buffer_load_dword v106, off, s[0:3], 0 offset:108
	v_cmp_lt_u32_e64 s[6:7], 27, v0
	s_waitcnt vmcnt(0)
	ds_write_b32 v90, v106
	s_waitcnt lgkmcnt(0)
	; wave barrier
	s_waitcnt lgkmcnt(0)
	s_and_saveexec_b64 s[10:11], s[6:7]
	s_cbranch_execz .LBB43_156
; %bb.147:
	s_andn2_b64 vcc, exec, s[8:9]
	s_cbranch_vccnz .LBB43_149
; %bb.148:
	buffer_load_dword v106, v91, s[0:3], 0 offen
	ds_read_b32 v107, v90
	s_waitcnt vmcnt(0) lgkmcnt(0)
	v_mul_f32_e32 v106, v106, v107
	s_cbranch_execz .LBB43_150
	s_branch .LBB43_151
.LBB43_149:
                                        ; implicit-def: $vgpr106
.LBB43_150:
	ds_read_b32 v106, v90
.LBB43_151:
	s_and_saveexec_b64 s[12:13], s[4:5]
	s_cbranch_execz .LBB43_155
; %bb.152:
	v_subrev_u32_e32 v107, 28, v0
	s_movk_i32 s14, 0x120
	s_mov_b64 s[4:5], 0
.LBB43_153:                             ; =>This Inner Loop Header: Depth=1
	buffer_load_dword v108, v105, s[0:3], 0 offen
	v_mov_b32_e32 v109, s14
	ds_read_b32 v109, v109
	v_add_u32_e32 v107, -1, v107
	s_add_i32 s14, s14, 4
	v_cmp_eq_u32_e32 vcc, 0, v107
	v_add_u32_e32 v105, 4, v105
	s_or_b64 s[4:5], vcc, s[4:5]
	s_waitcnt vmcnt(0) lgkmcnt(0)
	v_fmac_f32_e32 v106, v108, v109
	s_andn2_b64 exec, exec, s[4:5]
	s_cbranch_execnz .LBB43_153
; %bb.154:
	s_or_b64 exec, exec, s[4:5]
.LBB43_155:
	s_or_b64 exec, exec, s[12:13]
	v_mov_b32_e32 v105, 0
	ds_read_b32 v105, v105 offset:108
	s_waitcnt lgkmcnt(0)
	v_mul_f32_e32 v105, v106, v105
	buffer_store_dword v105, off, s[0:3], 0 offset:108
.LBB43_156:
	s_or_b64 exec, exec, s[10:11]
	buffer_load_dword v105, off, s[0:3], 0 offset:104
	v_cmp_lt_u32_e64 s[4:5], 26, v0
	s_waitcnt vmcnt(0)
	ds_write_b32 v90, v105
	s_waitcnt lgkmcnt(0)
	; wave barrier
	s_waitcnt lgkmcnt(0)
	s_and_saveexec_b64 s[10:11], s[4:5]
	s_cbranch_execz .LBB43_166
; %bb.157:
	s_andn2_b64 vcc, exec, s[8:9]
	s_cbranch_vccnz .LBB43_159
; %bb.158:
	buffer_load_dword v105, v91, s[0:3], 0 offen
	ds_read_b32 v106, v90
	s_waitcnt vmcnt(0) lgkmcnt(0)
	v_mul_f32_e32 v105, v105, v106
	s_cbranch_execz .LBB43_160
	s_branch .LBB43_161
.LBB43_159:
                                        ; implicit-def: $vgpr105
.LBB43_160:
	ds_read_b32 v105, v90
.LBB43_161:
	s_and_saveexec_b64 s[12:13], s[6:7]
	s_cbranch_execz .LBB43_165
; %bb.162:
	v_mov_b32_e32 v106, 0
	v_add_u32_e32 v106, 0x6c, v106
	v_subrev_u32_e32 v107, 27, v0
	s_movk_i32 s14, 0x11c
	s_mov_b64 s[6:7], 0
.LBB43_163:                             ; =>This Inner Loop Header: Depth=1
	buffer_load_dword v108, v106, s[0:3], 0 offen
	v_mov_b32_e32 v109, s14
	ds_read_b32 v109, v109
	v_add_u32_e32 v107, -1, v107
	s_add_i32 s14, s14, 4
	v_cmp_eq_u32_e32 vcc, 0, v107
	v_add_u32_e32 v106, 4, v106
	s_or_b64 s[6:7], vcc, s[6:7]
	s_waitcnt vmcnt(0) lgkmcnt(0)
	v_fmac_f32_e32 v105, v108, v109
	s_andn2_b64 exec, exec, s[6:7]
	s_cbranch_execnz .LBB43_163
; %bb.164:
	s_or_b64 exec, exec, s[6:7]
.LBB43_165:
	s_or_b64 exec, exec, s[12:13]
	v_mov_b32_e32 v106, 0
	ds_read_b32 v106, v106 offset:104
	s_waitcnt lgkmcnt(0)
	v_mul_f32_e32 v105, v105, v106
	buffer_store_dword v105, off, s[0:3], 0 offset:104
.LBB43_166:
	s_or_b64 exec, exec, s[10:11]
	buffer_load_dword v105, off, s[0:3], 0 offset:100
	v_cmp_lt_u32_e64 s[6:7], 25, v0
	s_waitcnt vmcnt(0)
	ds_write_b32 v90, v105
	s_waitcnt lgkmcnt(0)
	; wave barrier
	s_waitcnt lgkmcnt(0)
	s_and_saveexec_b64 s[10:11], s[6:7]
	s_cbranch_execz .LBB43_176
; %bb.167:
	s_andn2_b64 vcc, exec, s[8:9]
	s_cbranch_vccnz .LBB43_169
; %bb.168:
	buffer_load_dword v105, v91, s[0:3], 0 offen
	ds_read_b32 v106, v90
	s_waitcnt vmcnt(0) lgkmcnt(0)
	v_mul_f32_e32 v105, v105, v106
	s_cbranch_execz .LBB43_170
	s_branch .LBB43_171
.LBB43_169:
                                        ; implicit-def: $vgpr105
.LBB43_170:
	ds_read_b32 v105, v90
.LBB43_171:
	s_and_saveexec_b64 s[12:13], s[4:5]
	s_cbranch_execz .LBB43_175
; %bb.172:
	v_subrev_u32_e32 v106, 26, v0
	s_movk_i32 s14, 0x118
	s_mov_b64 s[4:5], 0
.LBB43_173:                             ; =>This Inner Loop Header: Depth=1
	buffer_load_dword v107, v104, s[0:3], 0 offen
	v_mov_b32_e32 v108, s14
	ds_read_b32 v108, v108
	v_add_u32_e32 v106, -1, v106
	s_add_i32 s14, s14, 4
	v_cmp_eq_u32_e32 vcc, 0, v106
	v_add_u32_e32 v104, 4, v104
	s_or_b64 s[4:5], vcc, s[4:5]
	s_waitcnt vmcnt(0) lgkmcnt(0)
	v_fmac_f32_e32 v105, v107, v108
	s_andn2_b64 exec, exec, s[4:5]
	s_cbranch_execnz .LBB43_173
; %bb.174:
	s_or_b64 exec, exec, s[4:5]
.LBB43_175:
	s_or_b64 exec, exec, s[12:13]
	v_mov_b32_e32 v104, 0
	ds_read_b32 v104, v104 offset:100
	s_waitcnt lgkmcnt(0)
	v_mul_f32_e32 v104, v105, v104
	buffer_store_dword v104, off, s[0:3], 0 offset:100
.LBB43_176:
	s_or_b64 exec, exec, s[10:11]
	buffer_load_dword v104, off, s[0:3], 0 offset:96
	v_cmp_lt_u32_e64 s[4:5], 24, v0
	s_waitcnt vmcnt(0)
	ds_write_b32 v90, v104
	s_waitcnt lgkmcnt(0)
	; wave barrier
	s_waitcnt lgkmcnt(0)
	s_and_saveexec_b64 s[10:11], s[4:5]
	s_cbranch_execz .LBB43_186
; %bb.177:
	s_andn2_b64 vcc, exec, s[8:9]
	s_cbranch_vccnz .LBB43_179
; %bb.178:
	buffer_load_dword v104, v91, s[0:3], 0 offen
	ds_read_b32 v105, v90
	s_waitcnt vmcnt(0) lgkmcnt(0)
	v_mul_f32_e32 v104, v104, v105
	s_cbranch_execz .LBB43_180
	s_branch .LBB43_181
.LBB43_179:
                                        ; implicit-def: $vgpr104
.LBB43_180:
	ds_read_b32 v104, v90
.LBB43_181:
	s_and_saveexec_b64 s[12:13], s[6:7]
	s_cbranch_execz .LBB43_185
; %bb.182:
	v_mov_b32_e32 v105, 0
	v_add_u32_e32 v105, 0x64, v105
	v_subrev_u32_e32 v106, 25, v0
	s_movk_i32 s14, 0x114
	s_mov_b64 s[6:7], 0
.LBB43_183:                             ; =>This Inner Loop Header: Depth=1
	buffer_load_dword v107, v105, s[0:3], 0 offen
	v_mov_b32_e32 v108, s14
	ds_read_b32 v108, v108
	v_add_u32_e32 v106, -1, v106
	s_add_i32 s14, s14, 4
	v_cmp_eq_u32_e32 vcc, 0, v106
	v_add_u32_e32 v105, 4, v105
	s_or_b64 s[6:7], vcc, s[6:7]
	s_waitcnt vmcnt(0) lgkmcnt(0)
	v_fmac_f32_e32 v104, v107, v108
	s_andn2_b64 exec, exec, s[6:7]
	s_cbranch_execnz .LBB43_183
; %bb.184:
	s_or_b64 exec, exec, s[6:7]
.LBB43_185:
	s_or_b64 exec, exec, s[12:13]
	v_mov_b32_e32 v105, 0
	ds_read_b32 v105, v105 offset:96
	s_waitcnt lgkmcnt(0)
	v_mul_f32_e32 v104, v104, v105
	buffer_store_dword v104, off, s[0:3], 0 offset:96
.LBB43_186:
	s_or_b64 exec, exec, s[10:11]
	buffer_load_dword v104, off, s[0:3], 0 offset:92
	v_cmp_lt_u32_e64 s[6:7], 23, v0
	s_waitcnt vmcnt(0)
	ds_write_b32 v90, v104
	s_waitcnt lgkmcnt(0)
	; wave barrier
	s_waitcnt lgkmcnt(0)
	s_and_saveexec_b64 s[10:11], s[6:7]
	s_cbranch_execz .LBB43_196
; %bb.187:
	s_andn2_b64 vcc, exec, s[8:9]
	s_cbranch_vccnz .LBB43_189
; %bb.188:
	buffer_load_dword v104, v91, s[0:3], 0 offen
	ds_read_b32 v105, v90
	s_waitcnt vmcnt(0) lgkmcnt(0)
	v_mul_f32_e32 v104, v104, v105
	s_cbranch_execz .LBB43_190
	s_branch .LBB43_191
.LBB43_189:
                                        ; implicit-def: $vgpr104
.LBB43_190:
	ds_read_b32 v104, v90
.LBB43_191:
	s_and_saveexec_b64 s[12:13], s[4:5]
	s_cbranch_execz .LBB43_195
; %bb.192:
	v_subrev_u32_e32 v105, 24, v0
	s_movk_i32 s14, 0x110
	s_mov_b64 s[4:5], 0
.LBB43_193:                             ; =>This Inner Loop Header: Depth=1
	buffer_load_dword v106, v103, s[0:3], 0 offen
	v_mov_b32_e32 v107, s14
	ds_read_b32 v107, v107
	v_add_u32_e32 v105, -1, v105
	s_add_i32 s14, s14, 4
	v_cmp_eq_u32_e32 vcc, 0, v105
	v_add_u32_e32 v103, 4, v103
	s_or_b64 s[4:5], vcc, s[4:5]
	s_waitcnt vmcnt(0) lgkmcnt(0)
	v_fmac_f32_e32 v104, v106, v107
	s_andn2_b64 exec, exec, s[4:5]
	s_cbranch_execnz .LBB43_193
; %bb.194:
	s_or_b64 exec, exec, s[4:5]
.LBB43_195:
	s_or_b64 exec, exec, s[12:13]
	v_mov_b32_e32 v103, 0
	ds_read_b32 v103, v103 offset:92
	s_waitcnt lgkmcnt(0)
	v_mul_f32_e32 v103, v104, v103
	buffer_store_dword v103, off, s[0:3], 0 offset:92
.LBB43_196:
	s_or_b64 exec, exec, s[10:11]
	buffer_load_dword v103, off, s[0:3], 0 offset:88
	v_cmp_lt_u32_e64 s[4:5], 22, v0
	s_waitcnt vmcnt(0)
	ds_write_b32 v90, v103
	s_waitcnt lgkmcnt(0)
	; wave barrier
	s_waitcnt lgkmcnt(0)
	s_and_saveexec_b64 s[10:11], s[4:5]
	s_cbranch_execz .LBB43_206
; %bb.197:
	s_andn2_b64 vcc, exec, s[8:9]
	s_cbranch_vccnz .LBB43_199
; %bb.198:
	buffer_load_dword v103, v91, s[0:3], 0 offen
	ds_read_b32 v104, v90
	s_waitcnt vmcnt(0) lgkmcnt(0)
	v_mul_f32_e32 v103, v103, v104
	s_cbranch_execz .LBB43_200
	s_branch .LBB43_201
.LBB43_199:
                                        ; implicit-def: $vgpr103
.LBB43_200:
	ds_read_b32 v103, v90
.LBB43_201:
	s_and_saveexec_b64 s[12:13], s[6:7]
	s_cbranch_execz .LBB43_205
; %bb.202:
	v_mov_b32_e32 v104, 0
	v_add_u32_e32 v104, 0x5c, v104
	v_subrev_u32_e32 v105, 23, v0
	s_movk_i32 s14, 0x10c
	s_mov_b64 s[6:7], 0
.LBB43_203:                             ; =>This Inner Loop Header: Depth=1
	buffer_load_dword v106, v104, s[0:3], 0 offen
	v_mov_b32_e32 v107, s14
	ds_read_b32 v107, v107
	v_add_u32_e32 v105, -1, v105
	s_add_i32 s14, s14, 4
	v_cmp_eq_u32_e32 vcc, 0, v105
	v_add_u32_e32 v104, 4, v104
	s_or_b64 s[6:7], vcc, s[6:7]
	s_waitcnt vmcnt(0) lgkmcnt(0)
	v_fmac_f32_e32 v103, v106, v107
	s_andn2_b64 exec, exec, s[6:7]
	s_cbranch_execnz .LBB43_203
; %bb.204:
	s_or_b64 exec, exec, s[6:7]
.LBB43_205:
	s_or_b64 exec, exec, s[12:13]
	v_mov_b32_e32 v104, 0
	ds_read_b32 v104, v104 offset:88
	s_waitcnt lgkmcnt(0)
	v_mul_f32_e32 v103, v103, v104
	buffer_store_dword v103, off, s[0:3], 0 offset:88
.LBB43_206:
	s_or_b64 exec, exec, s[10:11]
	buffer_load_dword v103, off, s[0:3], 0 offset:84
	v_cmp_lt_u32_e64 s[6:7], 21, v0
	s_waitcnt vmcnt(0)
	ds_write_b32 v90, v103
	s_waitcnt lgkmcnt(0)
	; wave barrier
	s_waitcnt lgkmcnt(0)
	s_and_saveexec_b64 s[10:11], s[6:7]
	s_cbranch_execz .LBB43_216
; %bb.207:
	s_andn2_b64 vcc, exec, s[8:9]
	s_cbranch_vccnz .LBB43_209
; %bb.208:
	buffer_load_dword v103, v91, s[0:3], 0 offen
	ds_read_b32 v104, v90
	s_waitcnt vmcnt(0) lgkmcnt(0)
	v_mul_f32_e32 v103, v103, v104
	s_cbranch_execz .LBB43_210
	s_branch .LBB43_211
.LBB43_209:
                                        ; implicit-def: $vgpr103
.LBB43_210:
	ds_read_b32 v103, v90
.LBB43_211:
	s_and_saveexec_b64 s[12:13], s[4:5]
	s_cbranch_execz .LBB43_215
; %bb.212:
	v_subrev_u32_e32 v104, 22, v0
	s_movk_i32 s14, 0x108
	s_mov_b64 s[4:5], 0
.LBB43_213:                             ; =>This Inner Loop Header: Depth=1
	buffer_load_dword v105, v102, s[0:3], 0 offen
	v_mov_b32_e32 v106, s14
	ds_read_b32 v106, v106
	v_add_u32_e32 v104, -1, v104
	s_add_i32 s14, s14, 4
	v_cmp_eq_u32_e32 vcc, 0, v104
	v_add_u32_e32 v102, 4, v102
	s_or_b64 s[4:5], vcc, s[4:5]
	s_waitcnt vmcnt(0) lgkmcnt(0)
	v_fmac_f32_e32 v103, v105, v106
	s_andn2_b64 exec, exec, s[4:5]
	s_cbranch_execnz .LBB43_213
; %bb.214:
	s_or_b64 exec, exec, s[4:5]
.LBB43_215:
	s_or_b64 exec, exec, s[12:13]
	v_mov_b32_e32 v102, 0
	ds_read_b32 v102, v102 offset:84
	s_waitcnt lgkmcnt(0)
	v_mul_f32_e32 v102, v103, v102
	buffer_store_dword v102, off, s[0:3], 0 offset:84
.LBB43_216:
	s_or_b64 exec, exec, s[10:11]
	buffer_load_dword v102, off, s[0:3], 0 offset:80
	v_cmp_lt_u32_e64 s[4:5], 20, v0
	s_waitcnt vmcnt(0)
	ds_write_b32 v90, v102
	s_waitcnt lgkmcnt(0)
	; wave barrier
	s_waitcnt lgkmcnt(0)
	s_and_saveexec_b64 s[10:11], s[4:5]
	s_cbranch_execz .LBB43_226
; %bb.217:
	s_andn2_b64 vcc, exec, s[8:9]
	s_cbranch_vccnz .LBB43_219
; %bb.218:
	buffer_load_dword v102, v91, s[0:3], 0 offen
	ds_read_b32 v103, v90
	s_waitcnt vmcnt(0) lgkmcnt(0)
	v_mul_f32_e32 v102, v102, v103
	s_cbranch_execz .LBB43_220
	s_branch .LBB43_221
.LBB43_219:
                                        ; implicit-def: $vgpr102
.LBB43_220:
	ds_read_b32 v102, v90
.LBB43_221:
	s_and_saveexec_b64 s[12:13], s[6:7]
	s_cbranch_execz .LBB43_225
; %bb.222:
	v_mov_b32_e32 v103, 0
	v_add_u32_e32 v103, 0x54, v103
	v_subrev_u32_e32 v104, 21, v0
	s_movk_i32 s14, 0x104
	s_mov_b64 s[6:7], 0
.LBB43_223:                             ; =>This Inner Loop Header: Depth=1
	buffer_load_dword v105, v103, s[0:3], 0 offen
	v_mov_b32_e32 v106, s14
	ds_read_b32 v106, v106
	v_add_u32_e32 v104, -1, v104
	s_add_i32 s14, s14, 4
	v_cmp_eq_u32_e32 vcc, 0, v104
	v_add_u32_e32 v103, 4, v103
	s_or_b64 s[6:7], vcc, s[6:7]
	s_waitcnt vmcnt(0) lgkmcnt(0)
	v_fmac_f32_e32 v102, v105, v106
	s_andn2_b64 exec, exec, s[6:7]
	s_cbranch_execnz .LBB43_223
; %bb.224:
	s_or_b64 exec, exec, s[6:7]
.LBB43_225:
	s_or_b64 exec, exec, s[12:13]
	v_mov_b32_e32 v103, 0
	ds_read_b32 v103, v103 offset:80
	s_waitcnt lgkmcnt(0)
	v_mul_f32_e32 v102, v102, v103
	buffer_store_dword v102, off, s[0:3], 0 offset:80
.LBB43_226:
	s_or_b64 exec, exec, s[10:11]
	buffer_load_dword v102, off, s[0:3], 0 offset:76
	v_cmp_lt_u32_e64 s[6:7], 19, v0
	s_waitcnt vmcnt(0)
	ds_write_b32 v90, v102
	s_waitcnt lgkmcnt(0)
	; wave barrier
	s_waitcnt lgkmcnt(0)
	s_and_saveexec_b64 s[10:11], s[6:7]
	s_cbranch_execz .LBB43_236
; %bb.227:
	s_andn2_b64 vcc, exec, s[8:9]
	s_cbranch_vccnz .LBB43_229
; %bb.228:
	buffer_load_dword v102, v91, s[0:3], 0 offen
	ds_read_b32 v103, v90
	s_waitcnt vmcnt(0) lgkmcnt(0)
	v_mul_f32_e32 v102, v102, v103
	s_cbranch_execz .LBB43_230
	s_branch .LBB43_231
.LBB43_229:
                                        ; implicit-def: $vgpr102
.LBB43_230:
	ds_read_b32 v102, v90
.LBB43_231:
	s_and_saveexec_b64 s[12:13], s[4:5]
	s_cbranch_execz .LBB43_235
; %bb.232:
	v_subrev_u32_e32 v103, 20, v0
	s_movk_i32 s14, 0x100
	s_mov_b64 s[4:5], 0
.LBB43_233:                             ; =>This Inner Loop Header: Depth=1
	buffer_load_dword v104, v101, s[0:3], 0 offen
	v_mov_b32_e32 v105, s14
	ds_read_b32 v105, v105
	v_add_u32_e32 v103, -1, v103
	s_add_i32 s14, s14, 4
	v_cmp_eq_u32_e32 vcc, 0, v103
	v_add_u32_e32 v101, 4, v101
	s_or_b64 s[4:5], vcc, s[4:5]
	s_waitcnt vmcnt(0) lgkmcnt(0)
	v_fmac_f32_e32 v102, v104, v105
	s_andn2_b64 exec, exec, s[4:5]
	s_cbranch_execnz .LBB43_233
; %bb.234:
	s_or_b64 exec, exec, s[4:5]
.LBB43_235:
	s_or_b64 exec, exec, s[12:13]
	v_mov_b32_e32 v101, 0
	ds_read_b32 v101, v101 offset:76
	s_waitcnt lgkmcnt(0)
	v_mul_f32_e32 v101, v102, v101
	buffer_store_dword v101, off, s[0:3], 0 offset:76
.LBB43_236:
	s_or_b64 exec, exec, s[10:11]
	buffer_load_dword v101, off, s[0:3], 0 offset:72
	v_cmp_lt_u32_e64 s[4:5], 18, v0
	s_waitcnt vmcnt(0)
	ds_write_b32 v90, v101
	s_waitcnt lgkmcnt(0)
	; wave barrier
	s_waitcnt lgkmcnt(0)
	s_and_saveexec_b64 s[10:11], s[4:5]
	s_cbranch_execz .LBB43_246
; %bb.237:
	s_andn2_b64 vcc, exec, s[8:9]
	s_cbranch_vccnz .LBB43_239
; %bb.238:
	buffer_load_dword v101, v91, s[0:3], 0 offen
	ds_read_b32 v102, v90
	s_waitcnt vmcnt(0) lgkmcnt(0)
	v_mul_f32_e32 v101, v101, v102
	s_cbranch_execz .LBB43_240
	s_branch .LBB43_241
.LBB43_239:
                                        ; implicit-def: $vgpr101
.LBB43_240:
	ds_read_b32 v101, v90
.LBB43_241:
	s_and_saveexec_b64 s[12:13], s[6:7]
	s_cbranch_execz .LBB43_245
; %bb.242:
	v_mov_b32_e32 v102, 0
	v_add_u32_e32 v102, 0x4c, v102
	v_subrev_u32_e32 v103, 19, v0
	s_movk_i32 s14, 0xfc
	s_mov_b64 s[6:7], 0
.LBB43_243:                             ; =>This Inner Loop Header: Depth=1
	buffer_load_dword v104, v102, s[0:3], 0 offen
	v_mov_b32_e32 v105, s14
	ds_read_b32 v105, v105
	v_add_u32_e32 v103, -1, v103
	s_add_i32 s14, s14, 4
	v_cmp_eq_u32_e32 vcc, 0, v103
	v_add_u32_e32 v102, 4, v102
	s_or_b64 s[6:7], vcc, s[6:7]
	s_waitcnt vmcnt(0) lgkmcnt(0)
	v_fmac_f32_e32 v101, v104, v105
	s_andn2_b64 exec, exec, s[6:7]
	s_cbranch_execnz .LBB43_243
; %bb.244:
	s_or_b64 exec, exec, s[6:7]
.LBB43_245:
	s_or_b64 exec, exec, s[12:13]
	v_mov_b32_e32 v102, 0
	ds_read_b32 v102, v102 offset:72
	s_waitcnt lgkmcnt(0)
	v_mul_f32_e32 v101, v101, v102
	buffer_store_dword v101, off, s[0:3], 0 offset:72
.LBB43_246:
	s_or_b64 exec, exec, s[10:11]
	buffer_load_dword v101, off, s[0:3], 0 offset:68
	v_cmp_lt_u32_e64 s[6:7], 17, v0
	s_waitcnt vmcnt(0)
	ds_write_b32 v90, v101
	s_waitcnt lgkmcnt(0)
	; wave barrier
	s_waitcnt lgkmcnt(0)
	s_and_saveexec_b64 s[10:11], s[6:7]
	s_cbranch_execz .LBB43_256
; %bb.247:
	s_andn2_b64 vcc, exec, s[8:9]
	s_cbranch_vccnz .LBB43_249
; %bb.248:
	buffer_load_dword v101, v91, s[0:3], 0 offen
	ds_read_b32 v102, v90
	s_waitcnt vmcnt(0) lgkmcnt(0)
	v_mul_f32_e32 v101, v101, v102
	s_cbranch_execz .LBB43_250
	s_branch .LBB43_251
.LBB43_249:
                                        ; implicit-def: $vgpr101
.LBB43_250:
	ds_read_b32 v101, v90
.LBB43_251:
	s_and_saveexec_b64 s[12:13], s[4:5]
	s_cbranch_execz .LBB43_255
; %bb.252:
	v_subrev_u32_e32 v102, 18, v0
	s_movk_i32 s14, 0xf8
	s_mov_b64 s[4:5], 0
.LBB43_253:                             ; =>This Inner Loop Header: Depth=1
	buffer_load_dword v103, v100, s[0:3], 0 offen
	v_mov_b32_e32 v104, s14
	ds_read_b32 v104, v104
	v_add_u32_e32 v102, -1, v102
	s_add_i32 s14, s14, 4
	v_cmp_eq_u32_e32 vcc, 0, v102
	v_add_u32_e32 v100, 4, v100
	s_or_b64 s[4:5], vcc, s[4:5]
	s_waitcnt vmcnt(0) lgkmcnt(0)
	v_fmac_f32_e32 v101, v103, v104
	s_andn2_b64 exec, exec, s[4:5]
	s_cbranch_execnz .LBB43_253
; %bb.254:
	s_or_b64 exec, exec, s[4:5]
.LBB43_255:
	s_or_b64 exec, exec, s[12:13]
	v_mov_b32_e32 v100, 0
	ds_read_b32 v100, v100 offset:68
	s_waitcnt lgkmcnt(0)
	v_mul_f32_e32 v100, v101, v100
	buffer_store_dword v100, off, s[0:3], 0 offset:68
.LBB43_256:
	s_or_b64 exec, exec, s[10:11]
	buffer_load_dword v100, off, s[0:3], 0 offset:64
	v_cmp_lt_u32_e64 s[4:5], 16, v0
	s_waitcnt vmcnt(0)
	ds_write_b32 v90, v100
	s_waitcnt lgkmcnt(0)
	; wave barrier
	s_waitcnt lgkmcnt(0)
	s_and_saveexec_b64 s[10:11], s[4:5]
	s_cbranch_execz .LBB43_266
; %bb.257:
	s_andn2_b64 vcc, exec, s[8:9]
	s_cbranch_vccnz .LBB43_259
; %bb.258:
	buffer_load_dword v100, v91, s[0:3], 0 offen
	ds_read_b32 v101, v90
	s_waitcnt vmcnt(0) lgkmcnt(0)
	v_mul_f32_e32 v100, v100, v101
	s_cbranch_execz .LBB43_260
	s_branch .LBB43_261
.LBB43_259:
                                        ; implicit-def: $vgpr100
.LBB43_260:
	ds_read_b32 v100, v90
.LBB43_261:
	s_and_saveexec_b64 s[12:13], s[6:7]
	s_cbranch_execz .LBB43_265
; %bb.262:
	v_mov_b32_e32 v101, 0
	v_add_u32_e32 v101, 0x44, v101
	v_subrev_u32_e32 v102, 17, v0
	s_movk_i32 s14, 0xf4
	s_mov_b64 s[6:7], 0
.LBB43_263:                             ; =>This Inner Loop Header: Depth=1
	buffer_load_dword v103, v101, s[0:3], 0 offen
	v_mov_b32_e32 v104, s14
	ds_read_b32 v104, v104
	v_add_u32_e32 v102, -1, v102
	s_add_i32 s14, s14, 4
	v_cmp_eq_u32_e32 vcc, 0, v102
	v_add_u32_e32 v101, 4, v101
	s_or_b64 s[6:7], vcc, s[6:7]
	s_waitcnt vmcnt(0) lgkmcnt(0)
	v_fmac_f32_e32 v100, v103, v104
	s_andn2_b64 exec, exec, s[6:7]
	s_cbranch_execnz .LBB43_263
; %bb.264:
	s_or_b64 exec, exec, s[6:7]
.LBB43_265:
	s_or_b64 exec, exec, s[12:13]
	v_mov_b32_e32 v101, 0
	ds_read_b32 v101, v101 offset:64
	s_waitcnt lgkmcnt(0)
	v_mul_f32_e32 v100, v100, v101
	buffer_store_dword v100, off, s[0:3], 0 offset:64
.LBB43_266:
	s_or_b64 exec, exec, s[10:11]
	buffer_load_dword v100, off, s[0:3], 0 offset:60
	v_cmp_lt_u32_e64 s[6:7], 15, v0
	s_waitcnt vmcnt(0)
	ds_write_b32 v90, v100
	s_waitcnt lgkmcnt(0)
	; wave barrier
	s_waitcnt lgkmcnt(0)
	s_and_saveexec_b64 s[10:11], s[6:7]
	s_cbranch_execz .LBB43_276
; %bb.267:
	s_andn2_b64 vcc, exec, s[8:9]
	s_cbranch_vccnz .LBB43_269
; %bb.268:
	buffer_load_dword v100, v91, s[0:3], 0 offen
	ds_read_b32 v101, v90
	s_waitcnt vmcnt(0) lgkmcnt(0)
	v_mul_f32_e32 v100, v100, v101
	s_cbranch_execz .LBB43_270
	s_branch .LBB43_271
.LBB43_269:
                                        ; implicit-def: $vgpr100
.LBB43_270:
	ds_read_b32 v100, v90
.LBB43_271:
	s_and_saveexec_b64 s[12:13], s[4:5]
	s_cbranch_execz .LBB43_275
; %bb.272:
	v_add_u32_e32 v101, -16, v0
	s_movk_i32 s14, 0xf0
	s_mov_b64 s[4:5], 0
.LBB43_273:                             ; =>This Inner Loop Header: Depth=1
	buffer_load_dword v102, v99, s[0:3], 0 offen
	v_mov_b32_e32 v103, s14
	ds_read_b32 v103, v103
	v_add_u32_e32 v101, -1, v101
	s_add_i32 s14, s14, 4
	v_cmp_eq_u32_e32 vcc, 0, v101
	v_add_u32_e32 v99, 4, v99
	s_or_b64 s[4:5], vcc, s[4:5]
	s_waitcnt vmcnt(0) lgkmcnt(0)
	v_fmac_f32_e32 v100, v102, v103
	s_andn2_b64 exec, exec, s[4:5]
	s_cbranch_execnz .LBB43_273
; %bb.274:
	s_or_b64 exec, exec, s[4:5]
.LBB43_275:
	s_or_b64 exec, exec, s[12:13]
	v_mov_b32_e32 v99, 0
	ds_read_b32 v99, v99 offset:60
	s_waitcnt lgkmcnt(0)
	v_mul_f32_e32 v99, v100, v99
	buffer_store_dword v99, off, s[0:3], 0 offset:60
.LBB43_276:
	s_or_b64 exec, exec, s[10:11]
	buffer_load_dword v99, off, s[0:3], 0 offset:56
	v_cmp_lt_u32_e64 s[4:5], 14, v0
	s_waitcnt vmcnt(0)
	ds_write_b32 v90, v99
	s_waitcnt lgkmcnt(0)
	; wave barrier
	s_waitcnt lgkmcnt(0)
	s_and_saveexec_b64 s[10:11], s[4:5]
	s_cbranch_execz .LBB43_286
; %bb.277:
	s_andn2_b64 vcc, exec, s[8:9]
	s_cbranch_vccnz .LBB43_279
; %bb.278:
	buffer_load_dword v99, v91, s[0:3], 0 offen
	ds_read_b32 v100, v90
	s_waitcnt vmcnt(0) lgkmcnt(0)
	v_mul_f32_e32 v99, v99, v100
	s_cbranch_execz .LBB43_280
	s_branch .LBB43_281
.LBB43_279:
                                        ; implicit-def: $vgpr99
.LBB43_280:
	ds_read_b32 v99, v90
.LBB43_281:
	s_and_saveexec_b64 s[12:13], s[6:7]
	s_cbranch_execz .LBB43_285
; %bb.282:
	v_mov_b32_e32 v100, 0
	v_add_u32_e32 v100, 60, v100
	v_add_u32_e32 v101, -15, v0
	s_movk_i32 s14, 0xec
	s_mov_b64 s[6:7], 0
.LBB43_283:                             ; =>This Inner Loop Header: Depth=1
	buffer_load_dword v102, v100, s[0:3], 0 offen
	v_mov_b32_e32 v103, s14
	ds_read_b32 v103, v103
	v_add_u32_e32 v101, -1, v101
	s_add_i32 s14, s14, 4
	v_cmp_eq_u32_e32 vcc, 0, v101
	v_add_u32_e32 v100, 4, v100
	s_or_b64 s[6:7], vcc, s[6:7]
	s_waitcnt vmcnt(0) lgkmcnt(0)
	v_fmac_f32_e32 v99, v102, v103
	s_andn2_b64 exec, exec, s[6:7]
	s_cbranch_execnz .LBB43_283
; %bb.284:
	s_or_b64 exec, exec, s[6:7]
.LBB43_285:
	s_or_b64 exec, exec, s[12:13]
	v_mov_b32_e32 v100, 0
	ds_read_b32 v100, v100 offset:56
	s_waitcnt lgkmcnt(0)
	v_mul_f32_e32 v99, v99, v100
	buffer_store_dword v99, off, s[0:3], 0 offset:56
.LBB43_286:
	s_or_b64 exec, exec, s[10:11]
	buffer_load_dword v99, off, s[0:3], 0 offset:52
	v_cmp_lt_u32_e64 s[6:7], 13, v0
	s_waitcnt vmcnt(0)
	ds_write_b32 v90, v99
	s_waitcnt lgkmcnt(0)
	; wave barrier
	s_waitcnt lgkmcnt(0)
	s_and_saveexec_b64 s[10:11], s[6:7]
	s_cbranch_execz .LBB43_296
; %bb.287:
	s_andn2_b64 vcc, exec, s[8:9]
	s_cbranch_vccnz .LBB43_289
; %bb.288:
	buffer_load_dword v99, v91, s[0:3], 0 offen
	ds_read_b32 v100, v90
	s_waitcnt vmcnt(0) lgkmcnt(0)
	v_mul_f32_e32 v99, v99, v100
	s_cbranch_execz .LBB43_290
	s_branch .LBB43_291
.LBB43_289:
                                        ; implicit-def: $vgpr99
.LBB43_290:
	ds_read_b32 v99, v90
.LBB43_291:
	s_and_saveexec_b64 s[12:13], s[4:5]
	s_cbranch_execz .LBB43_295
; %bb.292:
	v_add_u32_e32 v100, -14, v0
	s_movk_i32 s14, 0xe8
	s_mov_b64 s[4:5], 0
.LBB43_293:                             ; =>This Inner Loop Header: Depth=1
	buffer_load_dword v101, v98, s[0:3], 0 offen
	v_mov_b32_e32 v102, s14
	ds_read_b32 v102, v102
	v_add_u32_e32 v100, -1, v100
	s_add_i32 s14, s14, 4
	v_cmp_eq_u32_e32 vcc, 0, v100
	v_add_u32_e32 v98, 4, v98
	s_or_b64 s[4:5], vcc, s[4:5]
	s_waitcnt vmcnt(0) lgkmcnt(0)
	v_fmac_f32_e32 v99, v101, v102
	s_andn2_b64 exec, exec, s[4:5]
	s_cbranch_execnz .LBB43_293
; %bb.294:
	s_or_b64 exec, exec, s[4:5]
.LBB43_295:
	s_or_b64 exec, exec, s[12:13]
	v_mov_b32_e32 v98, 0
	ds_read_b32 v98, v98 offset:52
	s_waitcnt lgkmcnt(0)
	v_mul_f32_e32 v98, v99, v98
	buffer_store_dword v98, off, s[0:3], 0 offset:52
.LBB43_296:
	s_or_b64 exec, exec, s[10:11]
	buffer_load_dword v98, off, s[0:3], 0 offset:48
	v_cmp_lt_u32_e64 s[4:5], 12, v0
	s_waitcnt vmcnt(0)
	ds_write_b32 v90, v98
	s_waitcnt lgkmcnt(0)
	; wave barrier
	s_waitcnt lgkmcnt(0)
	s_and_saveexec_b64 s[10:11], s[4:5]
	s_cbranch_execz .LBB43_306
; %bb.297:
	s_andn2_b64 vcc, exec, s[8:9]
	s_cbranch_vccnz .LBB43_299
; %bb.298:
	buffer_load_dword v98, v91, s[0:3], 0 offen
	ds_read_b32 v99, v90
	s_waitcnt vmcnt(0) lgkmcnt(0)
	v_mul_f32_e32 v98, v98, v99
	s_cbranch_execz .LBB43_300
	s_branch .LBB43_301
.LBB43_299:
                                        ; implicit-def: $vgpr98
.LBB43_300:
	ds_read_b32 v98, v90
.LBB43_301:
	s_and_saveexec_b64 s[12:13], s[6:7]
	s_cbranch_execz .LBB43_305
; %bb.302:
	v_mov_b32_e32 v99, 0
	v_add_u32_e32 v99, 52, v99
	v_add_u32_e32 v100, -13, v0
	s_movk_i32 s14, 0xe4
	s_mov_b64 s[6:7], 0
.LBB43_303:                             ; =>This Inner Loop Header: Depth=1
	buffer_load_dword v101, v99, s[0:3], 0 offen
	v_mov_b32_e32 v102, s14
	ds_read_b32 v102, v102
	v_add_u32_e32 v100, -1, v100
	s_add_i32 s14, s14, 4
	v_cmp_eq_u32_e32 vcc, 0, v100
	v_add_u32_e32 v99, 4, v99
	s_or_b64 s[6:7], vcc, s[6:7]
	s_waitcnt vmcnt(0) lgkmcnt(0)
	v_fmac_f32_e32 v98, v101, v102
	s_andn2_b64 exec, exec, s[6:7]
	s_cbranch_execnz .LBB43_303
; %bb.304:
	s_or_b64 exec, exec, s[6:7]
.LBB43_305:
	s_or_b64 exec, exec, s[12:13]
	v_mov_b32_e32 v99, 0
	ds_read_b32 v99, v99 offset:48
	s_waitcnt lgkmcnt(0)
	v_mul_f32_e32 v98, v98, v99
	buffer_store_dword v98, off, s[0:3], 0 offset:48
.LBB43_306:
	s_or_b64 exec, exec, s[10:11]
	buffer_load_dword v98, off, s[0:3], 0 offset:44
	v_cmp_lt_u32_e64 s[6:7], 11, v0
	s_waitcnt vmcnt(0)
	ds_write_b32 v90, v98
	s_waitcnt lgkmcnt(0)
	; wave barrier
	s_waitcnt lgkmcnt(0)
	s_and_saveexec_b64 s[10:11], s[6:7]
	s_cbranch_execz .LBB43_316
; %bb.307:
	s_andn2_b64 vcc, exec, s[8:9]
	s_cbranch_vccnz .LBB43_309
; %bb.308:
	buffer_load_dword v98, v91, s[0:3], 0 offen
	ds_read_b32 v99, v90
	s_waitcnt vmcnt(0) lgkmcnt(0)
	v_mul_f32_e32 v98, v98, v99
	s_cbranch_execz .LBB43_310
	s_branch .LBB43_311
.LBB43_309:
                                        ; implicit-def: $vgpr98
.LBB43_310:
	ds_read_b32 v98, v90
.LBB43_311:
	s_and_saveexec_b64 s[12:13], s[4:5]
	s_cbranch_execz .LBB43_315
; %bb.312:
	v_add_u32_e32 v99, -12, v0
	s_movk_i32 s14, 0xe0
	s_mov_b64 s[4:5], 0
.LBB43_313:                             ; =>This Inner Loop Header: Depth=1
	buffer_load_dword v100, v97, s[0:3], 0 offen
	v_mov_b32_e32 v101, s14
	ds_read_b32 v101, v101
	v_add_u32_e32 v99, -1, v99
	s_add_i32 s14, s14, 4
	v_cmp_eq_u32_e32 vcc, 0, v99
	v_add_u32_e32 v97, 4, v97
	s_or_b64 s[4:5], vcc, s[4:5]
	s_waitcnt vmcnt(0) lgkmcnt(0)
	v_fmac_f32_e32 v98, v100, v101
	s_andn2_b64 exec, exec, s[4:5]
	s_cbranch_execnz .LBB43_313
; %bb.314:
	s_or_b64 exec, exec, s[4:5]
.LBB43_315:
	s_or_b64 exec, exec, s[12:13]
	v_mov_b32_e32 v97, 0
	ds_read_b32 v97, v97 offset:44
	s_waitcnt lgkmcnt(0)
	v_mul_f32_e32 v97, v98, v97
	buffer_store_dword v97, off, s[0:3], 0 offset:44
.LBB43_316:
	s_or_b64 exec, exec, s[10:11]
	buffer_load_dword v97, off, s[0:3], 0 offset:40
	v_cmp_lt_u32_e64 s[4:5], 10, v0
	s_waitcnt vmcnt(0)
	ds_write_b32 v90, v97
	s_waitcnt lgkmcnt(0)
	; wave barrier
	s_waitcnt lgkmcnt(0)
	s_and_saveexec_b64 s[10:11], s[4:5]
	s_cbranch_execz .LBB43_326
; %bb.317:
	s_andn2_b64 vcc, exec, s[8:9]
	s_cbranch_vccnz .LBB43_319
; %bb.318:
	buffer_load_dword v97, v91, s[0:3], 0 offen
	ds_read_b32 v98, v90
	s_waitcnt vmcnt(0) lgkmcnt(0)
	v_mul_f32_e32 v97, v97, v98
	s_cbranch_execz .LBB43_320
	s_branch .LBB43_321
.LBB43_319:
                                        ; implicit-def: $vgpr97
.LBB43_320:
	ds_read_b32 v97, v90
.LBB43_321:
	s_and_saveexec_b64 s[12:13], s[6:7]
	s_cbranch_execz .LBB43_325
; %bb.322:
	v_mov_b32_e32 v98, 0
	v_add_u32_e32 v98, 44, v98
	v_add_u32_e32 v99, -11, v0
	s_movk_i32 s14, 0xdc
	s_mov_b64 s[6:7], 0
.LBB43_323:                             ; =>This Inner Loop Header: Depth=1
	buffer_load_dword v100, v98, s[0:3], 0 offen
	v_mov_b32_e32 v101, s14
	ds_read_b32 v101, v101
	v_add_u32_e32 v99, -1, v99
	s_add_i32 s14, s14, 4
	v_cmp_eq_u32_e32 vcc, 0, v99
	v_add_u32_e32 v98, 4, v98
	s_or_b64 s[6:7], vcc, s[6:7]
	s_waitcnt vmcnt(0) lgkmcnt(0)
	v_fmac_f32_e32 v97, v100, v101
	s_andn2_b64 exec, exec, s[6:7]
	s_cbranch_execnz .LBB43_323
; %bb.324:
	s_or_b64 exec, exec, s[6:7]
.LBB43_325:
	s_or_b64 exec, exec, s[12:13]
	v_mov_b32_e32 v98, 0
	ds_read_b32 v98, v98 offset:40
	s_waitcnt lgkmcnt(0)
	v_mul_f32_e32 v97, v97, v98
	buffer_store_dword v97, off, s[0:3], 0 offset:40
.LBB43_326:
	s_or_b64 exec, exec, s[10:11]
	buffer_load_dword v97, off, s[0:3], 0 offset:36
	v_cmp_lt_u32_e64 s[6:7], 9, v0
	s_waitcnt vmcnt(0)
	ds_write_b32 v90, v97
	s_waitcnt lgkmcnt(0)
	; wave barrier
	s_waitcnt lgkmcnt(0)
	s_and_saveexec_b64 s[10:11], s[6:7]
	s_cbranch_execz .LBB43_336
; %bb.327:
	s_andn2_b64 vcc, exec, s[8:9]
	s_cbranch_vccnz .LBB43_329
; %bb.328:
	buffer_load_dword v97, v91, s[0:3], 0 offen
	ds_read_b32 v98, v90
	s_waitcnt vmcnt(0) lgkmcnt(0)
	v_mul_f32_e32 v97, v97, v98
	s_cbranch_execz .LBB43_330
	s_branch .LBB43_331
.LBB43_329:
                                        ; implicit-def: $vgpr97
.LBB43_330:
	ds_read_b32 v97, v90
.LBB43_331:
	s_and_saveexec_b64 s[12:13], s[4:5]
	s_cbranch_execz .LBB43_335
; %bb.332:
	v_add_u32_e32 v98, -10, v0
	s_movk_i32 s14, 0xd8
	s_mov_b64 s[4:5], 0
.LBB43_333:                             ; =>This Inner Loop Header: Depth=1
	buffer_load_dword v99, v96, s[0:3], 0 offen
	v_mov_b32_e32 v100, s14
	ds_read_b32 v100, v100
	v_add_u32_e32 v98, -1, v98
	s_add_i32 s14, s14, 4
	v_cmp_eq_u32_e32 vcc, 0, v98
	v_add_u32_e32 v96, 4, v96
	s_or_b64 s[4:5], vcc, s[4:5]
	s_waitcnt vmcnt(0) lgkmcnt(0)
	v_fmac_f32_e32 v97, v99, v100
	s_andn2_b64 exec, exec, s[4:5]
	s_cbranch_execnz .LBB43_333
; %bb.334:
	s_or_b64 exec, exec, s[4:5]
.LBB43_335:
	s_or_b64 exec, exec, s[12:13]
	v_mov_b32_e32 v96, 0
	ds_read_b32 v96, v96 offset:36
	s_waitcnt lgkmcnt(0)
	v_mul_f32_e32 v96, v97, v96
	buffer_store_dword v96, off, s[0:3], 0 offset:36
.LBB43_336:
	s_or_b64 exec, exec, s[10:11]
	buffer_load_dword v96, off, s[0:3], 0 offset:32
	v_cmp_lt_u32_e64 s[4:5], 8, v0
	s_waitcnt vmcnt(0)
	ds_write_b32 v90, v96
	s_waitcnt lgkmcnt(0)
	; wave barrier
	s_waitcnt lgkmcnt(0)
	s_and_saveexec_b64 s[10:11], s[4:5]
	s_cbranch_execz .LBB43_346
; %bb.337:
	s_andn2_b64 vcc, exec, s[8:9]
	s_cbranch_vccnz .LBB43_339
; %bb.338:
	buffer_load_dword v96, v91, s[0:3], 0 offen
	ds_read_b32 v97, v90
	s_waitcnt vmcnt(0) lgkmcnt(0)
	v_mul_f32_e32 v96, v96, v97
	s_cbranch_execz .LBB43_340
	s_branch .LBB43_341
.LBB43_339:
                                        ; implicit-def: $vgpr96
.LBB43_340:
	ds_read_b32 v96, v90
.LBB43_341:
	s_and_saveexec_b64 s[12:13], s[6:7]
	s_cbranch_execz .LBB43_345
; %bb.342:
	v_mov_b32_e32 v97, 0
	v_add_u32_e32 v97, 36, v97
	v_add_u32_e32 v98, -9, v0
	s_movk_i32 s14, 0xd4
	s_mov_b64 s[6:7], 0
.LBB43_343:                             ; =>This Inner Loop Header: Depth=1
	buffer_load_dword v99, v97, s[0:3], 0 offen
	v_mov_b32_e32 v100, s14
	ds_read_b32 v100, v100
	v_add_u32_e32 v98, -1, v98
	s_add_i32 s14, s14, 4
	v_cmp_eq_u32_e32 vcc, 0, v98
	v_add_u32_e32 v97, 4, v97
	s_or_b64 s[6:7], vcc, s[6:7]
	s_waitcnt vmcnt(0) lgkmcnt(0)
	v_fmac_f32_e32 v96, v99, v100
	s_andn2_b64 exec, exec, s[6:7]
	s_cbranch_execnz .LBB43_343
; %bb.344:
	s_or_b64 exec, exec, s[6:7]
.LBB43_345:
	s_or_b64 exec, exec, s[12:13]
	v_mov_b32_e32 v97, 0
	ds_read_b32 v97, v97 offset:32
	s_waitcnt lgkmcnt(0)
	v_mul_f32_e32 v96, v96, v97
	buffer_store_dword v96, off, s[0:3], 0 offset:32
.LBB43_346:
	s_or_b64 exec, exec, s[10:11]
	buffer_load_dword v96, off, s[0:3], 0 offset:28
	v_cmp_lt_u32_e64 s[6:7], 7, v0
	s_waitcnt vmcnt(0)
	ds_write_b32 v90, v96
	s_waitcnt lgkmcnt(0)
	; wave barrier
	s_waitcnt lgkmcnt(0)
	s_and_saveexec_b64 s[10:11], s[6:7]
	s_cbranch_execz .LBB43_356
; %bb.347:
	s_andn2_b64 vcc, exec, s[8:9]
	s_cbranch_vccnz .LBB43_349
; %bb.348:
	buffer_load_dword v96, v91, s[0:3], 0 offen
	ds_read_b32 v97, v90
	s_waitcnt vmcnt(0) lgkmcnt(0)
	v_mul_f32_e32 v96, v96, v97
	s_cbranch_execz .LBB43_350
	s_branch .LBB43_351
.LBB43_349:
                                        ; implicit-def: $vgpr96
.LBB43_350:
	ds_read_b32 v96, v90
.LBB43_351:
	s_and_saveexec_b64 s[12:13], s[4:5]
	s_cbranch_execz .LBB43_355
; %bb.352:
	v_add_u32_e32 v97, -8, v0
	s_movk_i32 s14, 0xd0
	s_mov_b64 s[4:5], 0
.LBB43_353:                             ; =>This Inner Loop Header: Depth=1
	buffer_load_dword v98, v95, s[0:3], 0 offen
	v_mov_b32_e32 v99, s14
	ds_read_b32 v99, v99
	v_add_u32_e32 v97, -1, v97
	s_add_i32 s14, s14, 4
	v_cmp_eq_u32_e32 vcc, 0, v97
	v_add_u32_e32 v95, 4, v95
	s_or_b64 s[4:5], vcc, s[4:5]
	s_waitcnt vmcnt(0) lgkmcnt(0)
	v_fmac_f32_e32 v96, v98, v99
	s_andn2_b64 exec, exec, s[4:5]
	s_cbranch_execnz .LBB43_353
; %bb.354:
	s_or_b64 exec, exec, s[4:5]
.LBB43_355:
	s_or_b64 exec, exec, s[12:13]
	v_mov_b32_e32 v95, 0
	ds_read_b32 v95, v95 offset:28
	s_waitcnt lgkmcnt(0)
	v_mul_f32_e32 v95, v96, v95
	buffer_store_dword v95, off, s[0:3], 0 offset:28
.LBB43_356:
	s_or_b64 exec, exec, s[10:11]
	buffer_load_dword v95, off, s[0:3], 0 offset:24
	v_cmp_lt_u32_e64 s[4:5], 6, v0
	s_waitcnt vmcnt(0)
	ds_write_b32 v90, v95
	s_waitcnt lgkmcnt(0)
	; wave barrier
	s_waitcnt lgkmcnt(0)
	s_and_saveexec_b64 s[10:11], s[4:5]
	s_cbranch_execz .LBB43_366
; %bb.357:
	s_andn2_b64 vcc, exec, s[8:9]
	s_cbranch_vccnz .LBB43_359
; %bb.358:
	buffer_load_dword v95, v91, s[0:3], 0 offen
	ds_read_b32 v96, v90
	s_waitcnt vmcnt(0) lgkmcnt(0)
	v_mul_f32_e32 v95, v95, v96
	s_cbranch_execz .LBB43_360
	s_branch .LBB43_361
.LBB43_359:
                                        ; implicit-def: $vgpr95
.LBB43_360:
	ds_read_b32 v95, v90
.LBB43_361:
	s_and_saveexec_b64 s[12:13], s[6:7]
	s_cbranch_execz .LBB43_365
; %bb.362:
	v_mov_b32_e32 v96, 0
	v_add_u32_e32 v96, 28, v96
	v_add_u32_e32 v97, -7, v0
	s_movk_i32 s14, 0xcc
	s_mov_b64 s[6:7], 0
.LBB43_363:                             ; =>This Inner Loop Header: Depth=1
	buffer_load_dword v98, v96, s[0:3], 0 offen
	v_mov_b32_e32 v99, s14
	ds_read_b32 v99, v99
	v_add_u32_e32 v97, -1, v97
	s_add_i32 s14, s14, 4
	v_cmp_eq_u32_e32 vcc, 0, v97
	v_add_u32_e32 v96, 4, v96
	s_or_b64 s[6:7], vcc, s[6:7]
	s_waitcnt vmcnt(0) lgkmcnt(0)
	v_fmac_f32_e32 v95, v98, v99
	s_andn2_b64 exec, exec, s[6:7]
	s_cbranch_execnz .LBB43_363
; %bb.364:
	s_or_b64 exec, exec, s[6:7]
.LBB43_365:
	s_or_b64 exec, exec, s[12:13]
	v_mov_b32_e32 v96, 0
	ds_read_b32 v96, v96 offset:24
	s_waitcnt lgkmcnt(0)
	v_mul_f32_e32 v95, v95, v96
	buffer_store_dword v95, off, s[0:3], 0 offset:24
.LBB43_366:
	s_or_b64 exec, exec, s[10:11]
	buffer_load_dword v95, off, s[0:3], 0 offset:20
	v_cmp_lt_u32_e64 s[6:7], 5, v0
	s_waitcnt vmcnt(0)
	ds_write_b32 v90, v95
	s_waitcnt lgkmcnt(0)
	; wave barrier
	s_waitcnt lgkmcnt(0)
	s_and_saveexec_b64 s[10:11], s[6:7]
	s_cbranch_execz .LBB43_376
; %bb.367:
	s_andn2_b64 vcc, exec, s[8:9]
	s_cbranch_vccnz .LBB43_369
; %bb.368:
	buffer_load_dword v95, v91, s[0:3], 0 offen
	ds_read_b32 v96, v90
	s_waitcnt vmcnt(0) lgkmcnt(0)
	v_mul_f32_e32 v95, v95, v96
	s_cbranch_execz .LBB43_370
	s_branch .LBB43_371
.LBB43_369:
                                        ; implicit-def: $vgpr95
.LBB43_370:
	ds_read_b32 v95, v90
.LBB43_371:
	s_and_saveexec_b64 s[12:13], s[4:5]
	s_cbranch_execz .LBB43_375
; %bb.372:
	v_add_u32_e32 v96, -6, v0
	s_movk_i32 s14, 0xc8
	s_mov_b64 s[4:5], 0
.LBB43_373:                             ; =>This Inner Loop Header: Depth=1
	buffer_load_dword v97, v94, s[0:3], 0 offen
	v_mov_b32_e32 v98, s14
	ds_read_b32 v98, v98
	v_add_u32_e32 v96, -1, v96
	s_add_i32 s14, s14, 4
	v_cmp_eq_u32_e32 vcc, 0, v96
	v_add_u32_e32 v94, 4, v94
	s_or_b64 s[4:5], vcc, s[4:5]
	s_waitcnt vmcnt(0) lgkmcnt(0)
	v_fmac_f32_e32 v95, v97, v98
	s_andn2_b64 exec, exec, s[4:5]
	s_cbranch_execnz .LBB43_373
; %bb.374:
	s_or_b64 exec, exec, s[4:5]
.LBB43_375:
	s_or_b64 exec, exec, s[12:13]
	v_mov_b32_e32 v94, 0
	ds_read_b32 v94, v94 offset:20
	s_waitcnt lgkmcnt(0)
	v_mul_f32_e32 v94, v95, v94
	buffer_store_dword v94, off, s[0:3], 0 offset:20
.LBB43_376:
	s_or_b64 exec, exec, s[10:11]
	buffer_load_dword v94, off, s[0:3], 0 offset:16
	v_cmp_lt_u32_e64 s[4:5], 4, v0
	s_waitcnt vmcnt(0)
	ds_write_b32 v90, v94
	s_waitcnt lgkmcnt(0)
	; wave barrier
	s_waitcnt lgkmcnt(0)
	s_and_saveexec_b64 s[10:11], s[4:5]
	s_cbranch_execz .LBB43_386
; %bb.377:
	s_andn2_b64 vcc, exec, s[8:9]
	s_cbranch_vccnz .LBB43_379
; %bb.378:
	buffer_load_dword v94, v91, s[0:3], 0 offen
	ds_read_b32 v95, v90
	s_waitcnt vmcnt(0) lgkmcnt(0)
	v_mul_f32_e32 v94, v94, v95
	s_cbranch_execz .LBB43_380
	s_branch .LBB43_381
.LBB43_379:
                                        ; implicit-def: $vgpr94
.LBB43_380:
	ds_read_b32 v94, v90
.LBB43_381:
	s_and_saveexec_b64 s[12:13], s[6:7]
	s_cbranch_execz .LBB43_385
; %bb.382:
	v_mov_b32_e32 v95, 0
	v_add_u32_e32 v95, 20, v95
	v_add_u32_e32 v96, -5, v0
	s_movk_i32 s14, 0xc4
	s_mov_b64 s[6:7], 0
.LBB43_383:                             ; =>This Inner Loop Header: Depth=1
	buffer_load_dword v97, v95, s[0:3], 0 offen
	v_mov_b32_e32 v98, s14
	ds_read_b32 v98, v98
	v_add_u32_e32 v96, -1, v96
	s_add_i32 s14, s14, 4
	v_cmp_eq_u32_e32 vcc, 0, v96
	v_add_u32_e32 v95, 4, v95
	s_or_b64 s[6:7], vcc, s[6:7]
	s_waitcnt vmcnt(0) lgkmcnt(0)
	v_fmac_f32_e32 v94, v97, v98
	s_andn2_b64 exec, exec, s[6:7]
	s_cbranch_execnz .LBB43_383
; %bb.384:
	s_or_b64 exec, exec, s[6:7]
.LBB43_385:
	s_or_b64 exec, exec, s[12:13]
	v_mov_b32_e32 v95, 0
	ds_read_b32 v95, v95 offset:16
	s_waitcnt lgkmcnt(0)
	v_mul_f32_e32 v94, v94, v95
	buffer_store_dword v94, off, s[0:3], 0 offset:16
.LBB43_386:
	s_or_b64 exec, exec, s[10:11]
	buffer_load_dword v94, off, s[0:3], 0 offset:12
	v_cmp_lt_u32_e64 s[6:7], 3, v0
	s_waitcnt vmcnt(0)
	ds_write_b32 v90, v94
	s_waitcnt lgkmcnt(0)
	; wave barrier
	s_waitcnt lgkmcnt(0)
	s_and_saveexec_b64 s[10:11], s[6:7]
	s_cbranch_execz .LBB43_396
; %bb.387:
	s_andn2_b64 vcc, exec, s[8:9]
	s_cbranch_vccnz .LBB43_389
; %bb.388:
	buffer_load_dword v94, v91, s[0:3], 0 offen
	ds_read_b32 v95, v90
	s_waitcnt vmcnt(0) lgkmcnt(0)
	v_mul_f32_e32 v94, v94, v95
	s_cbranch_execz .LBB43_390
	s_branch .LBB43_391
.LBB43_389:
                                        ; implicit-def: $vgpr94
.LBB43_390:
	ds_read_b32 v94, v90
.LBB43_391:
	s_and_saveexec_b64 s[12:13], s[4:5]
	s_cbranch_execz .LBB43_395
; %bb.392:
	v_add_u32_e32 v95, -4, v0
	s_movk_i32 s14, 0xc0
	s_mov_b64 s[4:5], 0
.LBB43_393:                             ; =>This Inner Loop Header: Depth=1
	buffer_load_dword v96, v93, s[0:3], 0 offen
	v_mov_b32_e32 v97, s14
	ds_read_b32 v97, v97
	v_add_u32_e32 v95, -1, v95
	s_add_i32 s14, s14, 4
	v_cmp_eq_u32_e32 vcc, 0, v95
	v_add_u32_e32 v93, 4, v93
	s_or_b64 s[4:5], vcc, s[4:5]
	s_waitcnt vmcnt(0) lgkmcnt(0)
	v_fmac_f32_e32 v94, v96, v97
	s_andn2_b64 exec, exec, s[4:5]
	s_cbranch_execnz .LBB43_393
; %bb.394:
	s_or_b64 exec, exec, s[4:5]
.LBB43_395:
	s_or_b64 exec, exec, s[12:13]
	v_mov_b32_e32 v93, 0
	ds_read_b32 v93, v93 offset:12
	s_waitcnt lgkmcnt(0)
	v_mul_f32_e32 v93, v94, v93
	buffer_store_dword v93, off, s[0:3], 0 offset:12
.LBB43_396:
	s_or_b64 exec, exec, s[10:11]
	buffer_load_dword v93, off, s[0:3], 0 offset:8
	v_cmp_lt_u32_e64 s[4:5], 2, v0
	s_waitcnt vmcnt(0)
	ds_write_b32 v90, v93
	s_waitcnt lgkmcnt(0)
	; wave barrier
	s_waitcnt lgkmcnt(0)
	s_and_saveexec_b64 s[10:11], s[4:5]
	s_cbranch_execz .LBB43_406
; %bb.397:
	s_andn2_b64 vcc, exec, s[8:9]
	s_cbranch_vccnz .LBB43_399
; %bb.398:
	buffer_load_dword v93, v91, s[0:3], 0 offen
	ds_read_b32 v94, v90
	s_waitcnt vmcnt(0) lgkmcnt(0)
	v_mul_f32_e32 v93, v93, v94
	s_cbranch_execz .LBB43_400
	s_branch .LBB43_401
.LBB43_399:
                                        ; implicit-def: $vgpr93
.LBB43_400:
	ds_read_b32 v93, v90
.LBB43_401:
	s_and_saveexec_b64 s[12:13], s[6:7]
	s_cbranch_execz .LBB43_405
; %bb.402:
	v_mov_b32_e32 v94, 0
	v_or_b32_e32 v94, 12, v94
	v_add_u32_e32 v95, -3, v0
	s_movk_i32 s14, 0xbc
	s_mov_b64 s[6:7], 0
.LBB43_403:                             ; =>This Inner Loop Header: Depth=1
	buffer_load_dword v96, v94, s[0:3], 0 offen
	v_mov_b32_e32 v97, s14
	ds_read_b32 v97, v97
	v_add_u32_e32 v95, -1, v95
	s_add_i32 s14, s14, 4
	v_cmp_eq_u32_e32 vcc, 0, v95
	v_add_u32_e32 v94, 4, v94
	s_or_b64 s[6:7], vcc, s[6:7]
	s_waitcnt vmcnt(0) lgkmcnt(0)
	v_fmac_f32_e32 v93, v96, v97
	s_andn2_b64 exec, exec, s[6:7]
	s_cbranch_execnz .LBB43_403
; %bb.404:
	s_or_b64 exec, exec, s[6:7]
.LBB43_405:
	s_or_b64 exec, exec, s[12:13]
	v_mov_b32_e32 v94, 0
	ds_read_b32 v94, v94 offset:8
	s_waitcnt lgkmcnt(0)
	v_mul_f32_e32 v93, v93, v94
	buffer_store_dword v93, off, s[0:3], 0 offset:8
.LBB43_406:
	s_or_b64 exec, exec, s[10:11]
	buffer_load_dword v93, off, s[0:3], 0 offset:4
	v_cmp_lt_u32_e64 s[6:7], 1, v0
	s_waitcnt vmcnt(0)
	ds_write_b32 v90, v93
	s_waitcnt lgkmcnt(0)
	; wave barrier
	s_waitcnt lgkmcnt(0)
	s_and_saveexec_b64 s[10:11], s[6:7]
	s_cbranch_execz .LBB43_416
; %bb.407:
	s_andn2_b64 vcc, exec, s[8:9]
	s_cbranch_vccnz .LBB43_409
; %bb.408:
	buffer_load_dword v93, v91, s[0:3], 0 offen
	ds_read_b32 v94, v90
	s_waitcnt vmcnt(0) lgkmcnt(0)
	v_mul_f32_e32 v93, v93, v94
	s_cbranch_execz .LBB43_410
	s_branch .LBB43_411
.LBB43_409:
                                        ; implicit-def: $vgpr93
.LBB43_410:
	ds_read_b32 v93, v90
.LBB43_411:
	s_and_saveexec_b64 s[12:13], s[4:5]
	s_cbranch_execz .LBB43_415
; %bb.412:
	v_add_u32_e32 v94, -2, v0
	s_movk_i32 s14, 0xb8
	s_mov_b64 s[4:5], 0
.LBB43_413:                             ; =>This Inner Loop Header: Depth=1
	buffer_load_dword v95, v92, s[0:3], 0 offen
	v_mov_b32_e32 v96, s14
	ds_read_b32 v96, v96
	v_add_u32_e32 v94, -1, v94
	s_add_i32 s14, s14, 4
	v_cmp_eq_u32_e32 vcc, 0, v94
	v_add_u32_e32 v92, 4, v92
	s_or_b64 s[4:5], vcc, s[4:5]
	s_waitcnt vmcnt(0) lgkmcnt(0)
	v_fmac_f32_e32 v93, v95, v96
	s_andn2_b64 exec, exec, s[4:5]
	s_cbranch_execnz .LBB43_413
; %bb.414:
	s_or_b64 exec, exec, s[4:5]
.LBB43_415:
	s_or_b64 exec, exec, s[12:13]
	v_mov_b32_e32 v92, 0
	ds_read_b32 v92, v92 offset:4
	s_waitcnt lgkmcnt(0)
	v_mul_f32_e32 v92, v93, v92
	buffer_store_dword v92, off, s[0:3], 0 offset:4
.LBB43_416:
	s_or_b64 exec, exec, s[10:11]
	buffer_load_dword v92, off, s[0:3], 0
	v_cmp_ne_u32_e32 vcc, 0, v0
	s_waitcnt vmcnt(0)
	ds_write_b32 v90, v92
	s_waitcnt lgkmcnt(0)
	; wave barrier
	s_waitcnt lgkmcnt(0)
	s_and_saveexec_b64 s[4:5], vcc
	s_cbranch_execz .LBB43_426
; %bb.417:
	s_andn2_b64 vcc, exec, s[8:9]
	s_cbranch_vccnz .LBB43_419
; %bb.418:
	buffer_load_dword v92, v91, s[0:3], 0 offen
	ds_read_b32 v93, v90
	s_waitcnt vmcnt(0) lgkmcnt(0)
	v_mul_f32_e32 v92, v92, v93
	s_cbranch_execz .LBB43_420
	s_branch .LBB43_421
.LBB43_419:
                                        ; implicit-def: $vgpr92
.LBB43_420:
	ds_read_b32 v92, v90
.LBB43_421:
	s_and_saveexec_b64 s[10:11], s[6:7]
	s_cbranch_execz .LBB43_425
; %bb.422:
	v_mov_b32_e32 v93, 0
	v_or_b32_e32 v93, 4, v93
	v_add_u32_e32 v94, -1, v0
	s_movk_i32 s12, 0xb4
	s_mov_b64 s[6:7], 0
.LBB43_423:                             ; =>This Inner Loop Header: Depth=1
	buffer_load_dword v95, v93, s[0:3], 0 offen
	v_mov_b32_e32 v96, s12
	ds_read_b32 v96, v96
	v_add_u32_e32 v94, -1, v94
	s_add_i32 s12, s12, 4
	v_cmp_eq_u32_e32 vcc, 0, v94
	v_add_u32_e32 v93, 4, v93
	s_or_b64 s[6:7], vcc, s[6:7]
	s_waitcnt vmcnt(0) lgkmcnt(0)
	v_fmac_f32_e32 v92, v95, v96
	s_andn2_b64 exec, exec, s[6:7]
	s_cbranch_execnz .LBB43_423
; %bb.424:
	s_or_b64 exec, exec, s[6:7]
.LBB43_425:
	s_or_b64 exec, exec, s[10:11]
	v_mov_b32_e32 v93, 0
	ds_read_b32 v93, v93
	s_waitcnt lgkmcnt(0)
	v_mul_f32_e32 v92, v92, v93
	buffer_store_dword v92, off, s[0:3], 0
.LBB43_426:
	s_or_b64 exec, exec, s[4:5]
	s_mov_b64 s[4:5], 0
.LBB43_427:
	s_and_b64 vcc, exec, s[4:5]
	s_cbranch_vccz .LBB43_851
; %bb.428:
	buffer_load_dword v92, off, s[0:3], 0 offset:4
	v_cmp_eq_u32_e64 s[6:7], 0, v0
	s_waitcnt vmcnt(0)
	ds_write_b32 v90, v92
	s_waitcnt lgkmcnt(0)
	; wave barrier
	s_waitcnt lgkmcnt(0)
	s_and_saveexec_b64 s[4:5], s[6:7]
	s_cbranch_execz .LBB43_434
; %bb.429:
	s_and_b64 vcc, exec, s[8:9]
	s_cbranch_vccz .LBB43_431
; %bb.430:
	buffer_load_dword v92, v91, s[0:3], 0 offen
	ds_read_b32 v93, v90
	s_waitcnt vmcnt(0) lgkmcnt(0)
	v_mul_f32_e32 v92, v92, v93
	s_cbranch_execz .LBB43_432
	s_branch .LBB43_433
.LBB43_431:
                                        ; implicit-def: $vgpr92
.LBB43_432:
	ds_read_b32 v92, v90
.LBB43_433:
	v_mov_b32_e32 v93, 0
	ds_read_b32 v93, v93 offset:4
	s_waitcnt lgkmcnt(0)
	v_mul_f32_e32 v92, v92, v93
	buffer_store_dword v92, off, s[0:3], 0 offset:4
.LBB43_434:
	s_or_b64 exec, exec, s[4:5]
	buffer_load_dword v92, off, s[0:3], 0 offset:8
	v_cndmask_b32_e64 v93, 0, 1, s[8:9]
	v_cmp_gt_u32_e32 vcc, 2, v0
	v_cmp_ne_u32_e64 s[4:5], 1, v93
	s_waitcnt vmcnt(0)
	ds_write_b32 v90, v92
	s_waitcnt lgkmcnt(0)
	; wave barrier
	s_waitcnt lgkmcnt(0)
	s_and_saveexec_b64 s[8:9], vcc
	s_cbranch_execz .LBB43_442
; %bb.435:
	s_and_b64 vcc, exec, s[4:5]
	s_cbranch_vccnz .LBB43_437
; %bb.436:
	buffer_load_dword v92, v91, s[0:3], 0 offen
	ds_read_b32 v93, v90
	s_waitcnt vmcnt(0) lgkmcnt(0)
	v_mul_f32_e32 v92, v92, v93
	s_cbranch_execz .LBB43_438
	s_branch .LBB43_439
.LBB43_437:
                                        ; implicit-def: $vgpr92
.LBB43_438:
	ds_read_b32 v92, v90
.LBB43_439:
	s_and_saveexec_b64 s[10:11], s[6:7]
	s_cbranch_execz .LBB43_441
; %bb.440:
	buffer_load_dword v93, v91, s[0:3], 0 offen offset:4
	ds_read_b32 v94, v90 offset:4
	s_waitcnt vmcnt(0) lgkmcnt(0)
	v_fmac_f32_e32 v92, v93, v94
.LBB43_441:
	s_or_b64 exec, exec, s[10:11]
	v_mov_b32_e32 v93, 0
	ds_read_b32 v93, v93 offset:8
	s_waitcnt lgkmcnt(0)
	v_mul_f32_e32 v92, v92, v93
	buffer_store_dword v92, off, s[0:3], 0 offset:8
.LBB43_442:
	s_or_b64 exec, exec, s[8:9]
	buffer_load_dword v92, off, s[0:3], 0 offset:12
	v_cmp_gt_u32_e32 vcc, 3, v0
	s_waitcnt vmcnt(0)
	ds_write_b32 v90, v92
	s_waitcnt lgkmcnt(0)
	; wave barrier
	s_waitcnt lgkmcnt(0)
	s_and_saveexec_b64 s[8:9], vcc
	s_cbranch_execz .LBB43_450
; %bb.443:
	s_and_b64 vcc, exec, s[4:5]
	s_cbranch_vccnz .LBB43_445
; %bb.444:
	buffer_load_dword v92, v91, s[0:3], 0 offen
	ds_read_b32 v93, v90
	s_waitcnt vmcnt(0) lgkmcnt(0)
	v_mul_f32_e32 v92, v92, v93
	s_cbranch_execz .LBB43_446
	s_branch .LBB43_447
.LBB43_445:
                                        ; implicit-def: $vgpr92
.LBB43_446:
	ds_read_b32 v92, v90
.LBB43_447:
	v_cmp_ne_u32_e32 vcc, 2, v0
	s_and_saveexec_b64 s[10:11], vcc
	s_cbranch_execz .LBB43_449
; %bb.448:
	buffer_load_dword v93, v91, s[0:3], 0 offen offset:4
	buffer_load_dword v94, off, s[0:3], 0 offset:8
	v_mov_b32_e32 v95, 0
	ds_read_b32 v96, v90 offset:4
	ds_read_b32 v95, v95 offset:184
	s_waitcnt vmcnt(1) lgkmcnt(1)
	v_fmac_f32_e32 v92, v93, v96
	s_waitcnt vmcnt(0) lgkmcnt(0)
	v_fma_f32 v93, v94, v95, v92
	v_cndmask_b32_e64 v92, v92, v93, s[6:7]
.LBB43_449:
	s_or_b64 exec, exec, s[10:11]
	v_mov_b32_e32 v93, 0
	ds_read_b32 v93, v93 offset:12
	s_waitcnt lgkmcnt(0)
	v_mul_f32_e32 v92, v92, v93
	buffer_store_dword v92, off, s[0:3], 0 offset:12
.LBB43_450:
	s_or_b64 exec, exec, s[8:9]
	buffer_load_dword v92, off, s[0:3], 0 offset:16
	v_cmp_gt_u32_e32 vcc, 4, v0
	s_waitcnt vmcnt(0)
	ds_write_b32 v90, v92
	s_waitcnt lgkmcnt(0)
	; wave barrier
	s_waitcnt lgkmcnt(0)
	s_and_saveexec_b64 s[6:7], vcc
	s_cbranch_execz .LBB43_460
; %bb.451:
	s_and_b64 vcc, exec, s[4:5]
	s_cbranch_vccnz .LBB43_453
; %bb.452:
	buffer_load_dword v92, v91, s[0:3], 0 offen
	ds_read_b32 v93, v90
	s_waitcnt vmcnt(0) lgkmcnt(0)
	v_mul_f32_e32 v92, v92, v93
	s_cbranch_execz .LBB43_454
	s_branch .LBB43_455
.LBB43_453:
                                        ; implicit-def: $vgpr92
.LBB43_454:
	ds_read_b32 v92, v90
.LBB43_455:
	v_cmp_ne_u32_e32 vcc, 3, v0
	s_and_saveexec_b64 s[8:9], vcc
	s_cbranch_execz .LBB43_459
; %bb.456:
	v_mov_b32_e32 v94, 0
	v_add_u32_e32 v93, 0xb4, v1
	v_add3_u32 v94, v1, v94, 4
	s_mov_b64 s[10:11], 0
	v_mov_b32_e32 v95, v0
.LBB43_457:                             ; =>This Inner Loop Header: Depth=1
	buffer_load_dword v96, v94, s[0:3], 0 offen
	ds_read_b32 v97, v93
	v_add_u32_e32 v95, 1, v95
	v_cmp_lt_u32_e32 vcc, 2, v95
	v_add_u32_e32 v93, 4, v93
	v_add_u32_e32 v94, 4, v94
	s_or_b64 s[10:11], vcc, s[10:11]
	s_waitcnt vmcnt(0) lgkmcnt(0)
	v_fmac_f32_e32 v92, v96, v97
	s_andn2_b64 exec, exec, s[10:11]
	s_cbranch_execnz .LBB43_457
; %bb.458:
	s_or_b64 exec, exec, s[10:11]
.LBB43_459:
	s_or_b64 exec, exec, s[8:9]
	v_mov_b32_e32 v93, 0
	ds_read_b32 v93, v93 offset:16
	s_waitcnt lgkmcnt(0)
	v_mul_f32_e32 v92, v92, v93
	buffer_store_dword v92, off, s[0:3], 0 offset:16
.LBB43_460:
	s_or_b64 exec, exec, s[6:7]
	buffer_load_dword v92, off, s[0:3], 0 offset:20
	v_cmp_gt_u32_e32 vcc, 5, v0
	s_waitcnt vmcnt(0)
	ds_write_b32 v90, v92
	s_waitcnt lgkmcnt(0)
	; wave barrier
	s_waitcnt lgkmcnt(0)
	s_and_saveexec_b64 s[6:7], vcc
	s_cbranch_execz .LBB43_470
; %bb.461:
	s_and_b64 vcc, exec, s[4:5]
	s_cbranch_vccnz .LBB43_463
; %bb.462:
	buffer_load_dword v92, v91, s[0:3], 0 offen
	ds_read_b32 v93, v90
	s_waitcnt vmcnt(0) lgkmcnt(0)
	v_mul_f32_e32 v92, v92, v93
	s_cbranch_execz .LBB43_464
	s_branch .LBB43_465
.LBB43_463:
                                        ; implicit-def: $vgpr92
.LBB43_464:
	ds_read_b32 v92, v90
.LBB43_465:
	v_cmp_ne_u32_e32 vcc, 4, v0
	s_and_saveexec_b64 s[8:9], vcc
	s_cbranch_execz .LBB43_469
; %bb.466:
	v_mov_b32_e32 v94, 0
	v_add_u32_e32 v93, 0xb4, v1
	v_add3_u32 v94, v1, v94, 4
	s_mov_b64 s[10:11], 0
	v_mov_b32_e32 v95, v0
.LBB43_467:                             ; =>This Inner Loop Header: Depth=1
	buffer_load_dword v96, v94, s[0:3], 0 offen
	ds_read_b32 v97, v93
	v_add_u32_e32 v95, 1, v95
	v_cmp_lt_u32_e32 vcc, 3, v95
	v_add_u32_e32 v93, 4, v93
	v_add_u32_e32 v94, 4, v94
	s_or_b64 s[10:11], vcc, s[10:11]
	s_waitcnt vmcnt(0) lgkmcnt(0)
	v_fmac_f32_e32 v92, v96, v97
	s_andn2_b64 exec, exec, s[10:11]
	s_cbranch_execnz .LBB43_467
; %bb.468:
	s_or_b64 exec, exec, s[10:11]
.LBB43_469:
	s_or_b64 exec, exec, s[8:9]
	v_mov_b32_e32 v93, 0
	ds_read_b32 v93, v93 offset:20
	s_waitcnt lgkmcnt(0)
	v_mul_f32_e32 v92, v92, v93
	buffer_store_dword v92, off, s[0:3], 0 offset:20
.LBB43_470:
	;; [unrolled: 56-line block ×38, first 2 shown]
	s_or_b64 exec, exec, s[6:7]
	buffer_load_dword v92, off, s[0:3], 0 offset:168
	v_cmp_gt_u32_e64 s[6:7], 42, v0
	s_waitcnt vmcnt(0)
	ds_write_b32 v90, v92
	s_waitcnt lgkmcnt(0)
	; wave barrier
	s_waitcnt lgkmcnt(0)
	s_and_saveexec_b64 s[8:9], s[6:7]
	s_cbranch_execz .LBB43_840
; %bb.831:
	s_and_b64 vcc, exec, s[4:5]
	s_cbranch_vccnz .LBB43_833
; %bb.832:
	buffer_load_dword v92, v91, s[0:3], 0 offen
	ds_read_b32 v93, v90
	s_waitcnt vmcnt(0) lgkmcnt(0)
	v_mul_f32_e32 v92, v92, v93
	s_cbranch_execz .LBB43_834
	s_branch .LBB43_835
.LBB43_833:
                                        ; implicit-def: $vgpr92
.LBB43_834:
	ds_read_b32 v92, v90
.LBB43_835:
	v_cmp_ne_u32_e32 vcc, 41, v0
	s_and_saveexec_b64 s[10:11], vcc
	s_cbranch_execz .LBB43_839
; %bb.836:
	v_mov_b32_e32 v94, 0
	v_add_u32_e32 v93, 0xb4, v1
	v_add3_u32 v94, v1, v94, 4
	s_mov_b64 s[12:13], 0
	v_mov_b32_e32 v95, v0
.LBB43_837:                             ; =>This Inner Loop Header: Depth=1
	buffer_load_dword v96, v94, s[0:3], 0 offen
	ds_read_b32 v97, v93
	v_add_u32_e32 v95, 1, v95
	v_cmp_lt_u32_e32 vcc, 40, v95
	v_add_u32_e32 v93, 4, v93
	v_add_u32_e32 v94, 4, v94
	s_or_b64 s[12:13], vcc, s[12:13]
	s_waitcnt vmcnt(0) lgkmcnt(0)
	v_fmac_f32_e32 v92, v96, v97
	s_andn2_b64 exec, exec, s[12:13]
	s_cbranch_execnz .LBB43_837
; %bb.838:
	s_or_b64 exec, exec, s[12:13]
.LBB43_839:
	s_or_b64 exec, exec, s[10:11]
	v_mov_b32_e32 v93, 0
	ds_read_b32 v93, v93 offset:168
	s_waitcnt lgkmcnt(0)
	v_mul_f32_e32 v92, v92, v93
	buffer_store_dword v92, off, s[0:3], 0 offset:168
.LBB43_840:
	s_or_b64 exec, exec, s[8:9]
	buffer_load_dword v92, off, s[0:3], 0 offset:172
	v_cmp_ne_u32_e32 vcc, 43, v0
	s_waitcnt vmcnt(0)
	ds_write_b32 v90, v92
	s_waitcnt lgkmcnt(0)
	; wave barrier
	s_waitcnt lgkmcnt(0)
	s_and_saveexec_b64 s[8:9], vcc
	s_cbranch_execz .LBB43_850
; %bb.841:
	s_and_b64 vcc, exec, s[4:5]
	s_cbranch_vccnz .LBB43_843
; %bb.842:
	buffer_load_dword v91, v91, s[0:3], 0 offen
	ds_read_b32 v92, v90
	s_waitcnt vmcnt(0) lgkmcnt(0)
	v_mul_f32_e32 v91, v91, v92
	s_cbranch_execz .LBB43_844
	s_branch .LBB43_845
.LBB43_843:
                                        ; implicit-def: $vgpr91
.LBB43_844:
	ds_read_b32 v91, v90
.LBB43_845:
	s_and_saveexec_b64 s[4:5], s[6:7]
	s_cbranch_execz .LBB43_849
; %bb.846:
	v_mov_b32_e32 v92, 0
	v_add_u32_e32 v90, 0xb4, v1
	v_add3_u32 v1, v1, v92, 4
	s_mov_b64 s[6:7], 0
.LBB43_847:                             ; =>This Inner Loop Header: Depth=1
	buffer_load_dword v92, v1, s[0:3], 0 offen
	ds_read_b32 v93, v90
	v_add_u32_e32 v0, 1, v0
	v_cmp_lt_u32_e32 vcc, 41, v0
	v_add_u32_e32 v90, 4, v90
	v_add_u32_e32 v1, 4, v1
	s_or_b64 s[6:7], vcc, s[6:7]
	s_waitcnt vmcnt(0) lgkmcnt(0)
	v_fmac_f32_e32 v91, v92, v93
	s_andn2_b64 exec, exec, s[6:7]
	s_cbranch_execnz .LBB43_847
; %bb.848:
	s_or_b64 exec, exec, s[6:7]
.LBB43_849:
	s_or_b64 exec, exec, s[4:5]
	v_mov_b32_e32 v0, 0
	ds_read_b32 v0, v0 offset:172
	s_waitcnt lgkmcnt(0)
	v_mul_f32_e32 v0, v91, v0
	buffer_store_dword v0, off, s[0:3], 0 offset:172
.LBB43_850:
	s_or_b64 exec, exec, s[8:9]
.LBB43_851:
	buffer_load_dword v0, off, s[0:3], 0
	buffer_load_dword v1, off, s[0:3], 0 offset:4
	buffer_load_dword v90, off, s[0:3], 0 offset:8
	;; [unrolled: 1-line block ×31, first 2 shown]
	s_waitcnt vmcnt(31)
	global_store_dword v[2:3], v0, off
	s_waitcnt vmcnt(31)
	global_store_dword v[4:5], v1, off
	buffer_load_dword v0, off, s[0:3], 0 offset:128
	s_nop 0
	buffer_load_dword v1, off, s[0:3], 0 offset:132
	buffer_load_dword v2, off, s[0:3], 0 offset:136
	;; [unrolled: 1-line block ×7, first 2 shown]
	s_waitcnt vmcnt(39)
	global_store_dword v[6:7], v90, off
	buffer_load_dword v6, off, s[0:3], 0 offset:160
	s_nop 0
	buffer_load_dword v7, off, s[0:3], 0 offset:164
	buffer_load_dword v90, off, s[0:3], 0 offset:168
	;; [unrolled: 1-line block ×3, first 2 shown]
	s_waitcnt vmcnt(43)
	global_store_dword v[8:9], v91, off
	s_waitcnt vmcnt(43)
	global_store_dword v[10:11], v92, off
	;; [unrolled: 2-line block ×41, first 2 shown]
.LBB43_852:
	s_endpgm
	.section	.rodata,"a",@progbits
	.p2align	6, 0x0
	.amdhsa_kernel _ZN9rocsolver6v33100L18trti2_kernel_smallILi44EfPfEEv13rocblas_fill_17rocblas_diagonal_T1_iil
		.amdhsa_group_segment_fixed_size 352
		.amdhsa_private_segment_fixed_size 192
		.amdhsa_kernarg_size 32
		.amdhsa_user_sgpr_count 8
		.amdhsa_user_sgpr_private_segment_buffer 1
		.amdhsa_user_sgpr_dispatch_ptr 0
		.amdhsa_user_sgpr_queue_ptr 0
		.amdhsa_user_sgpr_kernarg_segment_ptr 1
		.amdhsa_user_sgpr_dispatch_id 0
		.amdhsa_user_sgpr_flat_scratch_init 1
		.amdhsa_user_sgpr_kernarg_preload_length 0
		.amdhsa_user_sgpr_kernarg_preload_offset 0
		.amdhsa_user_sgpr_private_segment_size 0
		.amdhsa_uses_dynamic_stack 0
		.amdhsa_system_sgpr_private_segment_wavefront_offset 1
		.amdhsa_system_sgpr_workgroup_id_x 1
		.amdhsa_system_sgpr_workgroup_id_y 0
		.amdhsa_system_sgpr_workgroup_id_z 0
		.amdhsa_system_sgpr_workgroup_info 0
		.amdhsa_system_vgpr_workitem_id 0
		.amdhsa_next_free_vgpr 125
		.amdhsa_next_free_sgpr 20
		.amdhsa_accum_offset 128
		.amdhsa_reserve_vcc 1
		.amdhsa_reserve_flat_scratch 0
		.amdhsa_float_round_mode_32 0
		.amdhsa_float_round_mode_16_64 0
		.amdhsa_float_denorm_mode_32 3
		.amdhsa_float_denorm_mode_16_64 3
		.amdhsa_dx10_clamp 1
		.amdhsa_ieee_mode 1
		.amdhsa_fp16_overflow 0
		.amdhsa_tg_split 0
		.amdhsa_exception_fp_ieee_invalid_op 0
		.amdhsa_exception_fp_denorm_src 0
		.amdhsa_exception_fp_ieee_div_zero 0
		.amdhsa_exception_fp_ieee_overflow 0
		.amdhsa_exception_fp_ieee_underflow 0
		.amdhsa_exception_fp_ieee_inexact 0
		.amdhsa_exception_int_div_zero 0
	.end_amdhsa_kernel
	.section	.text._ZN9rocsolver6v33100L18trti2_kernel_smallILi44EfPfEEv13rocblas_fill_17rocblas_diagonal_T1_iil,"axG",@progbits,_ZN9rocsolver6v33100L18trti2_kernel_smallILi44EfPfEEv13rocblas_fill_17rocblas_diagonal_T1_iil,comdat
.Lfunc_end43:
	.size	_ZN9rocsolver6v33100L18trti2_kernel_smallILi44EfPfEEv13rocblas_fill_17rocblas_diagonal_T1_iil, .Lfunc_end43-_ZN9rocsolver6v33100L18trti2_kernel_smallILi44EfPfEEv13rocblas_fill_17rocblas_diagonal_T1_iil
                                        ; -- End function
	.section	.AMDGPU.csdata,"",@progbits
; Kernel info:
; codeLenInByte = 21640
; NumSgprs: 24
; NumVgprs: 125
; NumAgprs: 0
; TotalNumVgprs: 125
; ScratchSize: 192
; MemoryBound: 0
; FloatMode: 240
; IeeeMode: 1
; LDSByteSize: 352 bytes/workgroup (compile time only)
; SGPRBlocks: 2
; VGPRBlocks: 15
; NumSGPRsForWavesPerEU: 24
; NumVGPRsForWavesPerEU: 125
; AccumOffset: 128
; Occupancy: 4
; WaveLimiterHint : 0
; COMPUTE_PGM_RSRC2:SCRATCH_EN: 1
; COMPUTE_PGM_RSRC2:USER_SGPR: 8
; COMPUTE_PGM_RSRC2:TRAP_HANDLER: 0
; COMPUTE_PGM_RSRC2:TGID_X_EN: 1
; COMPUTE_PGM_RSRC2:TGID_Y_EN: 0
; COMPUTE_PGM_RSRC2:TGID_Z_EN: 0
; COMPUTE_PGM_RSRC2:TIDIG_COMP_CNT: 0
; COMPUTE_PGM_RSRC3_GFX90A:ACCUM_OFFSET: 31
; COMPUTE_PGM_RSRC3_GFX90A:TG_SPLIT: 0
	.section	.text._ZN9rocsolver6v33100L18trti2_kernel_smallILi45EfPfEEv13rocblas_fill_17rocblas_diagonal_T1_iil,"axG",@progbits,_ZN9rocsolver6v33100L18trti2_kernel_smallILi45EfPfEEv13rocblas_fill_17rocblas_diagonal_T1_iil,comdat
	.globl	_ZN9rocsolver6v33100L18trti2_kernel_smallILi45EfPfEEv13rocblas_fill_17rocblas_diagonal_T1_iil ; -- Begin function _ZN9rocsolver6v33100L18trti2_kernel_smallILi45EfPfEEv13rocblas_fill_17rocblas_diagonal_T1_iil
	.p2align	8
	.type	_ZN9rocsolver6v33100L18trti2_kernel_smallILi45EfPfEEv13rocblas_fill_17rocblas_diagonal_T1_iil,@function
_ZN9rocsolver6v33100L18trti2_kernel_smallILi45EfPfEEv13rocblas_fill_17rocblas_diagonal_T1_iil: ; @_ZN9rocsolver6v33100L18trti2_kernel_smallILi45EfPfEEv13rocblas_fill_17rocblas_diagonal_T1_iil
; %bb.0:
	s_add_u32 s0, s0, s9
	s_addc_u32 s1, s1, 0
	v_cmp_gt_u32_e32 vcc, 45, v0
	s_and_saveexec_b64 s[6:7], vcc
	s_cbranch_execz .LBB44_872
; %bb.1:
	s_load_dwordx8 s[12:19], s[4:5], 0x0
	s_ashr_i32 s6, s8, 31
	v_lshlrev_b32_e32 v1, 2, v0
	s_waitcnt lgkmcnt(0)
	s_mul_i32 s7, s8, s19
	s_mul_hi_u32 s9, s8, s18
	s_add_i32 s7, s9, s7
	s_mul_i32 s6, s6, s18
	s_add_i32 s7, s7, s6
	s_mul_i32 s6, s8, s18
	s_ashr_i32 s5, s16, 31
	s_lshl_b64 s[6:7], s[6:7], 2
	s_mov_b32 s4, s16
	s_add_u32 s6, s14, s6
	s_addc_u32 s7, s15, s7
	s_lshl_b64 s[4:5], s[4:5], 2
	s_add_u32 s4, s6, s4
	s_addc_u32 s5, s7, s5
	v_mov_b32_e32 v3, s5
	v_add_co_u32_e32 v2, vcc, s4, v1
	s_ashr_i32 s7, s17, 31
	s_mov_b32 s6, s17
	v_addc_co_u32_e32 v3, vcc, 0, v3, vcc
	s_lshl_b64 s[6:7], s[6:7], 2
	v_add_co_u32_e32 v4, vcc, s6, v2
	s_add_i32 s6, s17, s17
	v_add_u32_e32 v8, s6, v0
	v_mov_b32_e32 v5, s7
	v_ashrrev_i32_e32 v9, 31, v8
	v_addc_co_u32_e32 v5, vcc, v3, v5, vcc
	v_lshlrev_b64 v[6:7], 2, v[8:9]
	v_add_u32_e32 v10, s17, v8
	v_mov_b32_e32 v9, s5
	v_add_co_u32_e32 v6, vcc, s4, v6
	v_ashrrev_i32_e32 v11, 31, v10
	v_addc_co_u32_e32 v7, vcc, v9, v7, vcc
	v_lshlrev_b64 v[8:9], 2, v[10:11]
	v_add_u32_e32 v12, s17, v10
	v_mov_b32_e32 v11, s5
	v_add_co_u32_e32 v8, vcc, s4, v8
	;; [unrolled: 6-line block ×6, first 2 shown]
	v_ashrrev_i32_e32 v21, 31, v20
	v_addc_co_u32_e32 v17, vcc, v19, v17, vcc
	v_lshlrev_b64 v[18:19], 2, v[20:21]
	v_mov_b32_e32 v21, s5
	v_add_co_u32_e32 v18, vcc, s4, v18
	global_load_dword v31, v1, s[4:5]
	v_addc_co_u32_e32 v19, vcc, v21, v19, vcc
	global_load_dword v35, v[4:5], off
	global_load_dword v33, v[6:7], off
	;; [unrolled: 1-line block ×8, first 2 shown]
	v_add_u32_e32 v22, s17, v20
	v_ashrrev_i32_e32 v23, 31, v22
	v_lshlrev_b64 v[20:21], 2, v[22:23]
	v_add_u32_e32 v24, s17, v22
	v_mov_b32_e32 v23, s5
	v_add_co_u32_e32 v20, vcc, s4, v20
	v_ashrrev_i32_e32 v25, 31, v24
	v_addc_co_u32_e32 v21, vcc, v23, v21, vcc
	v_lshlrev_b64 v[22:23], 2, v[24:25]
	v_add_u32_e32 v26, s17, v24
	v_mov_b32_e32 v25, s5
	v_add_co_u32_e32 v22, vcc, s4, v22
	v_ashrrev_i32_e32 v27, 31, v26
	v_addc_co_u32_e32 v23, vcc, v25, v23, vcc
	v_lshlrev_b64 v[24:25], 2, v[26:27]
	v_mov_b32_e32 v27, s5
	v_add_co_u32_e32 v24, vcc, s4, v24
	v_addc_co_u32_e32 v25, vcc, v27, v25, vcc
	global_load_dword v49, v[20:21], off
	global_load_dword v92, v[22:23], off
	global_load_dword v51, v[24:25], off
	v_add_u32_e32 v30, s17, v26
	v_add_u32_e32 v32, s17, v30
	;; [unrolled: 1-line block ×32, first 2 shown]
	v_ashrrev_i32_e32 v29, 31, v28
	v_lshlrev_b64 v[26:27], 2, v[28:29]
	v_mov_b32_e32 v29, s5
	v_add_co_u32_e32 v26, vcc, s4, v26
	v_add_u32_e32 v28, s17, v28
	v_addc_co_u32_e32 v27, vcc, v29, v27, vcc
	v_ashrrev_i32_e32 v29, 31, v28
	v_lshlrev_b64 v[28:29], 2, v[28:29]
	v_mov_b32_e32 v53, s5
	v_add_co_u32_e32 v28, vcc, s4, v28
	v_addc_co_u32_e32 v29, vcc, v53, v29, vcc
	global_load_dword v93, v[26:27], off
	global_load_dword v94, v[28:29], off
	s_waitcnt vmcnt(13)
	buffer_store_dword v31, off, s[0:3], 0
	s_waitcnt vmcnt(13)
	buffer_store_dword v35, off, s[0:3], 0 offset:4
	s_waitcnt vmcnt(12)
	buffer_store_dword v47, off, s[0:3], 0 offset:12
	buffer_store_dword v33, off, s[0:3], 0 offset:8
	s_waitcnt vmcnt(13)
	buffer_store_dword v37, off, s[0:3], 0 offset:16
	s_waitcnt vmcnt(13)
	;; [unrolled: 2-line block ×5, first 2 shown]
	buffer_store_dword v45, off, s[0:3], 0 offset:32
	v_ashrrev_i32_e32 v31, 31, v30
	v_lshlrev_b64 v[30:31], 2, v[30:31]
	v_mov_b32_e32 v33, s5
	v_add_co_u32_e32 v30, vcc, s4, v30
	v_addc_co_u32_e32 v31, vcc, v33, v31, vcc
	v_ashrrev_i32_e32 v33, 31, v32
	v_lshlrev_b64 v[32:33], 2, v[32:33]
	v_mov_b32_e32 v35, s5
	v_add_co_u32_e32 v32, vcc, s4, v32
	v_addc_co_u32_e32 v33, vcc, v35, v33, vcc
	;; [unrolled: 5-line block ×8, first 2 shown]
	v_ashrrev_i32_e32 v47, 31, v46
	v_lshlrev_b64 v[46:47], 2, v[46:47]
	global_load_dword v95, v[30:31], off
	global_load_dword v96, v[32:33], off
	;; [unrolled: 1-line block ×5, first 2 shown]
	s_waitcnt vmcnt(18)
	buffer_store_dword v49, off, s[0:3], 0 offset:36
	s_waitcnt vmcnt(17)
	buffer_store_dword v51, off, s[0:3], 0 offset:44
	v_mov_b32_e32 v49, s5
	v_add_co_u32_e32 v46, vcc, s4, v46
	v_addc_co_u32_e32 v47, vcc, v49, v47, vcc
	v_ashrrev_i32_e32 v49, 31, v48
	v_lshlrev_b64 v[48:49], 2, v[48:49]
	v_mov_b32_e32 v51, s5
	v_add_co_u32_e32 v48, vcc, s4, v48
	v_addc_co_u32_e32 v49, vcc, v51, v49, vcc
	v_ashrrev_i32_e32 v51, 31, v50
	v_lshlrev_b64 v[50:51], 2, v[50:51]
	v_add_co_u32_e32 v50, vcc, s4, v50
	v_addc_co_u32_e32 v51, vcc, v53, v51, vcc
	v_ashrrev_i32_e32 v53, 31, v52
	v_lshlrev_b64 v[52:53], 2, v[52:53]
	v_mov_b32_e32 v55, s5
	v_add_co_u32_e32 v52, vcc, s4, v52
	v_addc_co_u32_e32 v53, vcc, v55, v53, vcc
	v_ashrrev_i32_e32 v55, 31, v54
	v_lshlrev_b64 v[54:55], 2, v[54:55]
	v_mov_b32_e32 v57, s5
	;; [unrolled: 5-line block ×19, first 2 shown]
	v_add_co_u32_e32 v88, vcc, s4, v88
	global_load_dword v100, v[40:41], off
	global_load_dword v101, v[42:43], off
	;; [unrolled: 1-line block ×16, first 2 shown]
	v_addc_co_u32_e32 v89, vcc, v91, v89, vcc
	global_load_dword v117, v[72:73], off
	global_load_dword v118, v[74:75], off
	global_load_dword v119, v[76:77], off
	global_load_dword v120, v[78:79], off
	global_load_dword v121, v[80:81], off
	global_load_dword v122, v[82:83], off
	global_load_dword v123, v[84:85], off
	v_ashrrev_i32_e32 v91, 31, v90
	buffer_store_dword v92, off, s[0:3], 0 offset:40
	global_load_dword v92, v[88:89], off
	s_nop 0
	global_load_dword v124, v[86:87], off
	v_lshlrev_b64 v[90:91], 2, v[90:91]
	v_mov_b32_e32 v114, s5
	v_add_co_u32_e32 v90, vcc, s4, v90
	v_addc_co_u32_e32 v91, vcc, v114, v91, vcc
	s_waitcnt vmcnt(32)
	buffer_store_dword v95, off, s[0:3], 0 offset:48
	global_load_dword v95, v[90:91], off
	s_cmpk_lg_i32 s13, 0x84
	s_waitcnt vmcnt(33)
	buffer_store_dword v96, off, s[0:3], 0 offset:52
	v_mov_b32_e32 v114, 0
	s_waitcnt vmcnt(33)
	buffer_store_dword v97, off, s[0:3], 0 offset:56
	s_waitcnt vmcnt(33)
	buffer_store_dword v98, off, s[0:3], 0 offset:60
	;; [unrolled: 2-line block ×7, first 2 shown]
	buffer_store_dword v103, off, s[0:3], 0 offset:80
	s_waitcnt vmcnt(30)
	buffer_store_dword v106, off, s[0:3], 0 offset:92
	buffer_store_dword v105, off, s[0:3], 0 offset:88
	s_waitcnt vmcnt(30)
	buffer_store_dword v108, off, s[0:3], 0 offset:100
	;; [unrolled: 3-line block ×10, first 2 shown]
	s_waitcnt vmcnt(30)
	buffer_store_dword v124, off, s[0:3], 0 offset:160
	buffer_store_dword v93, off, s[0:3], 0 offset:172
	s_waitcnt vmcnt(30)
	buffer_store_dword v95, off, s[0:3], 0 offset:168
	buffer_store_dword v94, off, s[0:3], 0 offset:176
	s_cselect_b64 s[10:11], -1, 0
	s_cmpk_eq_i32 s13, 0x84
	v_mov_b32_e32 v92, -1.0
	s_cbranch_scc1 .LBB44_3
; %bb.2:
	v_lshl_add_u32 v92, v0, 2, v114
	buffer_load_dword v93, v92, s[0:3], 0 offen
	s_waitcnt vmcnt(0)
	v_div_scale_f32 v94, s[4:5], v93, v93, 1.0
	v_rcp_f32_e32 v95, v94
	v_div_scale_f32 v96, vcc, 1.0, v93, 1.0
	v_fma_f32 v97, -v94, v95, 1.0
	v_fmac_f32_e32 v95, v97, v95
	v_mul_f32_e32 v97, v96, v95
	v_fma_f32 v98, -v94, v97, v96
	v_fmac_f32_e32 v97, v98, v95
	v_fma_f32 v94, -v94, v97, v96
	v_div_fmas_f32 v94, v94, v95, v97
	v_div_fixup_f32 v93, v94, v93, 1.0
	buffer_store_dword v93, v92, s[0:3], 0 offen
	v_xor_b32_e32 v92, 0x80000000, v93
.LBB44_3:
	ds_write_b32 v1, v92
	s_cmpk_eq_i32 s12, 0x79
	v_add_u32_e32 v92, 0xc0, v1
	v_add_u32_e32 v93, 0, v1
	s_mov_b64 s[4:5], -1
	s_cbranch_scc1 .LBB44_437
; %bb.4:
	buffer_load_dword v94, off, s[0:3], 0 offset:172
	v_cmp_eq_u32_e64 s[4:5], 44, v0
	s_waitcnt vmcnt(0)
	ds_write_b32 v92, v94
	s_waitcnt lgkmcnt(0)
	; wave barrier
	s_waitcnt lgkmcnt(0)
	s_and_saveexec_b64 s[6:7], s[4:5]
	s_cbranch_execz .LBB44_10
; %bb.5:
	s_and_b64 vcc, exec, s[10:11]
	s_cbranch_vccz .LBB44_7
; %bb.6:
	buffer_load_dword v94, v93, s[0:3], 0 offen
	ds_read_b32 v95, v92
	s_waitcnt vmcnt(0) lgkmcnt(0)
	v_mul_f32_e32 v94, v94, v95
	s_cbranch_execz .LBB44_8
	s_branch .LBB44_9
.LBB44_7:
                                        ; implicit-def: $vgpr94
.LBB44_8:
	ds_read_b32 v94, v92
.LBB44_9:
	v_mov_b32_e32 v95, 0
	ds_read_b32 v95, v95 offset:172
	s_waitcnt lgkmcnt(0)
	v_mul_f32_e32 v94, v94, v95
	buffer_store_dword v94, off, s[0:3], 0 offset:172
.LBB44_10:
	s_or_b64 exec, exec, s[6:7]
	buffer_load_dword v115, off, s[0:3], 0 offset:168
	v_or_b32_e32 v94, 8, v114
	v_add_u32_e32 v95, 16, v114
	v_add_u32_e32 v96, 24, v114
	;; [unrolled: 1-line block ×20, first 2 shown]
	v_cmp_lt_u32_e64 s[8:9], 42, v0
	s_waitcnt vmcnt(0)
	ds_write_b32 v92, v115
	s_waitcnt lgkmcnt(0)
	; wave barrier
	s_waitcnt lgkmcnt(0)
	s_and_saveexec_b64 s[6:7], s[8:9]
	s_cbranch_execz .LBB44_16
; %bb.11:
	s_andn2_b64 vcc, exec, s[10:11]
	s_cbranch_vccnz .LBB44_13
; %bb.12:
	buffer_load_dword v115, v93, s[0:3], 0 offen
	ds_read_b32 v116, v92
	s_waitcnt vmcnt(0) lgkmcnt(0)
	v_mul_f32_e32 v115, v115, v116
	s_cbranch_execz .LBB44_14
	s_branch .LBB44_15
.LBB44_13:
                                        ; implicit-def: $vgpr115
.LBB44_14:
	ds_read_b32 v115, v92
.LBB44_15:
	buffer_load_dword v118, off, s[0:3], 0 offset:172
	v_mov_b32_e32 v116, 0
	ds_read2_b32 v[116:117], v116 offset0:42 offset1:91
	s_waitcnt vmcnt(0) lgkmcnt(0)
	v_fma_f32 v117, v118, v117, v115
	v_cndmask_b32_e64 v115, v115, v117, s[4:5]
	v_mul_f32_e32 v115, v115, v116
	buffer_store_dword v115, off, s[0:3], 0 offset:168
.LBB44_16:
	s_or_b64 exec, exec, s[6:7]
	buffer_load_dword v115, off, s[0:3], 0 offset:164
	v_cmp_lt_u32_e64 s[6:7], 41, v0
	s_waitcnt vmcnt(0)
	ds_write_b32 v92, v115
	s_waitcnt lgkmcnt(0)
	; wave barrier
	s_waitcnt lgkmcnt(0)
	s_and_saveexec_b64 s[4:5], s[6:7]
	s_cbranch_execz .LBB44_26
; %bb.17:
	s_andn2_b64 vcc, exec, s[10:11]
	s_cbranch_vccnz .LBB44_19
; %bb.18:
	buffer_load_dword v115, v93, s[0:3], 0 offen
	ds_read_b32 v116, v92
	s_waitcnt vmcnt(0) lgkmcnt(0)
	v_mul_f32_e32 v115, v115, v116
	s_cbranch_execz .LBB44_20
	s_branch .LBB44_21
.LBB44_19:
                                        ; implicit-def: $vgpr115
.LBB44_20:
	ds_read_b32 v115, v92
.LBB44_21:
	s_and_saveexec_b64 s[12:13], s[8:9]
	s_cbranch_execz .LBB44_25
; %bb.22:
	v_subrev_u32_e32 v116, 42, v0
	s_movk_i32 s14, 0x168
	s_mov_b64 s[8:9], 0
.LBB44_23:                              ; =>This Inner Loop Header: Depth=1
	buffer_load_dword v117, v114, s[0:3], 0 offen
	v_mov_b32_e32 v118, s14
	ds_read_b32 v118, v118
	v_add_u32_e32 v116, -1, v116
	s_add_i32 s14, s14, 4
	v_cmp_eq_u32_e32 vcc, 0, v116
	v_add_u32_e32 v114, 4, v114
	s_or_b64 s[8:9], vcc, s[8:9]
	s_waitcnt vmcnt(0) lgkmcnt(0)
	v_fmac_f32_e32 v115, v117, v118
	s_andn2_b64 exec, exec, s[8:9]
	s_cbranch_execnz .LBB44_23
; %bb.24:
	s_or_b64 exec, exec, s[8:9]
.LBB44_25:
	s_or_b64 exec, exec, s[12:13]
	v_mov_b32_e32 v114, 0
	ds_read_b32 v114, v114 offset:164
	s_waitcnt lgkmcnt(0)
	v_mul_f32_e32 v114, v115, v114
	buffer_store_dword v114, off, s[0:3], 0 offset:164
.LBB44_26:
	s_or_b64 exec, exec, s[4:5]
	buffer_load_dword v114, off, s[0:3], 0 offset:160
	v_cmp_lt_u32_e64 s[4:5], 40, v0
	s_waitcnt vmcnt(0)
	ds_write_b32 v92, v114
	s_waitcnt lgkmcnt(0)
	; wave barrier
	s_waitcnt lgkmcnt(0)
	s_and_saveexec_b64 s[8:9], s[4:5]
	s_cbranch_execz .LBB44_36
; %bb.27:
	s_andn2_b64 vcc, exec, s[10:11]
	s_cbranch_vccnz .LBB44_29
; %bb.28:
	buffer_load_dword v114, v93, s[0:3], 0 offen
	ds_read_b32 v115, v92
	s_waitcnt vmcnt(0) lgkmcnt(0)
	v_mul_f32_e32 v114, v114, v115
	s_cbranch_execz .LBB44_30
	s_branch .LBB44_31
.LBB44_29:
                                        ; implicit-def: $vgpr114
.LBB44_30:
	ds_read_b32 v114, v92
.LBB44_31:
	s_and_saveexec_b64 s[12:13], s[6:7]
	s_cbranch_execz .LBB44_35
; %bb.32:
	v_mov_b32_e32 v115, 0
	v_add_u32_e32 v115, 0xa4, v115
	v_subrev_u32_e32 v116, 41, v0
	s_movk_i32 s14, 0x164
	s_mov_b64 s[6:7], 0
.LBB44_33:                              ; =>This Inner Loop Header: Depth=1
	buffer_load_dword v117, v115, s[0:3], 0 offen
	v_mov_b32_e32 v118, s14
	ds_read_b32 v118, v118
	v_add_u32_e32 v116, -1, v116
	s_add_i32 s14, s14, 4
	v_cmp_eq_u32_e32 vcc, 0, v116
	v_add_u32_e32 v115, 4, v115
	s_or_b64 s[6:7], vcc, s[6:7]
	s_waitcnt vmcnt(0) lgkmcnt(0)
	v_fmac_f32_e32 v114, v117, v118
	s_andn2_b64 exec, exec, s[6:7]
	s_cbranch_execnz .LBB44_33
; %bb.34:
	s_or_b64 exec, exec, s[6:7]
.LBB44_35:
	s_or_b64 exec, exec, s[12:13]
	v_mov_b32_e32 v115, 0
	ds_read_b32 v115, v115 offset:160
	s_waitcnt lgkmcnt(0)
	v_mul_f32_e32 v114, v114, v115
	buffer_store_dword v114, off, s[0:3], 0 offset:160
.LBB44_36:
	s_or_b64 exec, exec, s[8:9]
	buffer_load_dword v114, off, s[0:3], 0 offset:156
	v_cmp_lt_u32_e64 s[6:7], 39, v0
	s_waitcnt vmcnt(0)
	ds_write_b32 v92, v114
	s_waitcnt lgkmcnt(0)
	; wave barrier
	s_waitcnt lgkmcnt(0)
	s_and_saveexec_b64 s[8:9], s[6:7]
	s_cbranch_execz .LBB44_46
; %bb.37:
	s_andn2_b64 vcc, exec, s[10:11]
	s_cbranch_vccnz .LBB44_39
; %bb.38:
	buffer_load_dword v114, v93, s[0:3], 0 offen
	ds_read_b32 v115, v92
	s_waitcnt vmcnt(0) lgkmcnt(0)
	v_mul_f32_e32 v114, v114, v115
	s_cbranch_execz .LBB44_40
	s_branch .LBB44_41
.LBB44_39:
                                        ; implicit-def: $vgpr114
.LBB44_40:
	ds_read_b32 v114, v92
.LBB44_41:
	s_and_saveexec_b64 s[12:13], s[4:5]
	s_cbranch_execz .LBB44_45
; %bb.42:
	v_subrev_u32_e32 v115, 40, v0
	s_movk_i32 s14, 0x160
	s_mov_b64 s[4:5], 0
.LBB44_43:                              ; =>This Inner Loop Header: Depth=1
	buffer_load_dword v116, v113, s[0:3], 0 offen
	v_mov_b32_e32 v117, s14
	ds_read_b32 v117, v117
	v_add_u32_e32 v115, -1, v115
	s_add_i32 s14, s14, 4
	v_cmp_eq_u32_e32 vcc, 0, v115
	v_add_u32_e32 v113, 4, v113
	s_or_b64 s[4:5], vcc, s[4:5]
	s_waitcnt vmcnt(0) lgkmcnt(0)
	v_fmac_f32_e32 v114, v116, v117
	s_andn2_b64 exec, exec, s[4:5]
	s_cbranch_execnz .LBB44_43
; %bb.44:
	s_or_b64 exec, exec, s[4:5]
.LBB44_45:
	s_or_b64 exec, exec, s[12:13]
	v_mov_b32_e32 v113, 0
	ds_read_b32 v113, v113 offset:156
	s_waitcnt lgkmcnt(0)
	v_mul_f32_e32 v113, v114, v113
	buffer_store_dword v113, off, s[0:3], 0 offset:156
.LBB44_46:
	s_or_b64 exec, exec, s[8:9]
	buffer_load_dword v113, off, s[0:3], 0 offset:152
	v_cmp_lt_u32_e64 s[4:5], 38, v0
	s_waitcnt vmcnt(0)
	ds_write_b32 v92, v113
	s_waitcnt lgkmcnt(0)
	; wave barrier
	s_waitcnt lgkmcnt(0)
	s_and_saveexec_b64 s[8:9], s[4:5]
	s_cbranch_execz .LBB44_56
; %bb.47:
	s_andn2_b64 vcc, exec, s[10:11]
	s_cbranch_vccnz .LBB44_49
; %bb.48:
	buffer_load_dword v113, v93, s[0:3], 0 offen
	ds_read_b32 v114, v92
	s_waitcnt vmcnt(0) lgkmcnt(0)
	v_mul_f32_e32 v113, v113, v114
	s_cbranch_execz .LBB44_50
	s_branch .LBB44_51
.LBB44_49:
                                        ; implicit-def: $vgpr113
.LBB44_50:
	ds_read_b32 v113, v92
.LBB44_51:
	s_and_saveexec_b64 s[12:13], s[6:7]
	s_cbranch_execz .LBB44_55
; %bb.52:
	v_mov_b32_e32 v114, 0
	v_add_u32_e32 v114, 0x9c, v114
	v_subrev_u32_e32 v115, 39, v0
	s_movk_i32 s14, 0x15c
	s_mov_b64 s[6:7], 0
.LBB44_53:                              ; =>This Inner Loop Header: Depth=1
	buffer_load_dword v116, v114, s[0:3], 0 offen
	v_mov_b32_e32 v117, s14
	ds_read_b32 v117, v117
	v_add_u32_e32 v115, -1, v115
	s_add_i32 s14, s14, 4
	v_cmp_eq_u32_e32 vcc, 0, v115
	v_add_u32_e32 v114, 4, v114
	s_or_b64 s[6:7], vcc, s[6:7]
	s_waitcnt vmcnt(0) lgkmcnt(0)
	v_fmac_f32_e32 v113, v116, v117
	s_andn2_b64 exec, exec, s[6:7]
	s_cbranch_execnz .LBB44_53
; %bb.54:
	s_or_b64 exec, exec, s[6:7]
.LBB44_55:
	s_or_b64 exec, exec, s[12:13]
	v_mov_b32_e32 v114, 0
	ds_read_b32 v114, v114 offset:152
	s_waitcnt lgkmcnt(0)
	v_mul_f32_e32 v113, v113, v114
	buffer_store_dword v113, off, s[0:3], 0 offset:152
.LBB44_56:
	s_or_b64 exec, exec, s[8:9]
	buffer_load_dword v113, off, s[0:3], 0 offset:148
	v_cmp_lt_u32_e64 s[6:7], 37, v0
	s_waitcnt vmcnt(0)
	ds_write_b32 v92, v113
	s_waitcnt lgkmcnt(0)
	; wave barrier
	s_waitcnt lgkmcnt(0)
	s_and_saveexec_b64 s[8:9], s[6:7]
	s_cbranch_execz .LBB44_66
; %bb.57:
	s_andn2_b64 vcc, exec, s[10:11]
	s_cbranch_vccnz .LBB44_59
; %bb.58:
	buffer_load_dword v113, v93, s[0:3], 0 offen
	ds_read_b32 v114, v92
	s_waitcnt vmcnt(0) lgkmcnt(0)
	v_mul_f32_e32 v113, v113, v114
	s_cbranch_execz .LBB44_60
	s_branch .LBB44_61
.LBB44_59:
                                        ; implicit-def: $vgpr113
.LBB44_60:
	ds_read_b32 v113, v92
.LBB44_61:
	s_and_saveexec_b64 s[12:13], s[4:5]
	s_cbranch_execz .LBB44_65
; %bb.62:
	v_subrev_u32_e32 v114, 38, v0
	s_movk_i32 s14, 0x158
	s_mov_b64 s[4:5], 0
.LBB44_63:                              ; =>This Inner Loop Header: Depth=1
	buffer_load_dword v115, v112, s[0:3], 0 offen
	v_mov_b32_e32 v116, s14
	ds_read_b32 v116, v116
	v_add_u32_e32 v114, -1, v114
	s_add_i32 s14, s14, 4
	v_cmp_eq_u32_e32 vcc, 0, v114
	v_add_u32_e32 v112, 4, v112
	s_or_b64 s[4:5], vcc, s[4:5]
	s_waitcnt vmcnt(0) lgkmcnt(0)
	v_fmac_f32_e32 v113, v115, v116
	s_andn2_b64 exec, exec, s[4:5]
	s_cbranch_execnz .LBB44_63
; %bb.64:
	s_or_b64 exec, exec, s[4:5]
.LBB44_65:
	s_or_b64 exec, exec, s[12:13]
	v_mov_b32_e32 v112, 0
	ds_read_b32 v112, v112 offset:148
	s_waitcnt lgkmcnt(0)
	v_mul_f32_e32 v112, v113, v112
	buffer_store_dword v112, off, s[0:3], 0 offset:148
.LBB44_66:
	s_or_b64 exec, exec, s[8:9]
	buffer_load_dword v112, off, s[0:3], 0 offset:144
	v_cmp_lt_u32_e64 s[4:5], 36, v0
	s_waitcnt vmcnt(0)
	ds_write_b32 v92, v112
	s_waitcnt lgkmcnt(0)
	; wave barrier
	s_waitcnt lgkmcnt(0)
	s_and_saveexec_b64 s[8:9], s[4:5]
	s_cbranch_execz .LBB44_76
; %bb.67:
	s_andn2_b64 vcc, exec, s[10:11]
	s_cbranch_vccnz .LBB44_69
; %bb.68:
	buffer_load_dword v112, v93, s[0:3], 0 offen
	ds_read_b32 v113, v92
	s_waitcnt vmcnt(0) lgkmcnt(0)
	v_mul_f32_e32 v112, v112, v113
	s_cbranch_execz .LBB44_70
	s_branch .LBB44_71
.LBB44_69:
                                        ; implicit-def: $vgpr112
.LBB44_70:
	ds_read_b32 v112, v92
.LBB44_71:
	s_and_saveexec_b64 s[12:13], s[6:7]
	s_cbranch_execz .LBB44_75
; %bb.72:
	v_mov_b32_e32 v113, 0
	v_add_u32_e32 v113, 0x94, v113
	v_subrev_u32_e32 v114, 37, v0
	s_movk_i32 s14, 0x154
	s_mov_b64 s[6:7], 0
.LBB44_73:                              ; =>This Inner Loop Header: Depth=1
	buffer_load_dword v115, v113, s[0:3], 0 offen
	v_mov_b32_e32 v116, s14
	ds_read_b32 v116, v116
	v_add_u32_e32 v114, -1, v114
	s_add_i32 s14, s14, 4
	v_cmp_eq_u32_e32 vcc, 0, v114
	v_add_u32_e32 v113, 4, v113
	s_or_b64 s[6:7], vcc, s[6:7]
	s_waitcnt vmcnt(0) lgkmcnt(0)
	v_fmac_f32_e32 v112, v115, v116
	s_andn2_b64 exec, exec, s[6:7]
	s_cbranch_execnz .LBB44_73
; %bb.74:
	s_or_b64 exec, exec, s[6:7]
.LBB44_75:
	s_or_b64 exec, exec, s[12:13]
	v_mov_b32_e32 v113, 0
	ds_read_b32 v113, v113 offset:144
	s_waitcnt lgkmcnt(0)
	v_mul_f32_e32 v112, v112, v113
	buffer_store_dword v112, off, s[0:3], 0 offset:144
.LBB44_76:
	s_or_b64 exec, exec, s[8:9]
	buffer_load_dword v112, off, s[0:3], 0 offset:140
	v_cmp_lt_u32_e64 s[6:7], 35, v0
	s_waitcnt vmcnt(0)
	ds_write_b32 v92, v112
	s_waitcnt lgkmcnt(0)
	; wave barrier
	s_waitcnt lgkmcnt(0)
	s_and_saveexec_b64 s[8:9], s[6:7]
	s_cbranch_execz .LBB44_86
; %bb.77:
	s_andn2_b64 vcc, exec, s[10:11]
	s_cbranch_vccnz .LBB44_79
; %bb.78:
	buffer_load_dword v112, v93, s[0:3], 0 offen
	ds_read_b32 v113, v92
	s_waitcnt vmcnt(0) lgkmcnt(0)
	v_mul_f32_e32 v112, v112, v113
	s_cbranch_execz .LBB44_80
	s_branch .LBB44_81
.LBB44_79:
                                        ; implicit-def: $vgpr112
.LBB44_80:
	ds_read_b32 v112, v92
.LBB44_81:
	s_and_saveexec_b64 s[12:13], s[4:5]
	s_cbranch_execz .LBB44_85
; %bb.82:
	v_subrev_u32_e32 v113, 36, v0
	s_movk_i32 s14, 0x150
	s_mov_b64 s[4:5], 0
.LBB44_83:                              ; =>This Inner Loop Header: Depth=1
	buffer_load_dword v114, v111, s[0:3], 0 offen
	v_mov_b32_e32 v115, s14
	ds_read_b32 v115, v115
	v_add_u32_e32 v113, -1, v113
	s_add_i32 s14, s14, 4
	v_cmp_eq_u32_e32 vcc, 0, v113
	v_add_u32_e32 v111, 4, v111
	s_or_b64 s[4:5], vcc, s[4:5]
	s_waitcnt vmcnt(0) lgkmcnt(0)
	v_fmac_f32_e32 v112, v114, v115
	s_andn2_b64 exec, exec, s[4:5]
	s_cbranch_execnz .LBB44_83
; %bb.84:
	s_or_b64 exec, exec, s[4:5]
.LBB44_85:
	s_or_b64 exec, exec, s[12:13]
	v_mov_b32_e32 v111, 0
	ds_read_b32 v111, v111 offset:140
	s_waitcnt lgkmcnt(0)
	v_mul_f32_e32 v111, v112, v111
	buffer_store_dword v111, off, s[0:3], 0 offset:140
.LBB44_86:
	s_or_b64 exec, exec, s[8:9]
	buffer_load_dword v111, off, s[0:3], 0 offset:136
	v_cmp_lt_u32_e64 s[4:5], 34, v0
	s_waitcnt vmcnt(0)
	ds_write_b32 v92, v111
	s_waitcnt lgkmcnt(0)
	; wave barrier
	s_waitcnt lgkmcnt(0)
	s_and_saveexec_b64 s[8:9], s[4:5]
	s_cbranch_execz .LBB44_96
; %bb.87:
	s_andn2_b64 vcc, exec, s[10:11]
	s_cbranch_vccnz .LBB44_89
; %bb.88:
	buffer_load_dword v111, v93, s[0:3], 0 offen
	ds_read_b32 v112, v92
	s_waitcnt vmcnt(0) lgkmcnt(0)
	v_mul_f32_e32 v111, v111, v112
	s_cbranch_execz .LBB44_90
	s_branch .LBB44_91
.LBB44_89:
                                        ; implicit-def: $vgpr111
.LBB44_90:
	ds_read_b32 v111, v92
.LBB44_91:
	s_and_saveexec_b64 s[12:13], s[6:7]
	s_cbranch_execz .LBB44_95
; %bb.92:
	v_mov_b32_e32 v112, 0
	v_add_u32_e32 v112, 0x8c, v112
	v_subrev_u32_e32 v113, 35, v0
	s_movk_i32 s14, 0x14c
	s_mov_b64 s[6:7], 0
.LBB44_93:                              ; =>This Inner Loop Header: Depth=1
	buffer_load_dword v114, v112, s[0:3], 0 offen
	v_mov_b32_e32 v115, s14
	ds_read_b32 v115, v115
	v_add_u32_e32 v113, -1, v113
	s_add_i32 s14, s14, 4
	v_cmp_eq_u32_e32 vcc, 0, v113
	v_add_u32_e32 v112, 4, v112
	s_or_b64 s[6:7], vcc, s[6:7]
	s_waitcnt vmcnt(0) lgkmcnt(0)
	v_fmac_f32_e32 v111, v114, v115
	s_andn2_b64 exec, exec, s[6:7]
	s_cbranch_execnz .LBB44_93
; %bb.94:
	s_or_b64 exec, exec, s[6:7]
.LBB44_95:
	s_or_b64 exec, exec, s[12:13]
	v_mov_b32_e32 v112, 0
	ds_read_b32 v112, v112 offset:136
	s_waitcnt lgkmcnt(0)
	v_mul_f32_e32 v111, v111, v112
	buffer_store_dword v111, off, s[0:3], 0 offset:136
.LBB44_96:
	s_or_b64 exec, exec, s[8:9]
	buffer_load_dword v111, off, s[0:3], 0 offset:132
	v_cmp_lt_u32_e64 s[6:7], 33, v0
	s_waitcnt vmcnt(0)
	ds_write_b32 v92, v111
	s_waitcnt lgkmcnt(0)
	; wave barrier
	s_waitcnt lgkmcnt(0)
	s_and_saveexec_b64 s[8:9], s[6:7]
	s_cbranch_execz .LBB44_106
; %bb.97:
	s_andn2_b64 vcc, exec, s[10:11]
	s_cbranch_vccnz .LBB44_99
; %bb.98:
	buffer_load_dword v111, v93, s[0:3], 0 offen
	ds_read_b32 v112, v92
	s_waitcnt vmcnt(0) lgkmcnt(0)
	v_mul_f32_e32 v111, v111, v112
	s_cbranch_execz .LBB44_100
	s_branch .LBB44_101
.LBB44_99:
                                        ; implicit-def: $vgpr111
.LBB44_100:
	ds_read_b32 v111, v92
.LBB44_101:
	s_and_saveexec_b64 s[12:13], s[4:5]
	s_cbranch_execz .LBB44_105
; %bb.102:
	v_subrev_u32_e32 v112, 34, v0
	s_movk_i32 s14, 0x148
	s_mov_b64 s[4:5], 0
.LBB44_103:                             ; =>This Inner Loop Header: Depth=1
	buffer_load_dword v113, v110, s[0:3], 0 offen
	v_mov_b32_e32 v114, s14
	ds_read_b32 v114, v114
	v_add_u32_e32 v112, -1, v112
	s_add_i32 s14, s14, 4
	v_cmp_eq_u32_e32 vcc, 0, v112
	v_add_u32_e32 v110, 4, v110
	s_or_b64 s[4:5], vcc, s[4:5]
	s_waitcnt vmcnt(0) lgkmcnt(0)
	v_fmac_f32_e32 v111, v113, v114
	s_andn2_b64 exec, exec, s[4:5]
	s_cbranch_execnz .LBB44_103
; %bb.104:
	s_or_b64 exec, exec, s[4:5]
.LBB44_105:
	s_or_b64 exec, exec, s[12:13]
	v_mov_b32_e32 v110, 0
	ds_read_b32 v110, v110 offset:132
	s_waitcnt lgkmcnt(0)
	v_mul_f32_e32 v110, v111, v110
	buffer_store_dword v110, off, s[0:3], 0 offset:132
.LBB44_106:
	s_or_b64 exec, exec, s[8:9]
	buffer_load_dword v110, off, s[0:3], 0 offset:128
	v_cmp_lt_u32_e64 s[4:5], 32, v0
	s_waitcnt vmcnt(0)
	ds_write_b32 v92, v110
	s_waitcnt lgkmcnt(0)
	; wave barrier
	s_waitcnt lgkmcnt(0)
	s_and_saveexec_b64 s[8:9], s[4:5]
	s_cbranch_execz .LBB44_116
; %bb.107:
	s_andn2_b64 vcc, exec, s[10:11]
	s_cbranch_vccnz .LBB44_109
; %bb.108:
	buffer_load_dword v110, v93, s[0:3], 0 offen
	ds_read_b32 v111, v92
	s_waitcnt vmcnt(0) lgkmcnt(0)
	v_mul_f32_e32 v110, v110, v111
	s_cbranch_execz .LBB44_110
	s_branch .LBB44_111
.LBB44_109:
                                        ; implicit-def: $vgpr110
.LBB44_110:
	ds_read_b32 v110, v92
.LBB44_111:
	s_and_saveexec_b64 s[12:13], s[6:7]
	s_cbranch_execz .LBB44_115
; %bb.112:
	v_mov_b32_e32 v111, 0
	v_add_u32_e32 v111, 0x84, v111
	v_subrev_u32_e32 v112, 33, v0
	s_movk_i32 s14, 0x144
	s_mov_b64 s[6:7], 0
.LBB44_113:                             ; =>This Inner Loop Header: Depth=1
	buffer_load_dword v113, v111, s[0:3], 0 offen
	v_mov_b32_e32 v114, s14
	ds_read_b32 v114, v114
	v_add_u32_e32 v112, -1, v112
	s_add_i32 s14, s14, 4
	v_cmp_eq_u32_e32 vcc, 0, v112
	v_add_u32_e32 v111, 4, v111
	s_or_b64 s[6:7], vcc, s[6:7]
	s_waitcnt vmcnt(0) lgkmcnt(0)
	v_fmac_f32_e32 v110, v113, v114
	s_andn2_b64 exec, exec, s[6:7]
	s_cbranch_execnz .LBB44_113
; %bb.114:
	s_or_b64 exec, exec, s[6:7]
.LBB44_115:
	s_or_b64 exec, exec, s[12:13]
	v_mov_b32_e32 v111, 0
	ds_read_b32 v111, v111 offset:128
	s_waitcnt lgkmcnt(0)
	v_mul_f32_e32 v110, v110, v111
	buffer_store_dword v110, off, s[0:3], 0 offset:128
.LBB44_116:
	s_or_b64 exec, exec, s[8:9]
	buffer_load_dword v110, off, s[0:3], 0 offset:124
	v_cmp_lt_u32_e64 s[6:7], 31, v0
	s_waitcnt vmcnt(0)
	ds_write_b32 v92, v110
	s_waitcnt lgkmcnt(0)
	; wave barrier
	s_waitcnt lgkmcnt(0)
	s_and_saveexec_b64 s[8:9], s[6:7]
	s_cbranch_execz .LBB44_126
; %bb.117:
	s_andn2_b64 vcc, exec, s[10:11]
	s_cbranch_vccnz .LBB44_119
; %bb.118:
	buffer_load_dword v110, v93, s[0:3], 0 offen
	ds_read_b32 v111, v92
	s_waitcnt vmcnt(0) lgkmcnt(0)
	v_mul_f32_e32 v110, v110, v111
	s_cbranch_execz .LBB44_120
	s_branch .LBB44_121
.LBB44_119:
                                        ; implicit-def: $vgpr110
.LBB44_120:
	ds_read_b32 v110, v92
.LBB44_121:
	s_and_saveexec_b64 s[12:13], s[4:5]
	s_cbranch_execz .LBB44_125
; %bb.122:
	v_subrev_u32_e32 v111, 32, v0
	s_movk_i32 s14, 0x140
	s_mov_b64 s[4:5], 0
.LBB44_123:                             ; =>This Inner Loop Header: Depth=1
	buffer_load_dword v112, v109, s[0:3], 0 offen
	v_mov_b32_e32 v113, s14
	ds_read_b32 v113, v113
	v_add_u32_e32 v111, -1, v111
	s_add_i32 s14, s14, 4
	v_cmp_eq_u32_e32 vcc, 0, v111
	v_add_u32_e32 v109, 4, v109
	s_or_b64 s[4:5], vcc, s[4:5]
	s_waitcnt vmcnt(0) lgkmcnt(0)
	v_fmac_f32_e32 v110, v112, v113
	s_andn2_b64 exec, exec, s[4:5]
	s_cbranch_execnz .LBB44_123
; %bb.124:
	s_or_b64 exec, exec, s[4:5]
.LBB44_125:
	s_or_b64 exec, exec, s[12:13]
	v_mov_b32_e32 v109, 0
	ds_read_b32 v109, v109 offset:124
	s_waitcnt lgkmcnt(0)
	v_mul_f32_e32 v109, v110, v109
	buffer_store_dword v109, off, s[0:3], 0 offset:124
.LBB44_126:
	s_or_b64 exec, exec, s[8:9]
	buffer_load_dword v109, off, s[0:3], 0 offset:120
	v_cmp_lt_u32_e64 s[4:5], 30, v0
	s_waitcnt vmcnt(0)
	ds_write_b32 v92, v109
	s_waitcnt lgkmcnt(0)
	; wave barrier
	s_waitcnt lgkmcnt(0)
	s_and_saveexec_b64 s[8:9], s[4:5]
	s_cbranch_execz .LBB44_136
; %bb.127:
	s_andn2_b64 vcc, exec, s[10:11]
	s_cbranch_vccnz .LBB44_129
; %bb.128:
	buffer_load_dword v109, v93, s[0:3], 0 offen
	ds_read_b32 v110, v92
	s_waitcnt vmcnt(0) lgkmcnt(0)
	v_mul_f32_e32 v109, v109, v110
	s_cbranch_execz .LBB44_130
	s_branch .LBB44_131
.LBB44_129:
                                        ; implicit-def: $vgpr109
.LBB44_130:
	ds_read_b32 v109, v92
.LBB44_131:
	s_and_saveexec_b64 s[12:13], s[6:7]
	s_cbranch_execz .LBB44_135
; %bb.132:
	v_mov_b32_e32 v110, 0
	v_add_u32_e32 v110, 0x7c, v110
	v_subrev_u32_e32 v111, 31, v0
	s_movk_i32 s14, 0x13c
	s_mov_b64 s[6:7], 0
.LBB44_133:                             ; =>This Inner Loop Header: Depth=1
	buffer_load_dword v112, v110, s[0:3], 0 offen
	v_mov_b32_e32 v113, s14
	ds_read_b32 v113, v113
	v_add_u32_e32 v111, -1, v111
	s_add_i32 s14, s14, 4
	v_cmp_eq_u32_e32 vcc, 0, v111
	v_add_u32_e32 v110, 4, v110
	s_or_b64 s[6:7], vcc, s[6:7]
	s_waitcnt vmcnt(0) lgkmcnt(0)
	v_fmac_f32_e32 v109, v112, v113
	s_andn2_b64 exec, exec, s[6:7]
	s_cbranch_execnz .LBB44_133
; %bb.134:
	s_or_b64 exec, exec, s[6:7]
.LBB44_135:
	s_or_b64 exec, exec, s[12:13]
	v_mov_b32_e32 v110, 0
	ds_read_b32 v110, v110 offset:120
	s_waitcnt lgkmcnt(0)
	v_mul_f32_e32 v109, v109, v110
	buffer_store_dword v109, off, s[0:3], 0 offset:120
.LBB44_136:
	s_or_b64 exec, exec, s[8:9]
	buffer_load_dword v109, off, s[0:3], 0 offset:116
	v_cmp_lt_u32_e64 s[6:7], 29, v0
	s_waitcnt vmcnt(0)
	ds_write_b32 v92, v109
	s_waitcnt lgkmcnt(0)
	; wave barrier
	s_waitcnt lgkmcnt(0)
	s_and_saveexec_b64 s[8:9], s[6:7]
	s_cbranch_execz .LBB44_146
; %bb.137:
	s_andn2_b64 vcc, exec, s[10:11]
	s_cbranch_vccnz .LBB44_139
; %bb.138:
	buffer_load_dword v109, v93, s[0:3], 0 offen
	ds_read_b32 v110, v92
	s_waitcnt vmcnt(0) lgkmcnt(0)
	v_mul_f32_e32 v109, v109, v110
	s_cbranch_execz .LBB44_140
	s_branch .LBB44_141
.LBB44_139:
                                        ; implicit-def: $vgpr109
.LBB44_140:
	ds_read_b32 v109, v92
.LBB44_141:
	s_and_saveexec_b64 s[12:13], s[4:5]
	s_cbranch_execz .LBB44_145
; %bb.142:
	v_subrev_u32_e32 v110, 30, v0
	s_movk_i32 s14, 0x138
	s_mov_b64 s[4:5], 0
.LBB44_143:                             ; =>This Inner Loop Header: Depth=1
	buffer_load_dword v111, v108, s[0:3], 0 offen
	v_mov_b32_e32 v112, s14
	ds_read_b32 v112, v112
	v_add_u32_e32 v110, -1, v110
	s_add_i32 s14, s14, 4
	v_cmp_eq_u32_e32 vcc, 0, v110
	v_add_u32_e32 v108, 4, v108
	s_or_b64 s[4:5], vcc, s[4:5]
	s_waitcnt vmcnt(0) lgkmcnt(0)
	v_fmac_f32_e32 v109, v111, v112
	s_andn2_b64 exec, exec, s[4:5]
	s_cbranch_execnz .LBB44_143
; %bb.144:
	s_or_b64 exec, exec, s[4:5]
.LBB44_145:
	s_or_b64 exec, exec, s[12:13]
	v_mov_b32_e32 v108, 0
	ds_read_b32 v108, v108 offset:116
	s_waitcnt lgkmcnt(0)
	v_mul_f32_e32 v108, v109, v108
	buffer_store_dword v108, off, s[0:3], 0 offset:116
.LBB44_146:
	s_or_b64 exec, exec, s[8:9]
	buffer_load_dword v108, off, s[0:3], 0 offset:112
	v_cmp_lt_u32_e64 s[4:5], 28, v0
	s_waitcnt vmcnt(0)
	ds_write_b32 v92, v108
	s_waitcnt lgkmcnt(0)
	; wave barrier
	s_waitcnt lgkmcnt(0)
	s_and_saveexec_b64 s[8:9], s[4:5]
	s_cbranch_execz .LBB44_156
; %bb.147:
	s_andn2_b64 vcc, exec, s[10:11]
	s_cbranch_vccnz .LBB44_149
; %bb.148:
	buffer_load_dword v108, v93, s[0:3], 0 offen
	ds_read_b32 v109, v92
	s_waitcnt vmcnt(0) lgkmcnt(0)
	v_mul_f32_e32 v108, v108, v109
	s_cbranch_execz .LBB44_150
	s_branch .LBB44_151
.LBB44_149:
                                        ; implicit-def: $vgpr108
.LBB44_150:
	ds_read_b32 v108, v92
.LBB44_151:
	s_and_saveexec_b64 s[12:13], s[6:7]
	s_cbranch_execz .LBB44_155
; %bb.152:
	v_mov_b32_e32 v109, 0
	v_add_u32_e32 v109, 0x74, v109
	v_subrev_u32_e32 v110, 29, v0
	s_movk_i32 s14, 0x134
	s_mov_b64 s[6:7], 0
.LBB44_153:                             ; =>This Inner Loop Header: Depth=1
	buffer_load_dword v111, v109, s[0:3], 0 offen
	v_mov_b32_e32 v112, s14
	ds_read_b32 v112, v112
	v_add_u32_e32 v110, -1, v110
	s_add_i32 s14, s14, 4
	v_cmp_eq_u32_e32 vcc, 0, v110
	v_add_u32_e32 v109, 4, v109
	s_or_b64 s[6:7], vcc, s[6:7]
	s_waitcnt vmcnt(0) lgkmcnt(0)
	v_fmac_f32_e32 v108, v111, v112
	s_andn2_b64 exec, exec, s[6:7]
	s_cbranch_execnz .LBB44_153
; %bb.154:
	s_or_b64 exec, exec, s[6:7]
.LBB44_155:
	s_or_b64 exec, exec, s[12:13]
	v_mov_b32_e32 v109, 0
	ds_read_b32 v109, v109 offset:112
	s_waitcnt lgkmcnt(0)
	v_mul_f32_e32 v108, v108, v109
	buffer_store_dword v108, off, s[0:3], 0 offset:112
.LBB44_156:
	s_or_b64 exec, exec, s[8:9]
	buffer_load_dword v108, off, s[0:3], 0 offset:108
	v_cmp_lt_u32_e64 s[6:7], 27, v0
	s_waitcnt vmcnt(0)
	ds_write_b32 v92, v108
	s_waitcnt lgkmcnt(0)
	; wave barrier
	s_waitcnt lgkmcnt(0)
	s_and_saveexec_b64 s[8:9], s[6:7]
	s_cbranch_execz .LBB44_166
; %bb.157:
	s_andn2_b64 vcc, exec, s[10:11]
	s_cbranch_vccnz .LBB44_159
; %bb.158:
	buffer_load_dword v108, v93, s[0:3], 0 offen
	ds_read_b32 v109, v92
	s_waitcnt vmcnt(0) lgkmcnt(0)
	v_mul_f32_e32 v108, v108, v109
	s_cbranch_execz .LBB44_160
	s_branch .LBB44_161
.LBB44_159:
                                        ; implicit-def: $vgpr108
.LBB44_160:
	ds_read_b32 v108, v92
.LBB44_161:
	s_and_saveexec_b64 s[12:13], s[4:5]
	s_cbranch_execz .LBB44_165
; %bb.162:
	v_subrev_u32_e32 v109, 28, v0
	s_movk_i32 s14, 0x130
	s_mov_b64 s[4:5], 0
.LBB44_163:                             ; =>This Inner Loop Header: Depth=1
	buffer_load_dword v110, v107, s[0:3], 0 offen
	v_mov_b32_e32 v111, s14
	ds_read_b32 v111, v111
	v_add_u32_e32 v109, -1, v109
	s_add_i32 s14, s14, 4
	v_cmp_eq_u32_e32 vcc, 0, v109
	v_add_u32_e32 v107, 4, v107
	s_or_b64 s[4:5], vcc, s[4:5]
	s_waitcnt vmcnt(0) lgkmcnt(0)
	v_fmac_f32_e32 v108, v110, v111
	s_andn2_b64 exec, exec, s[4:5]
	s_cbranch_execnz .LBB44_163
; %bb.164:
	s_or_b64 exec, exec, s[4:5]
.LBB44_165:
	s_or_b64 exec, exec, s[12:13]
	v_mov_b32_e32 v107, 0
	ds_read_b32 v107, v107 offset:108
	s_waitcnt lgkmcnt(0)
	v_mul_f32_e32 v107, v108, v107
	buffer_store_dword v107, off, s[0:3], 0 offset:108
.LBB44_166:
	s_or_b64 exec, exec, s[8:9]
	buffer_load_dword v107, off, s[0:3], 0 offset:104
	v_cmp_lt_u32_e64 s[4:5], 26, v0
	s_waitcnt vmcnt(0)
	ds_write_b32 v92, v107
	s_waitcnt lgkmcnt(0)
	; wave barrier
	s_waitcnt lgkmcnt(0)
	s_and_saveexec_b64 s[8:9], s[4:5]
	s_cbranch_execz .LBB44_176
; %bb.167:
	s_andn2_b64 vcc, exec, s[10:11]
	s_cbranch_vccnz .LBB44_169
; %bb.168:
	buffer_load_dword v107, v93, s[0:3], 0 offen
	ds_read_b32 v108, v92
	s_waitcnt vmcnt(0) lgkmcnt(0)
	v_mul_f32_e32 v107, v107, v108
	s_cbranch_execz .LBB44_170
	s_branch .LBB44_171
.LBB44_169:
                                        ; implicit-def: $vgpr107
.LBB44_170:
	ds_read_b32 v107, v92
.LBB44_171:
	s_and_saveexec_b64 s[12:13], s[6:7]
	s_cbranch_execz .LBB44_175
; %bb.172:
	v_mov_b32_e32 v108, 0
	v_add_u32_e32 v108, 0x6c, v108
	v_subrev_u32_e32 v109, 27, v0
	s_movk_i32 s14, 0x12c
	s_mov_b64 s[6:7], 0
.LBB44_173:                             ; =>This Inner Loop Header: Depth=1
	buffer_load_dword v110, v108, s[0:3], 0 offen
	v_mov_b32_e32 v111, s14
	ds_read_b32 v111, v111
	v_add_u32_e32 v109, -1, v109
	s_add_i32 s14, s14, 4
	v_cmp_eq_u32_e32 vcc, 0, v109
	v_add_u32_e32 v108, 4, v108
	s_or_b64 s[6:7], vcc, s[6:7]
	s_waitcnt vmcnt(0) lgkmcnt(0)
	v_fmac_f32_e32 v107, v110, v111
	s_andn2_b64 exec, exec, s[6:7]
	s_cbranch_execnz .LBB44_173
; %bb.174:
	s_or_b64 exec, exec, s[6:7]
.LBB44_175:
	s_or_b64 exec, exec, s[12:13]
	v_mov_b32_e32 v108, 0
	ds_read_b32 v108, v108 offset:104
	s_waitcnt lgkmcnt(0)
	v_mul_f32_e32 v107, v107, v108
	buffer_store_dword v107, off, s[0:3], 0 offset:104
.LBB44_176:
	s_or_b64 exec, exec, s[8:9]
	buffer_load_dword v107, off, s[0:3], 0 offset:100
	v_cmp_lt_u32_e64 s[6:7], 25, v0
	s_waitcnt vmcnt(0)
	ds_write_b32 v92, v107
	s_waitcnt lgkmcnt(0)
	; wave barrier
	s_waitcnt lgkmcnt(0)
	s_and_saveexec_b64 s[8:9], s[6:7]
	s_cbranch_execz .LBB44_186
; %bb.177:
	s_andn2_b64 vcc, exec, s[10:11]
	s_cbranch_vccnz .LBB44_179
; %bb.178:
	buffer_load_dword v107, v93, s[0:3], 0 offen
	ds_read_b32 v108, v92
	s_waitcnt vmcnt(0) lgkmcnt(0)
	v_mul_f32_e32 v107, v107, v108
	s_cbranch_execz .LBB44_180
	s_branch .LBB44_181
.LBB44_179:
                                        ; implicit-def: $vgpr107
.LBB44_180:
	ds_read_b32 v107, v92
.LBB44_181:
	s_and_saveexec_b64 s[12:13], s[4:5]
	s_cbranch_execz .LBB44_185
; %bb.182:
	v_subrev_u32_e32 v108, 26, v0
	s_movk_i32 s14, 0x128
	s_mov_b64 s[4:5], 0
.LBB44_183:                             ; =>This Inner Loop Header: Depth=1
	buffer_load_dword v109, v106, s[0:3], 0 offen
	v_mov_b32_e32 v110, s14
	ds_read_b32 v110, v110
	v_add_u32_e32 v108, -1, v108
	s_add_i32 s14, s14, 4
	v_cmp_eq_u32_e32 vcc, 0, v108
	v_add_u32_e32 v106, 4, v106
	s_or_b64 s[4:5], vcc, s[4:5]
	s_waitcnt vmcnt(0) lgkmcnt(0)
	v_fmac_f32_e32 v107, v109, v110
	s_andn2_b64 exec, exec, s[4:5]
	s_cbranch_execnz .LBB44_183
; %bb.184:
	s_or_b64 exec, exec, s[4:5]
.LBB44_185:
	s_or_b64 exec, exec, s[12:13]
	v_mov_b32_e32 v106, 0
	ds_read_b32 v106, v106 offset:100
	s_waitcnt lgkmcnt(0)
	v_mul_f32_e32 v106, v107, v106
	buffer_store_dword v106, off, s[0:3], 0 offset:100
.LBB44_186:
	s_or_b64 exec, exec, s[8:9]
	buffer_load_dword v106, off, s[0:3], 0 offset:96
	v_cmp_lt_u32_e64 s[4:5], 24, v0
	s_waitcnt vmcnt(0)
	ds_write_b32 v92, v106
	s_waitcnt lgkmcnt(0)
	; wave barrier
	s_waitcnt lgkmcnt(0)
	s_and_saveexec_b64 s[8:9], s[4:5]
	s_cbranch_execz .LBB44_196
; %bb.187:
	s_andn2_b64 vcc, exec, s[10:11]
	s_cbranch_vccnz .LBB44_189
; %bb.188:
	buffer_load_dword v106, v93, s[0:3], 0 offen
	ds_read_b32 v107, v92
	s_waitcnt vmcnt(0) lgkmcnt(0)
	v_mul_f32_e32 v106, v106, v107
	s_cbranch_execz .LBB44_190
	s_branch .LBB44_191
.LBB44_189:
                                        ; implicit-def: $vgpr106
.LBB44_190:
	ds_read_b32 v106, v92
.LBB44_191:
	s_and_saveexec_b64 s[12:13], s[6:7]
	s_cbranch_execz .LBB44_195
; %bb.192:
	v_mov_b32_e32 v107, 0
	v_add_u32_e32 v107, 0x64, v107
	v_subrev_u32_e32 v108, 25, v0
	s_movk_i32 s14, 0x124
	s_mov_b64 s[6:7], 0
.LBB44_193:                             ; =>This Inner Loop Header: Depth=1
	buffer_load_dword v109, v107, s[0:3], 0 offen
	v_mov_b32_e32 v110, s14
	ds_read_b32 v110, v110
	v_add_u32_e32 v108, -1, v108
	s_add_i32 s14, s14, 4
	v_cmp_eq_u32_e32 vcc, 0, v108
	v_add_u32_e32 v107, 4, v107
	s_or_b64 s[6:7], vcc, s[6:7]
	s_waitcnt vmcnt(0) lgkmcnt(0)
	v_fmac_f32_e32 v106, v109, v110
	s_andn2_b64 exec, exec, s[6:7]
	s_cbranch_execnz .LBB44_193
; %bb.194:
	s_or_b64 exec, exec, s[6:7]
.LBB44_195:
	s_or_b64 exec, exec, s[12:13]
	v_mov_b32_e32 v107, 0
	ds_read_b32 v107, v107 offset:96
	s_waitcnt lgkmcnt(0)
	v_mul_f32_e32 v106, v106, v107
	buffer_store_dword v106, off, s[0:3], 0 offset:96
.LBB44_196:
	s_or_b64 exec, exec, s[8:9]
	buffer_load_dword v106, off, s[0:3], 0 offset:92
	v_cmp_lt_u32_e64 s[6:7], 23, v0
	s_waitcnt vmcnt(0)
	ds_write_b32 v92, v106
	s_waitcnt lgkmcnt(0)
	; wave barrier
	s_waitcnt lgkmcnt(0)
	s_and_saveexec_b64 s[8:9], s[6:7]
	s_cbranch_execz .LBB44_206
; %bb.197:
	s_andn2_b64 vcc, exec, s[10:11]
	s_cbranch_vccnz .LBB44_199
; %bb.198:
	buffer_load_dword v106, v93, s[0:3], 0 offen
	ds_read_b32 v107, v92
	s_waitcnt vmcnt(0) lgkmcnt(0)
	v_mul_f32_e32 v106, v106, v107
	s_cbranch_execz .LBB44_200
	s_branch .LBB44_201
.LBB44_199:
                                        ; implicit-def: $vgpr106
.LBB44_200:
	ds_read_b32 v106, v92
.LBB44_201:
	s_and_saveexec_b64 s[12:13], s[4:5]
	s_cbranch_execz .LBB44_205
; %bb.202:
	v_subrev_u32_e32 v107, 24, v0
	s_movk_i32 s14, 0x120
	s_mov_b64 s[4:5], 0
.LBB44_203:                             ; =>This Inner Loop Header: Depth=1
	buffer_load_dword v108, v105, s[0:3], 0 offen
	v_mov_b32_e32 v109, s14
	ds_read_b32 v109, v109
	v_add_u32_e32 v107, -1, v107
	s_add_i32 s14, s14, 4
	v_cmp_eq_u32_e32 vcc, 0, v107
	v_add_u32_e32 v105, 4, v105
	s_or_b64 s[4:5], vcc, s[4:5]
	s_waitcnt vmcnt(0) lgkmcnt(0)
	v_fmac_f32_e32 v106, v108, v109
	s_andn2_b64 exec, exec, s[4:5]
	s_cbranch_execnz .LBB44_203
; %bb.204:
	s_or_b64 exec, exec, s[4:5]
.LBB44_205:
	s_or_b64 exec, exec, s[12:13]
	v_mov_b32_e32 v105, 0
	ds_read_b32 v105, v105 offset:92
	s_waitcnt lgkmcnt(0)
	v_mul_f32_e32 v105, v106, v105
	buffer_store_dword v105, off, s[0:3], 0 offset:92
.LBB44_206:
	s_or_b64 exec, exec, s[8:9]
	buffer_load_dword v105, off, s[0:3], 0 offset:88
	v_cmp_lt_u32_e64 s[4:5], 22, v0
	s_waitcnt vmcnt(0)
	ds_write_b32 v92, v105
	s_waitcnt lgkmcnt(0)
	; wave barrier
	s_waitcnt lgkmcnt(0)
	s_and_saveexec_b64 s[8:9], s[4:5]
	s_cbranch_execz .LBB44_216
; %bb.207:
	s_andn2_b64 vcc, exec, s[10:11]
	s_cbranch_vccnz .LBB44_209
; %bb.208:
	buffer_load_dword v105, v93, s[0:3], 0 offen
	ds_read_b32 v106, v92
	s_waitcnt vmcnt(0) lgkmcnt(0)
	v_mul_f32_e32 v105, v105, v106
	s_cbranch_execz .LBB44_210
	s_branch .LBB44_211
.LBB44_209:
                                        ; implicit-def: $vgpr105
.LBB44_210:
	ds_read_b32 v105, v92
.LBB44_211:
	s_and_saveexec_b64 s[12:13], s[6:7]
	s_cbranch_execz .LBB44_215
; %bb.212:
	v_mov_b32_e32 v106, 0
	v_add_u32_e32 v106, 0x5c, v106
	v_subrev_u32_e32 v107, 23, v0
	s_movk_i32 s14, 0x11c
	s_mov_b64 s[6:7], 0
.LBB44_213:                             ; =>This Inner Loop Header: Depth=1
	buffer_load_dword v108, v106, s[0:3], 0 offen
	v_mov_b32_e32 v109, s14
	ds_read_b32 v109, v109
	v_add_u32_e32 v107, -1, v107
	s_add_i32 s14, s14, 4
	v_cmp_eq_u32_e32 vcc, 0, v107
	v_add_u32_e32 v106, 4, v106
	s_or_b64 s[6:7], vcc, s[6:7]
	s_waitcnt vmcnt(0) lgkmcnt(0)
	v_fmac_f32_e32 v105, v108, v109
	s_andn2_b64 exec, exec, s[6:7]
	s_cbranch_execnz .LBB44_213
; %bb.214:
	s_or_b64 exec, exec, s[6:7]
.LBB44_215:
	s_or_b64 exec, exec, s[12:13]
	v_mov_b32_e32 v106, 0
	ds_read_b32 v106, v106 offset:88
	s_waitcnt lgkmcnt(0)
	v_mul_f32_e32 v105, v105, v106
	buffer_store_dword v105, off, s[0:3], 0 offset:88
.LBB44_216:
	s_or_b64 exec, exec, s[8:9]
	buffer_load_dword v105, off, s[0:3], 0 offset:84
	v_cmp_lt_u32_e64 s[6:7], 21, v0
	s_waitcnt vmcnt(0)
	ds_write_b32 v92, v105
	s_waitcnt lgkmcnt(0)
	; wave barrier
	s_waitcnt lgkmcnt(0)
	s_and_saveexec_b64 s[8:9], s[6:7]
	s_cbranch_execz .LBB44_226
; %bb.217:
	s_andn2_b64 vcc, exec, s[10:11]
	s_cbranch_vccnz .LBB44_219
; %bb.218:
	buffer_load_dword v105, v93, s[0:3], 0 offen
	ds_read_b32 v106, v92
	s_waitcnt vmcnt(0) lgkmcnt(0)
	v_mul_f32_e32 v105, v105, v106
	s_cbranch_execz .LBB44_220
	s_branch .LBB44_221
.LBB44_219:
                                        ; implicit-def: $vgpr105
.LBB44_220:
	ds_read_b32 v105, v92
.LBB44_221:
	s_and_saveexec_b64 s[12:13], s[4:5]
	s_cbranch_execz .LBB44_225
; %bb.222:
	v_subrev_u32_e32 v106, 22, v0
	s_movk_i32 s14, 0x118
	s_mov_b64 s[4:5], 0
.LBB44_223:                             ; =>This Inner Loop Header: Depth=1
	buffer_load_dword v107, v104, s[0:3], 0 offen
	v_mov_b32_e32 v108, s14
	ds_read_b32 v108, v108
	v_add_u32_e32 v106, -1, v106
	s_add_i32 s14, s14, 4
	v_cmp_eq_u32_e32 vcc, 0, v106
	v_add_u32_e32 v104, 4, v104
	s_or_b64 s[4:5], vcc, s[4:5]
	s_waitcnt vmcnt(0) lgkmcnt(0)
	v_fmac_f32_e32 v105, v107, v108
	s_andn2_b64 exec, exec, s[4:5]
	s_cbranch_execnz .LBB44_223
; %bb.224:
	s_or_b64 exec, exec, s[4:5]
.LBB44_225:
	s_or_b64 exec, exec, s[12:13]
	v_mov_b32_e32 v104, 0
	ds_read_b32 v104, v104 offset:84
	s_waitcnt lgkmcnt(0)
	v_mul_f32_e32 v104, v105, v104
	buffer_store_dword v104, off, s[0:3], 0 offset:84
.LBB44_226:
	s_or_b64 exec, exec, s[8:9]
	buffer_load_dword v104, off, s[0:3], 0 offset:80
	v_cmp_lt_u32_e64 s[4:5], 20, v0
	s_waitcnt vmcnt(0)
	ds_write_b32 v92, v104
	s_waitcnt lgkmcnt(0)
	; wave barrier
	s_waitcnt lgkmcnt(0)
	s_and_saveexec_b64 s[8:9], s[4:5]
	s_cbranch_execz .LBB44_236
; %bb.227:
	s_andn2_b64 vcc, exec, s[10:11]
	s_cbranch_vccnz .LBB44_229
; %bb.228:
	buffer_load_dword v104, v93, s[0:3], 0 offen
	ds_read_b32 v105, v92
	s_waitcnt vmcnt(0) lgkmcnt(0)
	v_mul_f32_e32 v104, v104, v105
	s_cbranch_execz .LBB44_230
	s_branch .LBB44_231
.LBB44_229:
                                        ; implicit-def: $vgpr104
.LBB44_230:
	ds_read_b32 v104, v92
.LBB44_231:
	s_and_saveexec_b64 s[12:13], s[6:7]
	s_cbranch_execz .LBB44_235
; %bb.232:
	v_mov_b32_e32 v105, 0
	v_add_u32_e32 v105, 0x54, v105
	v_subrev_u32_e32 v106, 21, v0
	s_movk_i32 s14, 0x114
	s_mov_b64 s[6:7], 0
.LBB44_233:                             ; =>This Inner Loop Header: Depth=1
	buffer_load_dword v107, v105, s[0:3], 0 offen
	v_mov_b32_e32 v108, s14
	ds_read_b32 v108, v108
	v_add_u32_e32 v106, -1, v106
	s_add_i32 s14, s14, 4
	v_cmp_eq_u32_e32 vcc, 0, v106
	v_add_u32_e32 v105, 4, v105
	s_or_b64 s[6:7], vcc, s[6:7]
	s_waitcnt vmcnt(0) lgkmcnt(0)
	v_fmac_f32_e32 v104, v107, v108
	s_andn2_b64 exec, exec, s[6:7]
	s_cbranch_execnz .LBB44_233
; %bb.234:
	s_or_b64 exec, exec, s[6:7]
.LBB44_235:
	s_or_b64 exec, exec, s[12:13]
	v_mov_b32_e32 v105, 0
	ds_read_b32 v105, v105 offset:80
	s_waitcnt lgkmcnt(0)
	v_mul_f32_e32 v104, v104, v105
	buffer_store_dword v104, off, s[0:3], 0 offset:80
.LBB44_236:
	s_or_b64 exec, exec, s[8:9]
	buffer_load_dword v104, off, s[0:3], 0 offset:76
	v_cmp_lt_u32_e64 s[6:7], 19, v0
	s_waitcnt vmcnt(0)
	ds_write_b32 v92, v104
	s_waitcnt lgkmcnt(0)
	; wave barrier
	s_waitcnt lgkmcnt(0)
	s_and_saveexec_b64 s[8:9], s[6:7]
	s_cbranch_execz .LBB44_246
; %bb.237:
	s_andn2_b64 vcc, exec, s[10:11]
	s_cbranch_vccnz .LBB44_239
; %bb.238:
	buffer_load_dword v104, v93, s[0:3], 0 offen
	ds_read_b32 v105, v92
	s_waitcnt vmcnt(0) lgkmcnt(0)
	v_mul_f32_e32 v104, v104, v105
	s_cbranch_execz .LBB44_240
	s_branch .LBB44_241
.LBB44_239:
                                        ; implicit-def: $vgpr104
.LBB44_240:
	ds_read_b32 v104, v92
.LBB44_241:
	s_and_saveexec_b64 s[12:13], s[4:5]
	s_cbranch_execz .LBB44_245
; %bb.242:
	v_subrev_u32_e32 v105, 20, v0
	s_movk_i32 s14, 0x110
	s_mov_b64 s[4:5], 0
.LBB44_243:                             ; =>This Inner Loop Header: Depth=1
	buffer_load_dword v106, v103, s[0:3], 0 offen
	v_mov_b32_e32 v107, s14
	ds_read_b32 v107, v107
	v_add_u32_e32 v105, -1, v105
	s_add_i32 s14, s14, 4
	v_cmp_eq_u32_e32 vcc, 0, v105
	v_add_u32_e32 v103, 4, v103
	s_or_b64 s[4:5], vcc, s[4:5]
	s_waitcnt vmcnt(0) lgkmcnt(0)
	v_fmac_f32_e32 v104, v106, v107
	s_andn2_b64 exec, exec, s[4:5]
	s_cbranch_execnz .LBB44_243
; %bb.244:
	s_or_b64 exec, exec, s[4:5]
.LBB44_245:
	s_or_b64 exec, exec, s[12:13]
	v_mov_b32_e32 v103, 0
	ds_read_b32 v103, v103 offset:76
	s_waitcnt lgkmcnt(0)
	v_mul_f32_e32 v103, v104, v103
	buffer_store_dword v103, off, s[0:3], 0 offset:76
.LBB44_246:
	s_or_b64 exec, exec, s[8:9]
	buffer_load_dword v103, off, s[0:3], 0 offset:72
	v_cmp_lt_u32_e64 s[4:5], 18, v0
	s_waitcnt vmcnt(0)
	ds_write_b32 v92, v103
	s_waitcnt lgkmcnt(0)
	; wave barrier
	s_waitcnt lgkmcnt(0)
	s_and_saveexec_b64 s[8:9], s[4:5]
	s_cbranch_execz .LBB44_256
; %bb.247:
	s_andn2_b64 vcc, exec, s[10:11]
	s_cbranch_vccnz .LBB44_249
; %bb.248:
	buffer_load_dword v103, v93, s[0:3], 0 offen
	ds_read_b32 v104, v92
	s_waitcnt vmcnt(0) lgkmcnt(0)
	v_mul_f32_e32 v103, v103, v104
	s_cbranch_execz .LBB44_250
	s_branch .LBB44_251
.LBB44_249:
                                        ; implicit-def: $vgpr103
.LBB44_250:
	ds_read_b32 v103, v92
.LBB44_251:
	s_and_saveexec_b64 s[12:13], s[6:7]
	s_cbranch_execz .LBB44_255
; %bb.252:
	v_mov_b32_e32 v104, 0
	v_add_u32_e32 v104, 0x4c, v104
	v_subrev_u32_e32 v105, 19, v0
	s_movk_i32 s14, 0x10c
	s_mov_b64 s[6:7], 0
.LBB44_253:                             ; =>This Inner Loop Header: Depth=1
	buffer_load_dword v106, v104, s[0:3], 0 offen
	v_mov_b32_e32 v107, s14
	ds_read_b32 v107, v107
	v_add_u32_e32 v105, -1, v105
	s_add_i32 s14, s14, 4
	v_cmp_eq_u32_e32 vcc, 0, v105
	v_add_u32_e32 v104, 4, v104
	s_or_b64 s[6:7], vcc, s[6:7]
	s_waitcnt vmcnt(0) lgkmcnt(0)
	v_fmac_f32_e32 v103, v106, v107
	s_andn2_b64 exec, exec, s[6:7]
	s_cbranch_execnz .LBB44_253
; %bb.254:
	s_or_b64 exec, exec, s[6:7]
.LBB44_255:
	s_or_b64 exec, exec, s[12:13]
	v_mov_b32_e32 v104, 0
	ds_read_b32 v104, v104 offset:72
	s_waitcnt lgkmcnt(0)
	v_mul_f32_e32 v103, v103, v104
	buffer_store_dword v103, off, s[0:3], 0 offset:72
.LBB44_256:
	s_or_b64 exec, exec, s[8:9]
	buffer_load_dword v103, off, s[0:3], 0 offset:68
	v_cmp_lt_u32_e64 s[6:7], 17, v0
	s_waitcnt vmcnt(0)
	ds_write_b32 v92, v103
	s_waitcnt lgkmcnt(0)
	; wave barrier
	s_waitcnt lgkmcnt(0)
	s_and_saveexec_b64 s[8:9], s[6:7]
	s_cbranch_execz .LBB44_266
; %bb.257:
	s_andn2_b64 vcc, exec, s[10:11]
	s_cbranch_vccnz .LBB44_259
; %bb.258:
	buffer_load_dword v103, v93, s[0:3], 0 offen
	ds_read_b32 v104, v92
	s_waitcnt vmcnt(0) lgkmcnt(0)
	v_mul_f32_e32 v103, v103, v104
	s_cbranch_execz .LBB44_260
	s_branch .LBB44_261
.LBB44_259:
                                        ; implicit-def: $vgpr103
.LBB44_260:
	ds_read_b32 v103, v92
.LBB44_261:
	s_and_saveexec_b64 s[12:13], s[4:5]
	s_cbranch_execz .LBB44_265
; %bb.262:
	v_subrev_u32_e32 v104, 18, v0
	s_movk_i32 s14, 0x108
	s_mov_b64 s[4:5], 0
.LBB44_263:                             ; =>This Inner Loop Header: Depth=1
	buffer_load_dword v105, v102, s[0:3], 0 offen
	v_mov_b32_e32 v106, s14
	ds_read_b32 v106, v106
	v_add_u32_e32 v104, -1, v104
	s_add_i32 s14, s14, 4
	v_cmp_eq_u32_e32 vcc, 0, v104
	v_add_u32_e32 v102, 4, v102
	s_or_b64 s[4:5], vcc, s[4:5]
	s_waitcnt vmcnt(0) lgkmcnt(0)
	v_fmac_f32_e32 v103, v105, v106
	s_andn2_b64 exec, exec, s[4:5]
	s_cbranch_execnz .LBB44_263
; %bb.264:
	s_or_b64 exec, exec, s[4:5]
.LBB44_265:
	s_or_b64 exec, exec, s[12:13]
	v_mov_b32_e32 v102, 0
	ds_read_b32 v102, v102 offset:68
	s_waitcnt lgkmcnt(0)
	v_mul_f32_e32 v102, v103, v102
	buffer_store_dword v102, off, s[0:3], 0 offset:68
.LBB44_266:
	s_or_b64 exec, exec, s[8:9]
	buffer_load_dword v102, off, s[0:3], 0 offset:64
	v_cmp_lt_u32_e64 s[4:5], 16, v0
	s_waitcnt vmcnt(0)
	ds_write_b32 v92, v102
	s_waitcnt lgkmcnt(0)
	; wave barrier
	s_waitcnt lgkmcnt(0)
	s_and_saveexec_b64 s[8:9], s[4:5]
	s_cbranch_execz .LBB44_276
; %bb.267:
	s_andn2_b64 vcc, exec, s[10:11]
	s_cbranch_vccnz .LBB44_269
; %bb.268:
	buffer_load_dword v102, v93, s[0:3], 0 offen
	ds_read_b32 v103, v92
	s_waitcnt vmcnt(0) lgkmcnt(0)
	v_mul_f32_e32 v102, v102, v103
	s_cbranch_execz .LBB44_270
	s_branch .LBB44_271
.LBB44_269:
                                        ; implicit-def: $vgpr102
.LBB44_270:
	ds_read_b32 v102, v92
.LBB44_271:
	s_and_saveexec_b64 s[12:13], s[6:7]
	s_cbranch_execz .LBB44_275
; %bb.272:
	v_mov_b32_e32 v103, 0
	v_add_u32_e32 v103, 0x44, v103
	v_subrev_u32_e32 v104, 17, v0
	s_movk_i32 s14, 0x104
	s_mov_b64 s[6:7], 0
.LBB44_273:                             ; =>This Inner Loop Header: Depth=1
	buffer_load_dword v105, v103, s[0:3], 0 offen
	v_mov_b32_e32 v106, s14
	ds_read_b32 v106, v106
	v_add_u32_e32 v104, -1, v104
	s_add_i32 s14, s14, 4
	v_cmp_eq_u32_e32 vcc, 0, v104
	v_add_u32_e32 v103, 4, v103
	s_or_b64 s[6:7], vcc, s[6:7]
	s_waitcnt vmcnt(0) lgkmcnt(0)
	v_fmac_f32_e32 v102, v105, v106
	s_andn2_b64 exec, exec, s[6:7]
	s_cbranch_execnz .LBB44_273
; %bb.274:
	s_or_b64 exec, exec, s[6:7]
.LBB44_275:
	s_or_b64 exec, exec, s[12:13]
	v_mov_b32_e32 v103, 0
	ds_read_b32 v103, v103 offset:64
	s_waitcnt lgkmcnt(0)
	v_mul_f32_e32 v102, v102, v103
	buffer_store_dword v102, off, s[0:3], 0 offset:64
.LBB44_276:
	s_or_b64 exec, exec, s[8:9]
	buffer_load_dword v102, off, s[0:3], 0 offset:60
	v_cmp_lt_u32_e64 s[6:7], 15, v0
	s_waitcnt vmcnt(0)
	ds_write_b32 v92, v102
	s_waitcnt lgkmcnt(0)
	; wave barrier
	s_waitcnt lgkmcnt(0)
	s_and_saveexec_b64 s[8:9], s[6:7]
	s_cbranch_execz .LBB44_286
; %bb.277:
	s_andn2_b64 vcc, exec, s[10:11]
	s_cbranch_vccnz .LBB44_279
; %bb.278:
	buffer_load_dword v102, v93, s[0:3], 0 offen
	ds_read_b32 v103, v92
	s_waitcnt vmcnt(0) lgkmcnt(0)
	v_mul_f32_e32 v102, v102, v103
	s_cbranch_execz .LBB44_280
	s_branch .LBB44_281
.LBB44_279:
                                        ; implicit-def: $vgpr102
.LBB44_280:
	ds_read_b32 v102, v92
.LBB44_281:
	s_and_saveexec_b64 s[12:13], s[4:5]
	s_cbranch_execz .LBB44_285
; %bb.282:
	v_add_u32_e32 v103, -16, v0
	s_movk_i32 s14, 0x100
	s_mov_b64 s[4:5], 0
.LBB44_283:                             ; =>This Inner Loop Header: Depth=1
	buffer_load_dword v104, v101, s[0:3], 0 offen
	v_mov_b32_e32 v105, s14
	ds_read_b32 v105, v105
	v_add_u32_e32 v103, -1, v103
	s_add_i32 s14, s14, 4
	v_cmp_eq_u32_e32 vcc, 0, v103
	v_add_u32_e32 v101, 4, v101
	s_or_b64 s[4:5], vcc, s[4:5]
	s_waitcnt vmcnt(0) lgkmcnt(0)
	v_fmac_f32_e32 v102, v104, v105
	s_andn2_b64 exec, exec, s[4:5]
	s_cbranch_execnz .LBB44_283
; %bb.284:
	s_or_b64 exec, exec, s[4:5]
.LBB44_285:
	s_or_b64 exec, exec, s[12:13]
	v_mov_b32_e32 v101, 0
	ds_read_b32 v101, v101 offset:60
	s_waitcnt lgkmcnt(0)
	v_mul_f32_e32 v101, v102, v101
	buffer_store_dword v101, off, s[0:3], 0 offset:60
.LBB44_286:
	s_or_b64 exec, exec, s[8:9]
	buffer_load_dword v101, off, s[0:3], 0 offset:56
	v_cmp_lt_u32_e64 s[4:5], 14, v0
	s_waitcnt vmcnt(0)
	ds_write_b32 v92, v101
	s_waitcnt lgkmcnt(0)
	; wave barrier
	s_waitcnt lgkmcnt(0)
	s_and_saveexec_b64 s[8:9], s[4:5]
	s_cbranch_execz .LBB44_296
; %bb.287:
	s_andn2_b64 vcc, exec, s[10:11]
	s_cbranch_vccnz .LBB44_289
; %bb.288:
	buffer_load_dword v101, v93, s[0:3], 0 offen
	ds_read_b32 v102, v92
	s_waitcnt vmcnt(0) lgkmcnt(0)
	v_mul_f32_e32 v101, v101, v102
	s_cbranch_execz .LBB44_290
	s_branch .LBB44_291
.LBB44_289:
                                        ; implicit-def: $vgpr101
.LBB44_290:
	ds_read_b32 v101, v92
.LBB44_291:
	s_and_saveexec_b64 s[12:13], s[6:7]
	s_cbranch_execz .LBB44_295
; %bb.292:
	v_mov_b32_e32 v102, 0
	v_add_u32_e32 v102, 60, v102
	v_add_u32_e32 v103, -15, v0
	s_movk_i32 s14, 0xfc
	s_mov_b64 s[6:7], 0
.LBB44_293:                             ; =>This Inner Loop Header: Depth=1
	buffer_load_dword v104, v102, s[0:3], 0 offen
	v_mov_b32_e32 v105, s14
	ds_read_b32 v105, v105
	v_add_u32_e32 v103, -1, v103
	s_add_i32 s14, s14, 4
	v_cmp_eq_u32_e32 vcc, 0, v103
	v_add_u32_e32 v102, 4, v102
	s_or_b64 s[6:7], vcc, s[6:7]
	s_waitcnt vmcnt(0) lgkmcnt(0)
	v_fmac_f32_e32 v101, v104, v105
	s_andn2_b64 exec, exec, s[6:7]
	s_cbranch_execnz .LBB44_293
; %bb.294:
	s_or_b64 exec, exec, s[6:7]
.LBB44_295:
	s_or_b64 exec, exec, s[12:13]
	v_mov_b32_e32 v102, 0
	ds_read_b32 v102, v102 offset:56
	s_waitcnt lgkmcnt(0)
	v_mul_f32_e32 v101, v101, v102
	buffer_store_dword v101, off, s[0:3], 0 offset:56
.LBB44_296:
	s_or_b64 exec, exec, s[8:9]
	buffer_load_dword v101, off, s[0:3], 0 offset:52
	v_cmp_lt_u32_e64 s[6:7], 13, v0
	s_waitcnt vmcnt(0)
	ds_write_b32 v92, v101
	s_waitcnt lgkmcnt(0)
	; wave barrier
	s_waitcnt lgkmcnt(0)
	s_and_saveexec_b64 s[8:9], s[6:7]
	s_cbranch_execz .LBB44_306
; %bb.297:
	s_andn2_b64 vcc, exec, s[10:11]
	s_cbranch_vccnz .LBB44_299
; %bb.298:
	buffer_load_dword v101, v93, s[0:3], 0 offen
	ds_read_b32 v102, v92
	s_waitcnt vmcnt(0) lgkmcnt(0)
	v_mul_f32_e32 v101, v101, v102
	s_cbranch_execz .LBB44_300
	s_branch .LBB44_301
.LBB44_299:
                                        ; implicit-def: $vgpr101
.LBB44_300:
	ds_read_b32 v101, v92
.LBB44_301:
	s_and_saveexec_b64 s[12:13], s[4:5]
	s_cbranch_execz .LBB44_305
; %bb.302:
	v_add_u32_e32 v102, -14, v0
	s_movk_i32 s14, 0xf8
	s_mov_b64 s[4:5], 0
.LBB44_303:                             ; =>This Inner Loop Header: Depth=1
	buffer_load_dword v103, v100, s[0:3], 0 offen
	v_mov_b32_e32 v104, s14
	ds_read_b32 v104, v104
	v_add_u32_e32 v102, -1, v102
	s_add_i32 s14, s14, 4
	v_cmp_eq_u32_e32 vcc, 0, v102
	v_add_u32_e32 v100, 4, v100
	s_or_b64 s[4:5], vcc, s[4:5]
	s_waitcnt vmcnt(0) lgkmcnt(0)
	v_fmac_f32_e32 v101, v103, v104
	s_andn2_b64 exec, exec, s[4:5]
	s_cbranch_execnz .LBB44_303
; %bb.304:
	s_or_b64 exec, exec, s[4:5]
.LBB44_305:
	s_or_b64 exec, exec, s[12:13]
	v_mov_b32_e32 v100, 0
	ds_read_b32 v100, v100 offset:52
	s_waitcnt lgkmcnt(0)
	v_mul_f32_e32 v100, v101, v100
	buffer_store_dword v100, off, s[0:3], 0 offset:52
.LBB44_306:
	s_or_b64 exec, exec, s[8:9]
	buffer_load_dword v100, off, s[0:3], 0 offset:48
	v_cmp_lt_u32_e64 s[4:5], 12, v0
	s_waitcnt vmcnt(0)
	ds_write_b32 v92, v100
	s_waitcnt lgkmcnt(0)
	; wave barrier
	s_waitcnt lgkmcnt(0)
	s_and_saveexec_b64 s[8:9], s[4:5]
	s_cbranch_execz .LBB44_316
; %bb.307:
	s_andn2_b64 vcc, exec, s[10:11]
	s_cbranch_vccnz .LBB44_309
; %bb.308:
	buffer_load_dword v100, v93, s[0:3], 0 offen
	ds_read_b32 v101, v92
	s_waitcnt vmcnt(0) lgkmcnt(0)
	v_mul_f32_e32 v100, v100, v101
	s_cbranch_execz .LBB44_310
	s_branch .LBB44_311
.LBB44_309:
                                        ; implicit-def: $vgpr100
.LBB44_310:
	ds_read_b32 v100, v92
.LBB44_311:
	s_and_saveexec_b64 s[12:13], s[6:7]
	s_cbranch_execz .LBB44_315
; %bb.312:
	v_mov_b32_e32 v101, 0
	v_add_u32_e32 v101, 52, v101
	v_add_u32_e32 v102, -13, v0
	s_movk_i32 s14, 0xf4
	s_mov_b64 s[6:7], 0
.LBB44_313:                             ; =>This Inner Loop Header: Depth=1
	buffer_load_dword v103, v101, s[0:3], 0 offen
	v_mov_b32_e32 v104, s14
	ds_read_b32 v104, v104
	v_add_u32_e32 v102, -1, v102
	s_add_i32 s14, s14, 4
	v_cmp_eq_u32_e32 vcc, 0, v102
	v_add_u32_e32 v101, 4, v101
	s_or_b64 s[6:7], vcc, s[6:7]
	s_waitcnt vmcnt(0) lgkmcnt(0)
	v_fmac_f32_e32 v100, v103, v104
	s_andn2_b64 exec, exec, s[6:7]
	s_cbranch_execnz .LBB44_313
; %bb.314:
	s_or_b64 exec, exec, s[6:7]
.LBB44_315:
	s_or_b64 exec, exec, s[12:13]
	v_mov_b32_e32 v101, 0
	ds_read_b32 v101, v101 offset:48
	s_waitcnt lgkmcnt(0)
	v_mul_f32_e32 v100, v100, v101
	buffer_store_dword v100, off, s[0:3], 0 offset:48
.LBB44_316:
	s_or_b64 exec, exec, s[8:9]
	buffer_load_dword v100, off, s[0:3], 0 offset:44
	v_cmp_lt_u32_e64 s[6:7], 11, v0
	s_waitcnt vmcnt(0)
	ds_write_b32 v92, v100
	s_waitcnt lgkmcnt(0)
	; wave barrier
	s_waitcnt lgkmcnt(0)
	s_and_saveexec_b64 s[8:9], s[6:7]
	s_cbranch_execz .LBB44_326
; %bb.317:
	s_andn2_b64 vcc, exec, s[10:11]
	s_cbranch_vccnz .LBB44_319
; %bb.318:
	buffer_load_dword v100, v93, s[0:3], 0 offen
	ds_read_b32 v101, v92
	s_waitcnt vmcnt(0) lgkmcnt(0)
	v_mul_f32_e32 v100, v100, v101
	s_cbranch_execz .LBB44_320
	s_branch .LBB44_321
.LBB44_319:
                                        ; implicit-def: $vgpr100
.LBB44_320:
	ds_read_b32 v100, v92
.LBB44_321:
	s_and_saveexec_b64 s[12:13], s[4:5]
	s_cbranch_execz .LBB44_325
; %bb.322:
	v_add_u32_e32 v101, -12, v0
	s_movk_i32 s14, 0xf0
	s_mov_b64 s[4:5], 0
.LBB44_323:                             ; =>This Inner Loop Header: Depth=1
	buffer_load_dword v102, v99, s[0:3], 0 offen
	v_mov_b32_e32 v103, s14
	ds_read_b32 v103, v103
	v_add_u32_e32 v101, -1, v101
	s_add_i32 s14, s14, 4
	v_cmp_eq_u32_e32 vcc, 0, v101
	v_add_u32_e32 v99, 4, v99
	s_or_b64 s[4:5], vcc, s[4:5]
	s_waitcnt vmcnt(0) lgkmcnt(0)
	v_fmac_f32_e32 v100, v102, v103
	s_andn2_b64 exec, exec, s[4:5]
	s_cbranch_execnz .LBB44_323
; %bb.324:
	s_or_b64 exec, exec, s[4:5]
.LBB44_325:
	s_or_b64 exec, exec, s[12:13]
	v_mov_b32_e32 v99, 0
	ds_read_b32 v99, v99 offset:44
	s_waitcnt lgkmcnt(0)
	v_mul_f32_e32 v99, v100, v99
	buffer_store_dword v99, off, s[0:3], 0 offset:44
.LBB44_326:
	s_or_b64 exec, exec, s[8:9]
	buffer_load_dword v99, off, s[0:3], 0 offset:40
	v_cmp_lt_u32_e64 s[4:5], 10, v0
	s_waitcnt vmcnt(0)
	ds_write_b32 v92, v99
	s_waitcnt lgkmcnt(0)
	; wave barrier
	s_waitcnt lgkmcnt(0)
	s_and_saveexec_b64 s[8:9], s[4:5]
	s_cbranch_execz .LBB44_336
; %bb.327:
	s_andn2_b64 vcc, exec, s[10:11]
	s_cbranch_vccnz .LBB44_329
; %bb.328:
	buffer_load_dword v99, v93, s[0:3], 0 offen
	ds_read_b32 v100, v92
	s_waitcnt vmcnt(0) lgkmcnt(0)
	v_mul_f32_e32 v99, v99, v100
	s_cbranch_execz .LBB44_330
	s_branch .LBB44_331
.LBB44_329:
                                        ; implicit-def: $vgpr99
.LBB44_330:
	ds_read_b32 v99, v92
.LBB44_331:
	s_and_saveexec_b64 s[12:13], s[6:7]
	s_cbranch_execz .LBB44_335
; %bb.332:
	v_mov_b32_e32 v100, 0
	v_add_u32_e32 v100, 44, v100
	v_add_u32_e32 v101, -11, v0
	s_movk_i32 s14, 0xec
	s_mov_b64 s[6:7], 0
.LBB44_333:                             ; =>This Inner Loop Header: Depth=1
	buffer_load_dword v102, v100, s[0:3], 0 offen
	v_mov_b32_e32 v103, s14
	ds_read_b32 v103, v103
	v_add_u32_e32 v101, -1, v101
	s_add_i32 s14, s14, 4
	v_cmp_eq_u32_e32 vcc, 0, v101
	v_add_u32_e32 v100, 4, v100
	s_or_b64 s[6:7], vcc, s[6:7]
	s_waitcnt vmcnt(0) lgkmcnt(0)
	v_fmac_f32_e32 v99, v102, v103
	s_andn2_b64 exec, exec, s[6:7]
	s_cbranch_execnz .LBB44_333
; %bb.334:
	s_or_b64 exec, exec, s[6:7]
.LBB44_335:
	s_or_b64 exec, exec, s[12:13]
	v_mov_b32_e32 v100, 0
	ds_read_b32 v100, v100 offset:40
	s_waitcnt lgkmcnt(0)
	v_mul_f32_e32 v99, v99, v100
	buffer_store_dword v99, off, s[0:3], 0 offset:40
.LBB44_336:
	s_or_b64 exec, exec, s[8:9]
	buffer_load_dword v99, off, s[0:3], 0 offset:36
	v_cmp_lt_u32_e64 s[6:7], 9, v0
	s_waitcnt vmcnt(0)
	ds_write_b32 v92, v99
	s_waitcnt lgkmcnt(0)
	; wave barrier
	s_waitcnt lgkmcnt(0)
	s_and_saveexec_b64 s[8:9], s[6:7]
	s_cbranch_execz .LBB44_346
; %bb.337:
	s_andn2_b64 vcc, exec, s[10:11]
	s_cbranch_vccnz .LBB44_339
; %bb.338:
	buffer_load_dword v99, v93, s[0:3], 0 offen
	ds_read_b32 v100, v92
	s_waitcnt vmcnt(0) lgkmcnt(0)
	v_mul_f32_e32 v99, v99, v100
	s_cbranch_execz .LBB44_340
	s_branch .LBB44_341
.LBB44_339:
                                        ; implicit-def: $vgpr99
.LBB44_340:
	ds_read_b32 v99, v92
.LBB44_341:
	s_and_saveexec_b64 s[12:13], s[4:5]
	s_cbranch_execz .LBB44_345
; %bb.342:
	v_add_u32_e32 v100, -10, v0
	s_movk_i32 s14, 0xe8
	s_mov_b64 s[4:5], 0
.LBB44_343:                             ; =>This Inner Loop Header: Depth=1
	buffer_load_dword v101, v98, s[0:3], 0 offen
	v_mov_b32_e32 v102, s14
	ds_read_b32 v102, v102
	v_add_u32_e32 v100, -1, v100
	s_add_i32 s14, s14, 4
	v_cmp_eq_u32_e32 vcc, 0, v100
	v_add_u32_e32 v98, 4, v98
	s_or_b64 s[4:5], vcc, s[4:5]
	s_waitcnt vmcnt(0) lgkmcnt(0)
	v_fmac_f32_e32 v99, v101, v102
	s_andn2_b64 exec, exec, s[4:5]
	s_cbranch_execnz .LBB44_343
; %bb.344:
	s_or_b64 exec, exec, s[4:5]
.LBB44_345:
	s_or_b64 exec, exec, s[12:13]
	v_mov_b32_e32 v98, 0
	ds_read_b32 v98, v98 offset:36
	s_waitcnt lgkmcnt(0)
	v_mul_f32_e32 v98, v99, v98
	buffer_store_dword v98, off, s[0:3], 0 offset:36
.LBB44_346:
	s_or_b64 exec, exec, s[8:9]
	buffer_load_dword v98, off, s[0:3], 0 offset:32
	v_cmp_lt_u32_e64 s[4:5], 8, v0
	s_waitcnt vmcnt(0)
	ds_write_b32 v92, v98
	s_waitcnt lgkmcnt(0)
	; wave barrier
	s_waitcnt lgkmcnt(0)
	s_and_saveexec_b64 s[8:9], s[4:5]
	s_cbranch_execz .LBB44_356
; %bb.347:
	s_andn2_b64 vcc, exec, s[10:11]
	s_cbranch_vccnz .LBB44_349
; %bb.348:
	buffer_load_dword v98, v93, s[0:3], 0 offen
	ds_read_b32 v99, v92
	s_waitcnt vmcnt(0) lgkmcnt(0)
	v_mul_f32_e32 v98, v98, v99
	s_cbranch_execz .LBB44_350
	s_branch .LBB44_351
.LBB44_349:
                                        ; implicit-def: $vgpr98
.LBB44_350:
	ds_read_b32 v98, v92
.LBB44_351:
	s_and_saveexec_b64 s[12:13], s[6:7]
	s_cbranch_execz .LBB44_355
; %bb.352:
	v_mov_b32_e32 v99, 0
	v_add_u32_e32 v99, 36, v99
	v_add_u32_e32 v100, -9, v0
	s_movk_i32 s14, 0xe4
	s_mov_b64 s[6:7], 0
.LBB44_353:                             ; =>This Inner Loop Header: Depth=1
	buffer_load_dword v101, v99, s[0:3], 0 offen
	v_mov_b32_e32 v102, s14
	ds_read_b32 v102, v102
	v_add_u32_e32 v100, -1, v100
	s_add_i32 s14, s14, 4
	v_cmp_eq_u32_e32 vcc, 0, v100
	v_add_u32_e32 v99, 4, v99
	s_or_b64 s[6:7], vcc, s[6:7]
	s_waitcnt vmcnt(0) lgkmcnt(0)
	v_fmac_f32_e32 v98, v101, v102
	s_andn2_b64 exec, exec, s[6:7]
	s_cbranch_execnz .LBB44_353
; %bb.354:
	s_or_b64 exec, exec, s[6:7]
.LBB44_355:
	s_or_b64 exec, exec, s[12:13]
	v_mov_b32_e32 v99, 0
	ds_read_b32 v99, v99 offset:32
	s_waitcnt lgkmcnt(0)
	v_mul_f32_e32 v98, v98, v99
	buffer_store_dword v98, off, s[0:3], 0 offset:32
.LBB44_356:
	s_or_b64 exec, exec, s[8:9]
	buffer_load_dword v98, off, s[0:3], 0 offset:28
	v_cmp_lt_u32_e64 s[6:7], 7, v0
	s_waitcnt vmcnt(0)
	ds_write_b32 v92, v98
	s_waitcnt lgkmcnt(0)
	; wave barrier
	s_waitcnt lgkmcnt(0)
	s_and_saveexec_b64 s[8:9], s[6:7]
	s_cbranch_execz .LBB44_366
; %bb.357:
	s_andn2_b64 vcc, exec, s[10:11]
	s_cbranch_vccnz .LBB44_359
; %bb.358:
	buffer_load_dword v98, v93, s[0:3], 0 offen
	ds_read_b32 v99, v92
	s_waitcnt vmcnt(0) lgkmcnt(0)
	v_mul_f32_e32 v98, v98, v99
	s_cbranch_execz .LBB44_360
	s_branch .LBB44_361
.LBB44_359:
                                        ; implicit-def: $vgpr98
.LBB44_360:
	ds_read_b32 v98, v92
.LBB44_361:
	s_and_saveexec_b64 s[12:13], s[4:5]
	s_cbranch_execz .LBB44_365
; %bb.362:
	v_add_u32_e32 v99, -8, v0
	s_movk_i32 s14, 0xe0
	s_mov_b64 s[4:5], 0
.LBB44_363:                             ; =>This Inner Loop Header: Depth=1
	buffer_load_dword v100, v97, s[0:3], 0 offen
	v_mov_b32_e32 v101, s14
	ds_read_b32 v101, v101
	v_add_u32_e32 v99, -1, v99
	s_add_i32 s14, s14, 4
	v_cmp_eq_u32_e32 vcc, 0, v99
	v_add_u32_e32 v97, 4, v97
	s_or_b64 s[4:5], vcc, s[4:5]
	s_waitcnt vmcnt(0) lgkmcnt(0)
	v_fmac_f32_e32 v98, v100, v101
	s_andn2_b64 exec, exec, s[4:5]
	s_cbranch_execnz .LBB44_363
; %bb.364:
	s_or_b64 exec, exec, s[4:5]
.LBB44_365:
	s_or_b64 exec, exec, s[12:13]
	v_mov_b32_e32 v97, 0
	ds_read_b32 v97, v97 offset:28
	s_waitcnt lgkmcnt(0)
	v_mul_f32_e32 v97, v98, v97
	buffer_store_dword v97, off, s[0:3], 0 offset:28
.LBB44_366:
	s_or_b64 exec, exec, s[8:9]
	buffer_load_dword v97, off, s[0:3], 0 offset:24
	v_cmp_lt_u32_e64 s[4:5], 6, v0
	s_waitcnt vmcnt(0)
	ds_write_b32 v92, v97
	s_waitcnt lgkmcnt(0)
	; wave barrier
	s_waitcnt lgkmcnt(0)
	s_and_saveexec_b64 s[8:9], s[4:5]
	s_cbranch_execz .LBB44_376
; %bb.367:
	s_andn2_b64 vcc, exec, s[10:11]
	s_cbranch_vccnz .LBB44_369
; %bb.368:
	buffer_load_dword v97, v93, s[0:3], 0 offen
	ds_read_b32 v98, v92
	s_waitcnt vmcnt(0) lgkmcnt(0)
	v_mul_f32_e32 v97, v97, v98
	s_cbranch_execz .LBB44_370
	s_branch .LBB44_371
.LBB44_369:
                                        ; implicit-def: $vgpr97
.LBB44_370:
	ds_read_b32 v97, v92
.LBB44_371:
	s_and_saveexec_b64 s[12:13], s[6:7]
	s_cbranch_execz .LBB44_375
; %bb.372:
	v_mov_b32_e32 v98, 0
	v_add_u32_e32 v98, 28, v98
	v_add_u32_e32 v99, -7, v0
	s_movk_i32 s14, 0xdc
	s_mov_b64 s[6:7], 0
.LBB44_373:                             ; =>This Inner Loop Header: Depth=1
	buffer_load_dword v100, v98, s[0:3], 0 offen
	v_mov_b32_e32 v101, s14
	ds_read_b32 v101, v101
	v_add_u32_e32 v99, -1, v99
	s_add_i32 s14, s14, 4
	v_cmp_eq_u32_e32 vcc, 0, v99
	v_add_u32_e32 v98, 4, v98
	s_or_b64 s[6:7], vcc, s[6:7]
	s_waitcnt vmcnt(0) lgkmcnt(0)
	v_fmac_f32_e32 v97, v100, v101
	s_andn2_b64 exec, exec, s[6:7]
	s_cbranch_execnz .LBB44_373
; %bb.374:
	s_or_b64 exec, exec, s[6:7]
.LBB44_375:
	s_or_b64 exec, exec, s[12:13]
	v_mov_b32_e32 v98, 0
	ds_read_b32 v98, v98 offset:24
	s_waitcnt lgkmcnt(0)
	v_mul_f32_e32 v97, v97, v98
	buffer_store_dword v97, off, s[0:3], 0 offset:24
.LBB44_376:
	s_or_b64 exec, exec, s[8:9]
	buffer_load_dword v97, off, s[0:3], 0 offset:20
	v_cmp_lt_u32_e64 s[6:7], 5, v0
	s_waitcnt vmcnt(0)
	ds_write_b32 v92, v97
	s_waitcnt lgkmcnt(0)
	; wave barrier
	s_waitcnt lgkmcnt(0)
	s_and_saveexec_b64 s[8:9], s[6:7]
	s_cbranch_execz .LBB44_386
; %bb.377:
	s_andn2_b64 vcc, exec, s[10:11]
	s_cbranch_vccnz .LBB44_379
; %bb.378:
	buffer_load_dword v97, v93, s[0:3], 0 offen
	ds_read_b32 v98, v92
	s_waitcnt vmcnt(0) lgkmcnt(0)
	v_mul_f32_e32 v97, v97, v98
	s_cbranch_execz .LBB44_380
	s_branch .LBB44_381
.LBB44_379:
                                        ; implicit-def: $vgpr97
.LBB44_380:
	ds_read_b32 v97, v92
.LBB44_381:
	s_and_saveexec_b64 s[12:13], s[4:5]
	s_cbranch_execz .LBB44_385
; %bb.382:
	v_add_u32_e32 v98, -6, v0
	s_movk_i32 s14, 0xd8
	s_mov_b64 s[4:5], 0
.LBB44_383:                             ; =>This Inner Loop Header: Depth=1
	buffer_load_dword v99, v96, s[0:3], 0 offen
	v_mov_b32_e32 v100, s14
	ds_read_b32 v100, v100
	v_add_u32_e32 v98, -1, v98
	s_add_i32 s14, s14, 4
	v_cmp_eq_u32_e32 vcc, 0, v98
	v_add_u32_e32 v96, 4, v96
	s_or_b64 s[4:5], vcc, s[4:5]
	s_waitcnt vmcnt(0) lgkmcnt(0)
	v_fmac_f32_e32 v97, v99, v100
	s_andn2_b64 exec, exec, s[4:5]
	s_cbranch_execnz .LBB44_383
; %bb.384:
	s_or_b64 exec, exec, s[4:5]
.LBB44_385:
	s_or_b64 exec, exec, s[12:13]
	v_mov_b32_e32 v96, 0
	ds_read_b32 v96, v96 offset:20
	s_waitcnt lgkmcnt(0)
	v_mul_f32_e32 v96, v97, v96
	buffer_store_dword v96, off, s[0:3], 0 offset:20
.LBB44_386:
	s_or_b64 exec, exec, s[8:9]
	buffer_load_dword v96, off, s[0:3], 0 offset:16
	v_cmp_lt_u32_e64 s[4:5], 4, v0
	s_waitcnt vmcnt(0)
	ds_write_b32 v92, v96
	s_waitcnt lgkmcnt(0)
	; wave barrier
	s_waitcnt lgkmcnt(0)
	s_and_saveexec_b64 s[8:9], s[4:5]
	s_cbranch_execz .LBB44_396
; %bb.387:
	s_andn2_b64 vcc, exec, s[10:11]
	s_cbranch_vccnz .LBB44_389
; %bb.388:
	buffer_load_dword v96, v93, s[0:3], 0 offen
	ds_read_b32 v97, v92
	s_waitcnt vmcnt(0) lgkmcnt(0)
	v_mul_f32_e32 v96, v96, v97
	s_cbranch_execz .LBB44_390
	s_branch .LBB44_391
.LBB44_389:
                                        ; implicit-def: $vgpr96
.LBB44_390:
	ds_read_b32 v96, v92
.LBB44_391:
	s_and_saveexec_b64 s[12:13], s[6:7]
	s_cbranch_execz .LBB44_395
; %bb.392:
	v_mov_b32_e32 v97, 0
	v_add_u32_e32 v97, 20, v97
	v_add_u32_e32 v98, -5, v0
	s_movk_i32 s14, 0xd4
	s_mov_b64 s[6:7], 0
.LBB44_393:                             ; =>This Inner Loop Header: Depth=1
	buffer_load_dword v99, v97, s[0:3], 0 offen
	v_mov_b32_e32 v100, s14
	ds_read_b32 v100, v100
	v_add_u32_e32 v98, -1, v98
	s_add_i32 s14, s14, 4
	v_cmp_eq_u32_e32 vcc, 0, v98
	v_add_u32_e32 v97, 4, v97
	s_or_b64 s[6:7], vcc, s[6:7]
	s_waitcnt vmcnt(0) lgkmcnt(0)
	v_fmac_f32_e32 v96, v99, v100
	s_andn2_b64 exec, exec, s[6:7]
	s_cbranch_execnz .LBB44_393
; %bb.394:
	s_or_b64 exec, exec, s[6:7]
.LBB44_395:
	s_or_b64 exec, exec, s[12:13]
	v_mov_b32_e32 v97, 0
	ds_read_b32 v97, v97 offset:16
	s_waitcnt lgkmcnt(0)
	v_mul_f32_e32 v96, v96, v97
	buffer_store_dword v96, off, s[0:3], 0 offset:16
.LBB44_396:
	s_or_b64 exec, exec, s[8:9]
	buffer_load_dword v96, off, s[0:3], 0 offset:12
	v_cmp_lt_u32_e64 s[6:7], 3, v0
	s_waitcnt vmcnt(0)
	ds_write_b32 v92, v96
	s_waitcnt lgkmcnt(0)
	; wave barrier
	s_waitcnt lgkmcnt(0)
	s_and_saveexec_b64 s[8:9], s[6:7]
	s_cbranch_execz .LBB44_406
; %bb.397:
	s_andn2_b64 vcc, exec, s[10:11]
	s_cbranch_vccnz .LBB44_399
; %bb.398:
	buffer_load_dword v96, v93, s[0:3], 0 offen
	ds_read_b32 v97, v92
	s_waitcnt vmcnt(0) lgkmcnt(0)
	v_mul_f32_e32 v96, v96, v97
	s_cbranch_execz .LBB44_400
	s_branch .LBB44_401
.LBB44_399:
                                        ; implicit-def: $vgpr96
.LBB44_400:
	ds_read_b32 v96, v92
.LBB44_401:
	s_and_saveexec_b64 s[12:13], s[4:5]
	s_cbranch_execz .LBB44_405
; %bb.402:
	v_add_u32_e32 v97, -4, v0
	s_movk_i32 s14, 0xd0
	s_mov_b64 s[4:5], 0
.LBB44_403:                             ; =>This Inner Loop Header: Depth=1
	buffer_load_dword v98, v95, s[0:3], 0 offen
	v_mov_b32_e32 v99, s14
	ds_read_b32 v99, v99
	v_add_u32_e32 v97, -1, v97
	s_add_i32 s14, s14, 4
	v_cmp_eq_u32_e32 vcc, 0, v97
	v_add_u32_e32 v95, 4, v95
	s_or_b64 s[4:5], vcc, s[4:5]
	s_waitcnt vmcnt(0) lgkmcnt(0)
	v_fmac_f32_e32 v96, v98, v99
	s_andn2_b64 exec, exec, s[4:5]
	s_cbranch_execnz .LBB44_403
; %bb.404:
	s_or_b64 exec, exec, s[4:5]
.LBB44_405:
	s_or_b64 exec, exec, s[12:13]
	v_mov_b32_e32 v95, 0
	ds_read_b32 v95, v95 offset:12
	s_waitcnt lgkmcnt(0)
	v_mul_f32_e32 v95, v96, v95
	buffer_store_dword v95, off, s[0:3], 0 offset:12
.LBB44_406:
	s_or_b64 exec, exec, s[8:9]
	buffer_load_dword v95, off, s[0:3], 0 offset:8
	v_cmp_lt_u32_e64 s[4:5], 2, v0
	s_waitcnt vmcnt(0)
	ds_write_b32 v92, v95
	s_waitcnt lgkmcnt(0)
	; wave barrier
	s_waitcnt lgkmcnt(0)
	s_and_saveexec_b64 s[8:9], s[4:5]
	s_cbranch_execz .LBB44_416
; %bb.407:
	s_andn2_b64 vcc, exec, s[10:11]
	s_cbranch_vccnz .LBB44_409
; %bb.408:
	buffer_load_dword v95, v93, s[0:3], 0 offen
	ds_read_b32 v96, v92
	s_waitcnt vmcnt(0) lgkmcnt(0)
	v_mul_f32_e32 v95, v95, v96
	s_cbranch_execz .LBB44_410
	s_branch .LBB44_411
.LBB44_409:
                                        ; implicit-def: $vgpr95
.LBB44_410:
	ds_read_b32 v95, v92
.LBB44_411:
	s_and_saveexec_b64 s[12:13], s[6:7]
	s_cbranch_execz .LBB44_415
; %bb.412:
	v_mov_b32_e32 v96, 0
	v_or_b32_e32 v96, 12, v96
	v_add_u32_e32 v97, -3, v0
	s_movk_i32 s14, 0xcc
	s_mov_b64 s[6:7], 0
.LBB44_413:                             ; =>This Inner Loop Header: Depth=1
	buffer_load_dword v98, v96, s[0:3], 0 offen
	v_mov_b32_e32 v99, s14
	ds_read_b32 v99, v99
	v_add_u32_e32 v97, -1, v97
	s_add_i32 s14, s14, 4
	v_cmp_eq_u32_e32 vcc, 0, v97
	v_add_u32_e32 v96, 4, v96
	s_or_b64 s[6:7], vcc, s[6:7]
	s_waitcnt vmcnt(0) lgkmcnt(0)
	v_fmac_f32_e32 v95, v98, v99
	s_andn2_b64 exec, exec, s[6:7]
	s_cbranch_execnz .LBB44_413
; %bb.414:
	s_or_b64 exec, exec, s[6:7]
.LBB44_415:
	s_or_b64 exec, exec, s[12:13]
	v_mov_b32_e32 v96, 0
	ds_read_b32 v96, v96 offset:8
	s_waitcnt lgkmcnt(0)
	v_mul_f32_e32 v95, v95, v96
	buffer_store_dword v95, off, s[0:3], 0 offset:8
.LBB44_416:
	s_or_b64 exec, exec, s[8:9]
	buffer_load_dword v95, off, s[0:3], 0 offset:4
	v_cmp_lt_u32_e64 s[6:7], 1, v0
	s_waitcnt vmcnt(0)
	ds_write_b32 v92, v95
	s_waitcnt lgkmcnt(0)
	; wave barrier
	s_waitcnt lgkmcnt(0)
	s_and_saveexec_b64 s[8:9], s[6:7]
	s_cbranch_execz .LBB44_426
; %bb.417:
	s_andn2_b64 vcc, exec, s[10:11]
	s_cbranch_vccnz .LBB44_419
; %bb.418:
	buffer_load_dword v95, v93, s[0:3], 0 offen
	ds_read_b32 v96, v92
	s_waitcnt vmcnt(0) lgkmcnt(0)
	v_mul_f32_e32 v95, v95, v96
	s_cbranch_execz .LBB44_420
	s_branch .LBB44_421
.LBB44_419:
                                        ; implicit-def: $vgpr95
.LBB44_420:
	ds_read_b32 v95, v92
.LBB44_421:
	s_and_saveexec_b64 s[12:13], s[4:5]
	s_cbranch_execz .LBB44_425
; %bb.422:
	v_add_u32_e32 v96, -2, v0
	s_movk_i32 s14, 0xc8
	s_mov_b64 s[4:5], 0
.LBB44_423:                             ; =>This Inner Loop Header: Depth=1
	buffer_load_dword v97, v94, s[0:3], 0 offen
	v_mov_b32_e32 v98, s14
	ds_read_b32 v98, v98
	v_add_u32_e32 v96, -1, v96
	s_add_i32 s14, s14, 4
	v_cmp_eq_u32_e32 vcc, 0, v96
	v_add_u32_e32 v94, 4, v94
	s_or_b64 s[4:5], vcc, s[4:5]
	s_waitcnt vmcnt(0) lgkmcnt(0)
	v_fmac_f32_e32 v95, v97, v98
	s_andn2_b64 exec, exec, s[4:5]
	s_cbranch_execnz .LBB44_423
; %bb.424:
	s_or_b64 exec, exec, s[4:5]
.LBB44_425:
	s_or_b64 exec, exec, s[12:13]
	v_mov_b32_e32 v94, 0
	ds_read_b32 v94, v94 offset:4
	s_waitcnt lgkmcnt(0)
	v_mul_f32_e32 v94, v95, v94
	buffer_store_dword v94, off, s[0:3], 0 offset:4
.LBB44_426:
	s_or_b64 exec, exec, s[8:9]
	buffer_load_dword v94, off, s[0:3], 0
	v_cmp_ne_u32_e32 vcc, 0, v0
	s_waitcnt vmcnt(0)
	ds_write_b32 v92, v94
	s_waitcnt lgkmcnt(0)
	; wave barrier
	s_waitcnt lgkmcnt(0)
	s_and_saveexec_b64 s[4:5], vcc
	s_cbranch_execz .LBB44_436
; %bb.427:
	s_andn2_b64 vcc, exec, s[10:11]
	s_cbranch_vccnz .LBB44_429
; %bb.428:
	buffer_load_dword v94, v93, s[0:3], 0 offen
	ds_read_b32 v95, v92
	s_waitcnt vmcnt(0) lgkmcnt(0)
	v_mul_f32_e32 v94, v94, v95
	s_cbranch_execz .LBB44_430
	s_branch .LBB44_431
.LBB44_429:
                                        ; implicit-def: $vgpr94
.LBB44_430:
	ds_read_b32 v94, v92
.LBB44_431:
	s_and_saveexec_b64 s[8:9], s[6:7]
	s_cbranch_execz .LBB44_435
; %bb.432:
	v_mov_b32_e32 v95, 0
	v_or_b32_e32 v95, 4, v95
	v_add_u32_e32 v96, -1, v0
	s_movk_i32 s12, 0xc4
	s_mov_b64 s[6:7], 0
.LBB44_433:                             ; =>This Inner Loop Header: Depth=1
	buffer_load_dword v97, v95, s[0:3], 0 offen
	v_mov_b32_e32 v98, s12
	ds_read_b32 v98, v98
	v_add_u32_e32 v96, -1, v96
	s_add_i32 s12, s12, 4
	v_cmp_eq_u32_e32 vcc, 0, v96
	v_add_u32_e32 v95, 4, v95
	s_or_b64 s[6:7], vcc, s[6:7]
	s_waitcnt vmcnt(0) lgkmcnt(0)
	v_fmac_f32_e32 v94, v97, v98
	s_andn2_b64 exec, exec, s[6:7]
	s_cbranch_execnz .LBB44_433
; %bb.434:
	s_or_b64 exec, exec, s[6:7]
.LBB44_435:
	s_or_b64 exec, exec, s[8:9]
	v_mov_b32_e32 v95, 0
	ds_read_b32 v95, v95
	s_waitcnt lgkmcnt(0)
	v_mul_f32_e32 v94, v94, v95
	buffer_store_dword v94, off, s[0:3], 0
.LBB44_436:
	s_or_b64 exec, exec, s[4:5]
	s_mov_b64 s[4:5], 0
.LBB44_437:
	s_and_b64 vcc, exec, s[4:5]
	s_cbranch_vccz .LBB44_871
; %bb.438:
	buffer_load_dword v94, off, s[0:3], 0 offset:4
	v_cmp_eq_u32_e64 s[6:7], 0, v0
	s_waitcnt vmcnt(0)
	ds_write_b32 v92, v94
	s_waitcnt lgkmcnt(0)
	; wave barrier
	s_waitcnt lgkmcnt(0)
	s_and_saveexec_b64 s[4:5], s[6:7]
	s_cbranch_execz .LBB44_444
; %bb.439:
	s_and_b64 vcc, exec, s[10:11]
	s_cbranch_vccz .LBB44_441
; %bb.440:
	buffer_load_dword v94, v93, s[0:3], 0 offen
	ds_read_b32 v95, v92
	s_waitcnt vmcnt(0) lgkmcnt(0)
	v_mul_f32_e32 v94, v94, v95
	s_cbranch_execz .LBB44_442
	s_branch .LBB44_443
.LBB44_441:
                                        ; implicit-def: $vgpr94
.LBB44_442:
	ds_read_b32 v94, v92
.LBB44_443:
	v_mov_b32_e32 v95, 0
	ds_read_b32 v95, v95 offset:4
	s_waitcnt lgkmcnt(0)
	v_mul_f32_e32 v94, v94, v95
	buffer_store_dword v94, off, s[0:3], 0 offset:4
.LBB44_444:
	s_or_b64 exec, exec, s[4:5]
	buffer_load_dword v94, off, s[0:3], 0 offset:8
	v_cndmask_b32_e64 v95, 0, 1, s[10:11]
	v_cmp_gt_u32_e32 vcc, 2, v0
	v_cmp_ne_u32_e64 s[4:5], 1, v95
	s_waitcnt vmcnt(0)
	ds_write_b32 v92, v94
	s_waitcnt lgkmcnt(0)
	; wave barrier
	s_waitcnt lgkmcnt(0)
	s_and_saveexec_b64 s[8:9], vcc
	s_cbranch_execz .LBB44_452
; %bb.445:
	s_and_b64 vcc, exec, s[4:5]
	s_cbranch_vccnz .LBB44_447
; %bb.446:
	buffer_load_dword v94, v93, s[0:3], 0 offen
	ds_read_b32 v95, v92
	s_waitcnt vmcnt(0) lgkmcnt(0)
	v_mul_f32_e32 v94, v94, v95
	s_cbranch_execz .LBB44_448
	s_branch .LBB44_449
.LBB44_447:
                                        ; implicit-def: $vgpr94
.LBB44_448:
	ds_read_b32 v94, v92
.LBB44_449:
	s_and_saveexec_b64 s[10:11], s[6:7]
	s_cbranch_execz .LBB44_451
; %bb.450:
	buffer_load_dword v95, v93, s[0:3], 0 offen offset:4
	ds_read_b32 v96, v92 offset:4
	s_waitcnt vmcnt(0) lgkmcnt(0)
	v_fmac_f32_e32 v94, v95, v96
.LBB44_451:
	s_or_b64 exec, exec, s[10:11]
	v_mov_b32_e32 v95, 0
	ds_read_b32 v95, v95 offset:8
	s_waitcnt lgkmcnt(0)
	v_mul_f32_e32 v94, v94, v95
	buffer_store_dword v94, off, s[0:3], 0 offset:8
.LBB44_452:
	s_or_b64 exec, exec, s[8:9]
	buffer_load_dword v94, off, s[0:3], 0 offset:12
	v_cmp_gt_u32_e32 vcc, 3, v0
	s_waitcnt vmcnt(0)
	ds_write_b32 v92, v94
	s_waitcnt lgkmcnt(0)
	; wave barrier
	s_waitcnt lgkmcnt(0)
	s_and_saveexec_b64 s[8:9], vcc
	s_cbranch_execz .LBB44_460
; %bb.453:
	s_and_b64 vcc, exec, s[4:5]
	s_cbranch_vccnz .LBB44_455
; %bb.454:
	buffer_load_dword v94, v93, s[0:3], 0 offen
	ds_read_b32 v95, v92
	s_waitcnt vmcnt(0) lgkmcnt(0)
	v_mul_f32_e32 v94, v94, v95
	s_cbranch_execz .LBB44_456
	s_branch .LBB44_457
.LBB44_455:
                                        ; implicit-def: $vgpr94
.LBB44_456:
	ds_read_b32 v94, v92
.LBB44_457:
	v_cmp_ne_u32_e32 vcc, 2, v0
	s_and_saveexec_b64 s[10:11], vcc
	s_cbranch_execz .LBB44_459
; %bb.458:
	buffer_load_dword v95, v93, s[0:3], 0 offen offset:4
	buffer_load_dword v96, off, s[0:3], 0 offset:8
	v_mov_b32_e32 v97, 0
	ds_read_b32 v98, v92 offset:4
	ds_read_b32 v97, v97 offset:200
	s_waitcnt vmcnt(1) lgkmcnt(1)
	v_fmac_f32_e32 v94, v95, v98
	s_waitcnt vmcnt(0) lgkmcnt(0)
	v_fma_f32 v95, v96, v97, v94
	v_cndmask_b32_e64 v94, v94, v95, s[6:7]
.LBB44_459:
	s_or_b64 exec, exec, s[10:11]
	v_mov_b32_e32 v95, 0
	ds_read_b32 v95, v95 offset:12
	s_waitcnt lgkmcnt(0)
	v_mul_f32_e32 v94, v94, v95
	buffer_store_dword v94, off, s[0:3], 0 offset:12
.LBB44_460:
	s_or_b64 exec, exec, s[8:9]
	buffer_load_dword v94, off, s[0:3], 0 offset:16
	v_cmp_gt_u32_e32 vcc, 4, v0
	s_waitcnt vmcnt(0)
	ds_write_b32 v92, v94
	s_waitcnt lgkmcnt(0)
	; wave barrier
	s_waitcnt lgkmcnt(0)
	s_and_saveexec_b64 s[6:7], vcc
	s_cbranch_execz .LBB44_470
; %bb.461:
	s_and_b64 vcc, exec, s[4:5]
	s_cbranch_vccnz .LBB44_463
; %bb.462:
	buffer_load_dword v94, v93, s[0:3], 0 offen
	ds_read_b32 v95, v92
	s_waitcnt vmcnt(0) lgkmcnt(0)
	v_mul_f32_e32 v94, v94, v95
	s_cbranch_execz .LBB44_464
	s_branch .LBB44_465
.LBB44_463:
                                        ; implicit-def: $vgpr94
.LBB44_464:
	ds_read_b32 v94, v92
.LBB44_465:
	v_cmp_ne_u32_e32 vcc, 3, v0
	s_and_saveexec_b64 s[8:9], vcc
	s_cbranch_execz .LBB44_469
; %bb.466:
	v_mov_b32_e32 v96, 0
	v_add_u32_e32 v95, 0xc4, v1
	v_add3_u32 v96, v1, v96, 4
	s_mov_b64 s[10:11], 0
	v_mov_b32_e32 v97, v0
.LBB44_467:                             ; =>This Inner Loop Header: Depth=1
	buffer_load_dword v98, v96, s[0:3], 0 offen
	ds_read_b32 v99, v95
	v_add_u32_e32 v97, 1, v97
	v_cmp_lt_u32_e32 vcc, 2, v97
	v_add_u32_e32 v95, 4, v95
	v_add_u32_e32 v96, 4, v96
	s_or_b64 s[10:11], vcc, s[10:11]
	s_waitcnt vmcnt(0) lgkmcnt(0)
	v_fmac_f32_e32 v94, v98, v99
	s_andn2_b64 exec, exec, s[10:11]
	s_cbranch_execnz .LBB44_467
; %bb.468:
	s_or_b64 exec, exec, s[10:11]
.LBB44_469:
	s_or_b64 exec, exec, s[8:9]
	v_mov_b32_e32 v95, 0
	ds_read_b32 v95, v95 offset:16
	s_waitcnt lgkmcnt(0)
	v_mul_f32_e32 v94, v94, v95
	buffer_store_dword v94, off, s[0:3], 0 offset:16
.LBB44_470:
	s_or_b64 exec, exec, s[6:7]
	buffer_load_dword v94, off, s[0:3], 0 offset:20
	v_cmp_gt_u32_e32 vcc, 5, v0
	s_waitcnt vmcnt(0)
	ds_write_b32 v92, v94
	s_waitcnt lgkmcnt(0)
	; wave barrier
	s_waitcnt lgkmcnt(0)
	s_and_saveexec_b64 s[6:7], vcc
	s_cbranch_execz .LBB44_480
; %bb.471:
	s_and_b64 vcc, exec, s[4:5]
	s_cbranch_vccnz .LBB44_473
; %bb.472:
	buffer_load_dword v94, v93, s[0:3], 0 offen
	ds_read_b32 v95, v92
	s_waitcnt vmcnt(0) lgkmcnt(0)
	v_mul_f32_e32 v94, v94, v95
	s_cbranch_execz .LBB44_474
	s_branch .LBB44_475
.LBB44_473:
                                        ; implicit-def: $vgpr94
.LBB44_474:
	ds_read_b32 v94, v92
.LBB44_475:
	v_cmp_ne_u32_e32 vcc, 4, v0
	s_and_saveexec_b64 s[8:9], vcc
	s_cbranch_execz .LBB44_479
; %bb.476:
	v_mov_b32_e32 v96, 0
	v_add_u32_e32 v95, 0xc4, v1
	v_add3_u32 v96, v1, v96, 4
	s_mov_b64 s[10:11], 0
	v_mov_b32_e32 v97, v0
.LBB44_477:                             ; =>This Inner Loop Header: Depth=1
	buffer_load_dword v98, v96, s[0:3], 0 offen
	ds_read_b32 v99, v95
	v_add_u32_e32 v97, 1, v97
	v_cmp_lt_u32_e32 vcc, 3, v97
	v_add_u32_e32 v95, 4, v95
	v_add_u32_e32 v96, 4, v96
	s_or_b64 s[10:11], vcc, s[10:11]
	s_waitcnt vmcnt(0) lgkmcnt(0)
	v_fmac_f32_e32 v94, v98, v99
	s_andn2_b64 exec, exec, s[10:11]
	s_cbranch_execnz .LBB44_477
; %bb.478:
	s_or_b64 exec, exec, s[10:11]
.LBB44_479:
	s_or_b64 exec, exec, s[8:9]
	v_mov_b32_e32 v95, 0
	ds_read_b32 v95, v95 offset:20
	s_waitcnt lgkmcnt(0)
	v_mul_f32_e32 v94, v94, v95
	buffer_store_dword v94, off, s[0:3], 0 offset:20
.LBB44_480:
	;; [unrolled: 56-line block ×39, first 2 shown]
	s_or_b64 exec, exec, s[6:7]
	buffer_load_dword v94, off, s[0:3], 0 offset:172
	v_cmp_gt_u32_e64 s[6:7], 43, v0
	s_waitcnt vmcnt(0)
	ds_write_b32 v92, v94
	s_waitcnt lgkmcnt(0)
	; wave barrier
	s_waitcnt lgkmcnt(0)
	s_and_saveexec_b64 s[8:9], s[6:7]
	s_cbranch_execz .LBB44_860
; %bb.851:
	s_and_b64 vcc, exec, s[4:5]
	s_cbranch_vccnz .LBB44_853
; %bb.852:
	buffer_load_dword v94, v93, s[0:3], 0 offen
	ds_read_b32 v95, v92
	s_waitcnt vmcnt(0) lgkmcnt(0)
	v_mul_f32_e32 v94, v94, v95
	s_cbranch_execz .LBB44_854
	s_branch .LBB44_855
.LBB44_853:
                                        ; implicit-def: $vgpr94
.LBB44_854:
	ds_read_b32 v94, v92
.LBB44_855:
	v_cmp_ne_u32_e32 vcc, 42, v0
	s_and_saveexec_b64 s[10:11], vcc
	s_cbranch_execz .LBB44_859
; %bb.856:
	v_mov_b32_e32 v96, 0
	v_add_u32_e32 v95, 0xc4, v1
	v_add3_u32 v96, v1, v96, 4
	s_mov_b64 s[12:13], 0
	v_mov_b32_e32 v97, v0
.LBB44_857:                             ; =>This Inner Loop Header: Depth=1
	buffer_load_dword v98, v96, s[0:3], 0 offen
	ds_read_b32 v99, v95
	v_add_u32_e32 v97, 1, v97
	v_cmp_lt_u32_e32 vcc, 41, v97
	v_add_u32_e32 v95, 4, v95
	v_add_u32_e32 v96, 4, v96
	s_or_b64 s[12:13], vcc, s[12:13]
	s_waitcnt vmcnt(0) lgkmcnt(0)
	v_fmac_f32_e32 v94, v98, v99
	s_andn2_b64 exec, exec, s[12:13]
	s_cbranch_execnz .LBB44_857
; %bb.858:
	s_or_b64 exec, exec, s[12:13]
.LBB44_859:
	s_or_b64 exec, exec, s[10:11]
	v_mov_b32_e32 v95, 0
	ds_read_b32 v95, v95 offset:172
	s_waitcnt lgkmcnt(0)
	v_mul_f32_e32 v94, v94, v95
	buffer_store_dword v94, off, s[0:3], 0 offset:172
.LBB44_860:
	s_or_b64 exec, exec, s[8:9]
	buffer_load_dword v94, off, s[0:3], 0 offset:176
	v_cmp_ne_u32_e32 vcc, 44, v0
	s_waitcnt vmcnt(0)
	ds_write_b32 v92, v94
	s_waitcnt lgkmcnt(0)
	; wave barrier
	s_waitcnt lgkmcnt(0)
	s_and_saveexec_b64 s[8:9], vcc
	s_cbranch_execz .LBB44_870
; %bb.861:
	s_and_b64 vcc, exec, s[4:5]
	s_cbranch_vccnz .LBB44_863
; %bb.862:
	buffer_load_dword v93, v93, s[0:3], 0 offen
	ds_read_b32 v94, v92
	s_waitcnt vmcnt(0) lgkmcnt(0)
	v_mul_f32_e32 v93, v93, v94
	s_cbranch_execz .LBB44_864
	s_branch .LBB44_865
.LBB44_863:
                                        ; implicit-def: $vgpr93
.LBB44_864:
	ds_read_b32 v93, v92
.LBB44_865:
	s_and_saveexec_b64 s[4:5], s[6:7]
	s_cbranch_execz .LBB44_869
; %bb.866:
	v_mov_b32_e32 v94, 0
	v_add_u32_e32 v92, 0xc4, v1
	v_add3_u32 v1, v1, v94, 4
	s_mov_b64 s[6:7], 0
.LBB44_867:                             ; =>This Inner Loop Header: Depth=1
	buffer_load_dword v94, v1, s[0:3], 0 offen
	ds_read_b32 v95, v92
	v_add_u32_e32 v0, 1, v0
	v_cmp_lt_u32_e32 vcc, 42, v0
	v_add_u32_e32 v92, 4, v92
	v_add_u32_e32 v1, 4, v1
	s_or_b64 s[6:7], vcc, s[6:7]
	s_waitcnt vmcnt(0) lgkmcnt(0)
	v_fmac_f32_e32 v93, v94, v95
	s_andn2_b64 exec, exec, s[6:7]
	s_cbranch_execnz .LBB44_867
; %bb.868:
	s_or_b64 exec, exec, s[6:7]
.LBB44_869:
	s_or_b64 exec, exec, s[4:5]
	v_mov_b32_e32 v0, 0
	ds_read_b32 v0, v0 offset:176
	s_waitcnt lgkmcnt(0)
	v_mul_f32_e32 v0, v93, v0
	buffer_store_dword v0, off, s[0:3], 0 offset:176
.LBB44_870:
	s_or_b64 exec, exec, s[8:9]
.LBB44_871:
	buffer_load_dword v0, off, s[0:3], 0
	buffer_load_dword v1, off, s[0:3], 0 offset:4
	buffer_load_dword v92, off, s[0:3], 0 offset:8
	;; [unrolled: 1-line block ×31, first 2 shown]
	s_waitcnt vmcnt(31)
	global_store_dword v[2:3], v0, off
	s_waitcnt vmcnt(31)
	global_store_dword v[4:5], v1, off
	buffer_load_dword v0, off, s[0:3], 0 offset:128
	s_nop 0
	buffer_load_dword v1, off, s[0:3], 0 offset:132
	buffer_load_dword v2, off, s[0:3], 0 offset:136
	;; [unrolled: 1-line block ×7, first 2 shown]
	s_waitcnt vmcnt(39)
	global_store_dword v[6:7], v92, off
	s_waitcnt vmcnt(39)
	global_store_dword v[8:9], v93, off
	buffer_load_dword v6, off, s[0:3], 0 offset:160
	buffer_load_dword v7, off, s[0:3], 0 offset:164
	s_nop 0
	buffer_load_dword v8, off, s[0:3], 0 offset:168
	buffer_load_dword v9, off, s[0:3], 0 offset:172
	;; [unrolled: 1-line block ×3, first 2 shown]
	s_waitcnt vmcnt(44)
	global_store_dword v[10:11], v94, off
	s_waitcnt vmcnt(44)
	global_store_dword v[12:13], v95, off
	;; [unrolled: 2-line block ×41, first 2 shown]
.LBB44_872:
	s_endpgm
	.section	.rodata,"a",@progbits
	.p2align	6, 0x0
	.amdhsa_kernel _ZN9rocsolver6v33100L18trti2_kernel_smallILi45EfPfEEv13rocblas_fill_17rocblas_diagonal_T1_iil
		.amdhsa_group_segment_fixed_size 372
		.amdhsa_private_segment_fixed_size 192
		.amdhsa_kernarg_size 32
		.amdhsa_user_sgpr_count 8
		.amdhsa_user_sgpr_private_segment_buffer 1
		.amdhsa_user_sgpr_dispatch_ptr 0
		.amdhsa_user_sgpr_queue_ptr 0
		.amdhsa_user_sgpr_kernarg_segment_ptr 1
		.amdhsa_user_sgpr_dispatch_id 0
		.amdhsa_user_sgpr_flat_scratch_init 1
		.amdhsa_user_sgpr_kernarg_preload_length 0
		.amdhsa_user_sgpr_kernarg_preload_offset 0
		.amdhsa_user_sgpr_private_segment_size 0
		.amdhsa_uses_dynamic_stack 0
		.amdhsa_system_sgpr_private_segment_wavefront_offset 1
		.amdhsa_system_sgpr_workgroup_id_x 1
		.amdhsa_system_sgpr_workgroup_id_y 0
		.amdhsa_system_sgpr_workgroup_id_z 0
		.amdhsa_system_sgpr_workgroup_info 0
		.amdhsa_system_vgpr_workitem_id 0
		.amdhsa_next_free_vgpr 125
		.amdhsa_next_free_sgpr 20
		.amdhsa_accum_offset 128
		.amdhsa_reserve_vcc 1
		.amdhsa_reserve_flat_scratch 0
		.amdhsa_float_round_mode_32 0
		.amdhsa_float_round_mode_16_64 0
		.amdhsa_float_denorm_mode_32 3
		.amdhsa_float_denorm_mode_16_64 3
		.amdhsa_dx10_clamp 1
		.amdhsa_ieee_mode 1
		.amdhsa_fp16_overflow 0
		.amdhsa_tg_split 0
		.amdhsa_exception_fp_ieee_invalid_op 0
		.amdhsa_exception_fp_denorm_src 0
		.amdhsa_exception_fp_ieee_div_zero 0
		.amdhsa_exception_fp_ieee_overflow 0
		.amdhsa_exception_fp_ieee_underflow 0
		.amdhsa_exception_fp_ieee_inexact 0
		.amdhsa_exception_int_div_zero 0
	.end_amdhsa_kernel
	.section	.text._ZN9rocsolver6v33100L18trti2_kernel_smallILi45EfPfEEv13rocblas_fill_17rocblas_diagonal_T1_iil,"axG",@progbits,_ZN9rocsolver6v33100L18trti2_kernel_smallILi45EfPfEEv13rocblas_fill_17rocblas_diagonal_T1_iil,comdat
.Lfunc_end44:
	.size	_ZN9rocsolver6v33100L18trti2_kernel_smallILi45EfPfEEv13rocblas_fill_17rocblas_diagonal_T1_iil, .Lfunc_end44-_ZN9rocsolver6v33100L18trti2_kernel_smallILi45EfPfEEv13rocblas_fill_17rocblas_diagonal_T1_iil
                                        ; -- End function
	.section	.AMDGPU.csdata,"",@progbits
; Kernel info:
; codeLenInByte = 22144
; NumSgprs: 24
; NumVgprs: 125
; NumAgprs: 0
; TotalNumVgprs: 125
; ScratchSize: 192
; MemoryBound: 0
; FloatMode: 240
; IeeeMode: 1
; LDSByteSize: 372 bytes/workgroup (compile time only)
; SGPRBlocks: 2
; VGPRBlocks: 15
; NumSGPRsForWavesPerEU: 24
; NumVGPRsForWavesPerEU: 125
; AccumOffset: 128
; Occupancy: 4
; WaveLimiterHint : 0
; COMPUTE_PGM_RSRC2:SCRATCH_EN: 1
; COMPUTE_PGM_RSRC2:USER_SGPR: 8
; COMPUTE_PGM_RSRC2:TRAP_HANDLER: 0
; COMPUTE_PGM_RSRC2:TGID_X_EN: 1
; COMPUTE_PGM_RSRC2:TGID_Y_EN: 0
; COMPUTE_PGM_RSRC2:TGID_Z_EN: 0
; COMPUTE_PGM_RSRC2:TIDIG_COMP_CNT: 0
; COMPUTE_PGM_RSRC3_GFX90A:ACCUM_OFFSET: 31
; COMPUTE_PGM_RSRC3_GFX90A:TG_SPLIT: 0
	.section	.text._ZN9rocsolver6v33100L18trti2_kernel_smallILi46EfPfEEv13rocblas_fill_17rocblas_diagonal_T1_iil,"axG",@progbits,_ZN9rocsolver6v33100L18trti2_kernel_smallILi46EfPfEEv13rocblas_fill_17rocblas_diagonal_T1_iil,comdat
	.globl	_ZN9rocsolver6v33100L18trti2_kernel_smallILi46EfPfEEv13rocblas_fill_17rocblas_diagonal_T1_iil ; -- Begin function _ZN9rocsolver6v33100L18trti2_kernel_smallILi46EfPfEEv13rocblas_fill_17rocblas_diagonal_T1_iil
	.p2align	8
	.type	_ZN9rocsolver6v33100L18trti2_kernel_smallILi46EfPfEEv13rocblas_fill_17rocblas_diagonal_T1_iil,@function
_ZN9rocsolver6v33100L18trti2_kernel_smallILi46EfPfEEv13rocblas_fill_17rocblas_diagonal_T1_iil: ; @_ZN9rocsolver6v33100L18trti2_kernel_smallILi46EfPfEEv13rocblas_fill_17rocblas_diagonal_T1_iil
; %bb.0:
	s_add_u32 s0, s0, s9
	s_addc_u32 s1, s1, 0
	v_cmp_gt_u32_e32 vcc, 46, v0
	s_and_saveexec_b64 s[6:7], vcc
	s_cbranch_execz .LBB45_892
; %bb.1:
	s_load_dwordx8 s[12:19], s[4:5], 0x0
	s_ashr_i32 s6, s8, 31
	s_waitcnt lgkmcnt(0)
	s_mul_i32 s7, s8, s19
	s_mul_hi_u32 s9, s8, s18
	s_add_i32 s7, s9, s7
	s_mul_i32 s6, s6, s18
	s_add_i32 s7, s7, s6
	s_mul_i32 s6, s8, s18
	s_ashr_i32 s5, s16, 31
	s_lshl_b64 s[6:7], s[6:7], 2
	s_mov_b32 s4, s16
	s_add_u32 s6, s14, s6
	s_addc_u32 s7, s15, s7
	s_lshl_b64 s[4:5], s[4:5], 2
	s_add_u32 s4, s6, s4
	s_addc_u32 s5, s7, s5
	s_add_i32 s6, s17, s17
	v_add_u32_e32 v2, s6, v0
	v_ashrrev_i32_e32 v3, 31, v2
	v_lshlrev_b64 v[4:5], 2, v[2:3]
	v_add_u32_e32 v6, s17, v2
	v_mov_b32_e32 v1, s5
	v_add_co_u32_e32 v4, vcc, s4, v4
	v_ashrrev_i32_e32 v7, 31, v6
	v_addc_co_u32_e32 v5, vcc, v1, v5, vcc
	v_lshlrev_b64 v[2:3], 2, v[6:7]
	v_add_u32_e32 v6, s17, v6
	v_add_co_u32_e32 v2, vcc, s4, v2
	v_ashrrev_i32_e32 v7, 31, v6
	v_addc_co_u32_e32 v3, vcc, v1, v3, vcc
	v_lshlrev_b64 v[8:9], 2, v[6:7]
	v_add_u32_e32 v10, s17, v6
	;; [unrolled: 5-line block ×33, first 2 shown]
	v_add_co_u32_e32 v68, vcc, s4, v68
	v_ashrrev_i32_e32 v73, 31, v72
	v_addc_co_u32_e32 v69, vcc, v1, v69, vcc
	v_lshlrev_b64 v[70:71], 2, v[72:73]
	v_add_co_u32_e32 v70, vcc, s4, v70
	v_add_u32_e32 v74, s17, v72
	v_addc_co_u32_e32 v71, vcc, v1, v71, vcc
	v_ashrrev_i32_e32 v75, 31, v74
	v_lshlrev_b32_e32 v1, 2, v0
	v_lshlrev_b64 v[72:73], 2, v[74:75]
	v_mov_b32_e32 v75, s5
	v_add_co_u32_e32 v76, vcc, s4, v1
	s_ashr_i32 s7, s17, 31
	s_mov_b32 s6, s17
	v_addc_co_u32_e32 v77, vcc, 0, v75, vcc
	s_lshl_b64 s[6:7], s[6:7], 2
	v_mov_b32_e32 v75, s7
	v_add_co_u32_e32 v80, vcc, s6, v76
	v_addc_co_u32_e32 v81, vcc, v77, v75, vcc
	global_load_dword v94, v1, s[4:5]
	global_load_dword v95, v[80:81], off
	global_load_dword v96, v[8:9], off
	;; [unrolled: 1-line block ×16, first 2 shown]
	v_mov_b32_e32 v78, s5
	v_add_co_u32_e32 v72, vcc, s4, v72
	v_addc_co_u32_e32 v73, vcc, v78, v73, vcc
	v_add_u32_e32 v78, s17, v74
	v_ashrrev_i32_e32 v79, 31, v78
	v_lshlrev_b64 v[74:75], 2, v[78:79]
	v_mov_b32_e32 v82, s5
	v_add_co_u32_e32 v74, vcc, s4, v74
	v_addc_co_u32_e32 v75, vcc, v82, v75, vcc
	v_add_u32_e32 v82, s17, v78
	v_ashrrev_i32_e32 v83, 31, v82
	v_lshlrev_b64 v[78:79], 2, v[82:83]
	;; [unrolled: 6-line block ×7, first 2 shown]
	v_add_u32_e32 v92, s17, v92
	v_mov_b32_e32 v111, s5
	v_add_co_u32_e32 v90, vcc, s4, v90
	v_ashrrev_i32_e32 v93, 31, v92
	v_addc_co_u32_e32 v91, vcc, v111, v91, vcc
	v_lshlrev_b64 v[92:93], 2, v[92:93]
	v_add_co_u32_e32 v92, vcc, s4, v92
	v_addc_co_u32_e32 v93, vcc, v111, v93, vcc
	global_load_dword v111, v[92:93], off
	s_waitcnt vmcnt(17)
	buffer_store_dword v94, off, s[0:3], 0
	s_waitcnt vmcnt(17)
	buffer_store_dword v95, off, s[0:3], 0 offset:4
	s_waitcnt vmcnt(12)
	buffer_store_dword v101, off, s[0:3], 0 offset:12
	s_waitcnt vmcnt(12)
	buffer_store_dword v102, off, s[0:3], 0 offset:8
	buffer_store_dword v96, off, s[0:3], 0 offset:16
	buffer_store_dword v97, off, s[0:3], 0 offset:20
	;; [unrolled: 1-line block ×5, first 2 shown]
	s_waitcnt vmcnt(17)
	buffer_store_dword v103, off, s[0:3], 0 offset:36
	s_waitcnt vmcnt(12)
	buffer_store_dword v109, off, s[0:3], 0 offset:44
	;; [unrolled: 2-line block ×3, first 2 shown]
	global_load_dword v94, v[32:33], off
	global_load_dword v95, v[34:35], off
	;; [unrolled: 1-line block ×24, first 2 shown]
	s_nop 0
	buffer_store_dword v104, off, s[0:3], 0 offset:48
	buffer_store_dword v105, off, s[0:3], 0 offset:52
	buffer_store_dword v106, off, s[0:3], 0 offset:56
	buffer_store_dword v107, off, s[0:3], 0 offset:60
	global_load_dword v104, v[84:85], off
	s_nop 0
	global_load_dword v105, v[90:91], off
	global_load_dword v106, v[88:89], off
	;; [unrolled: 1-line block ×3, first 2 shown]
	s_cmpk_lg_i32 s13, 0x84
	buffer_store_dword v108, off, s[0:3], 0 offset:64
	s_waitcnt vmcnt(32)
	buffer_store_dword v94, off, s[0:3], 0 offset:68
	s_waitcnt vmcnt(32)
	;; [unrolled: 2-line block ×5, first 2 shown]
	buffer_store_dword v101, off, s[0:3], 0 offset:80
	buffer_store_dword v98, off, s[0:3], 0 offset:92
	buffer_store_dword v99, off, s[0:3], 0 offset:88
	s_waitcnt vmcnt(31)
	buffer_store_dword v102, off, s[0:3], 0 offset:100
	buffer_store_dword v97, off, s[0:3], 0 offset:96
	s_waitcnt vmcnt(27)
	buffer_store_dword v114, off, s[0:3], 0 offset:108
	s_waitcnt vmcnt(27)
	buffer_store_dword v115, off, s[0:3], 0 offset:104
	buffer_store_dword v112, off, s[0:3], 0 offset:116
	buffer_store_dword v113, off, s[0:3], 0 offset:112
	buffer_store_dword v109, off, s[0:3], 0 offset:124
	buffer_store_dword v110, off, s[0:3], 0 offset:120
	s_waitcnt vmcnt(31)
	buffer_store_dword v116, off, s[0:3], 0 offset:132
	buffer_store_dword v103, off, s[0:3], 0 offset:128
	s_waitcnt vmcnt(27)
	buffer_store_dword v122, off, s[0:3], 0 offset:140
	s_waitcnt vmcnt(27)
	buffer_store_dword v123, off, s[0:3], 0 offset:136
	buffer_store_dword v120, off, s[0:3], 0 offset:148
	;; [unrolled: 11-line block ×3, first 2 shown]
	buffer_store_dword v105, off, s[0:3], 0 offset:176
	s_cselect_b64 s[8:9], -1, 0
	s_cmpk_eq_i32 s13, 0x84
	v_mov_b32_e32 v116, 0
	v_mov_b32_e32 v94, -1.0
	s_cbranch_scc1 .LBB45_3
; %bb.2:
	v_lshl_add_u32 v94, v0, 2, v116
	buffer_load_dword v95, v94, s[0:3], 0 offen
	s_waitcnt vmcnt(0)
	v_div_scale_f32 v96, s[4:5], v95, v95, 1.0
	v_rcp_f32_e32 v97, v96
	v_div_scale_f32 v98, vcc, 1.0, v95, 1.0
	v_fma_f32 v99, -v96, v97, 1.0
	v_fmac_f32_e32 v97, v99, v97
	v_mul_f32_e32 v99, v98, v97
	v_fma_f32 v100, -v96, v99, v98
	v_fmac_f32_e32 v99, v100, v97
	v_fma_f32 v96, -v96, v99, v98
	v_div_fmas_f32 v96, v96, v97, v99
	v_div_fixup_f32 v95, v96, v95, 1.0
	buffer_store_dword v95, v94, s[0:3], 0 offen
	v_xor_b32_e32 v94, 0x80000000, v95
.LBB45_3:
	ds_write_b32 v1, v94
	s_cmpk_eq_i32 s12, 0x79
	v_add_u32_e32 v94, 0xc0, v1
	v_add_u32_e32 v95, 0, v1
	s_mov_b64 s[4:5], -1
	s_cbranch_scc1 .LBB45_447
; %bb.4:
	buffer_load_dword v96, off, s[0:3], 0 offset:176
	v_cmp_eq_u32_e64 s[4:5], 45, v0
	s_waitcnt vmcnt(0)
	ds_write_b32 v94, v96
	s_waitcnt lgkmcnt(0)
	; wave barrier
	s_waitcnt lgkmcnt(0)
	s_and_saveexec_b64 s[6:7], s[4:5]
	s_cbranch_execz .LBB45_10
; %bb.5:
	s_and_b64 vcc, exec, s[8:9]
	s_cbranch_vccz .LBB45_7
; %bb.6:
	buffer_load_dword v96, v95, s[0:3], 0 offen
	ds_read_b32 v97, v94
	s_waitcnt vmcnt(0) lgkmcnt(0)
	v_mul_f32_e32 v96, v96, v97
	s_cbranch_execz .LBB45_8
	s_branch .LBB45_9
.LBB45_7:
                                        ; implicit-def: $vgpr96
.LBB45_8:
	ds_read_b32 v96, v94
.LBB45_9:
	v_mov_b32_e32 v97, 0
	ds_read_b32 v97, v97 offset:176
	s_waitcnt lgkmcnt(0)
	v_mul_f32_e32 v96, v96, v97
	buffer_store_dword v96, off, s[0:3], 0 offset:176
.LBB45_10:
	s_or_b64 exec, exec, s[6:7]
	buffer_load_dword v117, off, s[0:3], 0 offset:172
	v_or_b32_e32 v96, 8, v116
	v_add_u32_e32 v97, 16, v116
	v_add_u32_e32 v98, 24, v116
	;; [unrolled: 1-line block ×20, first 2 shown]
	v_cmp_lt_u32_e64 s[6:7], 43, v0
	s_waitcnt vmcnt(0)
	ds_write_b32 v94, v117
	s_waitcnt lgkmcnt(0)
	; wave barrier
	s_waitcnt lgkmcnt(0)
	s_and_saveexec_b64 s[10:11], s[6:7]
	s_cbranch_execz .LBB45_16
; %bb.11:
	s_andn2_b64 vcc, exec, s[8:9]
	s_cbranch_vccnz .LBB45_13
; %bb.12:
	buffer_load_dword v117, v95, s[0:3], 0 offen
	ds_read_b32 v118, v94
	s_waitcnt vmcnt(0) lgkmcnt(0)
	v_mul_f32_e32 v117, v117, v118
	s_cbranch_execz .LBB45_14
	s_branch .LBB45_15
.LBB45_13:
                                        ; implicit-def: $vgpr117
.LBB45_14:
	ds_read_b32 v117, v94
.LBB45_15:
	buffer_load_dword v120, off, s[0:3], 0 offset:176
	v_mov_b32_e32 v118, 0
	ds_read2_b32 v[118:119], v118 offset0:43 offset1:92
	s_waitcnt vmcnt(0) lgkmcnt(0)
	v_fma_f32 v119, v120, v119, v117
	v_cndmask_b32_e64 v117, v117, v119, s[4:5]
	v_mul_f32_e32 v117, v117, v118
	buffer_store_dword v117, off, s[0:3], 0 offset:172
.LBB45_16:
	s_or_b64 exec, exec, s[10:11]
	buffer_load_dword v117, off, s[0:3], 0 offset:168
	v_cmp_lt_u32_e64 s[4:5], 42, v0
	s_waitcnt vmcnt(0)
	ds_write_b32 v94, v117
	s_waitcnt lgkmcnt(0)
	; wave barrier
	s_waitcnt lgkmcnt(0)
	s_and_saveexec_b64 s[10:11], s[4:5]
	s_cbranch_execz .LBB45_26
; %bb.17:
	s_andn2_b64 vcc, exec, s[8:9]
	s_cbranch_vccnz .LBB45_19
; %bb.18:
	buffer_load_dword v117, v95, s[0:3], 0 offen
	ds_read_b32 v118, v94
	s_waitcnt vmcnt(0) lgkmcnt(0)
	v_mul_f32_e32 v117, v117, v118
	s_cbranch_execz .LBB45_20
	s_branch .LBB45_21
.LBB45_19:
                                        ; implicit-def: $vgpr117
.LBB45_20:
	ds_read_b32 v117, v94
.LBB45_21:
	s_and_saveexec_b64 s[12:13], s[6:7]
	s_cbranch_execz .LBB45_25
; %bb.22:
	v_mov_b32_e32 v118, 0
	v_add_u32_e32 v118, 0xac, v118
	v_subrev_u32_e32 v119, 43, v0
	s_movk_i32 s14, 0x16c
	s_mov_b64 s[6:7], 0
.LBB45_23:                              ; =>This Inner Loop Header: Depth=1
	buffer_load_dword v120, v118, s[0:3], 0 offen
	v_mov_b32_e32 v121, s14
	ds_read_b32 v121, v121
	v_add_u32_e32 v119, -1, v119
	s_add_i32 s14, s14, 4
	v_cmp_eq_u32_e32 vcc, 0, v119
	v_add_u32_e32 v118, 4, v118
	s_or_b64 s[6:7], vcc, s[6:7]
	s_waitcnt vmcnt(0) lgkmcnt(0)
	v_fmac_f32_e32 v117, v120, v121
	s_andn2_b64 exec, exec, s[6:7]
	s_cbranch_execnz .LBB45_23
; %bb.24:
	s_or_b64 exec, exec, s[6:7]
.LBB45_25:
	s_or_b64 exec, exec, s[12:13]
	v_mov_b32_e32 v118, 0
	ds_read_b32 v118, v118 offset:168
	s_waitcnt lgkmcnt(0)
	v_mul_f32_e32 v117, v117, v118
	buffer_store_dword v117, off, s[0:3], 0 offset:168
.LBB45_26:
	s_or_b64 exec, exec, s[10:11]
	buffer_load_dword v117, off, s[0:3], 0 offset:164
	v_cmp_lt_u32_e64 s[6:7], 41, v0
	s_waitcnt vmcnt(0)
	ds_write_b32 v94, v117
	s_waitcnt lgkmcnt(0)
	; wave barrier
	s_waitcnt lgkmcnt(0)
	s_and_saveexec_b64 s[10:11], s[6:7]
	s_cbranch_execz .LBB45_36
; %bb.27:
	s_andn2_b64 vcc, exec, s[8:9]
	s_cbranch_vccnz .LBB45_29
; %bb.28:
	buffer_load_dword v117, v95, s[0:3], 0 offen
	ds_read_b32 v118, v94
	s_waitcnt vmcnt(0) lgkmcnt(0)
	v_mul_f32_e32 v117, v117, v118
	s_cbranch_execz .LBB45_30
	s_branch .LBB45_31
.LBB45_29:
                                        ; implicit-def: $vgpr117
.LBB45_30:
	ds_read_b32 v117, v94
.LBB45_31:
	s_and_saveexec_b64 s[12:13], s[4:5]
	s_cbranch_execz .LBB45_35
; %bb.32:
	v_subrev_u32_e32 v118, 42, v0
	s_movk_i32 s14, 0x168
	s_mov_b64 s[4:5], 0
.LBB45_33:                              ; =>This Inner Loop Header: Depth=1
	buffer_load_dword v119, v116, s[0:3], 0 offen
	v_mov_b32_e32 v120, s14
	ds_read_b32 v120, v120
	v_add_u32_e32 v118, -1, v118
	s_add_i32 s14, s14, 4
	v_cmp_eq_u32_e32 vcc, 0, v118
	v_add_u32_e32 v116, 4, v116
	s_or_b64 s[4:5], vcc, s[4:5]
	s_waitcnt vmcnt(0) lgkmcnt(0)
	v_fmac_f32_e32 v117, v119, v120
	s_andn2_b64 exec, exec, s[4:5]
	s_cbranch_execnz .LBB45_33
; %bb.34:
	s_or_b64 exec, exec, s[4:5]
.LBB45_35:
	s_or_b64 exec, exec, s[12:13]
	v_mov_b32_e32 v116, 0
	ds_read_b32 v116, v116 offset:164
	s_waitcnt lgkmcnt(0)
	v_mul_f32_e32 v116, v117, v116
	buffer_store_dword v116, off, s[0:3], 0 offset:164
.LBB45_36:
	s_or_b64 exec, exec, s[10:11]
	buffer_load_dword v116, off, s[0:3], 0 offset:160
	v_cmp_lt_u32_e64 s[4:5], 40, v0
	s_waitcnt vmcnt(0)
	ds_write_b32 v94, v116
	s_waitcnt lgkmcnt(0)
	; wave barrier
	s_waitcnt lgkmcnt(0)
	s_and_saveexec_b64 s[10:11], s[4:5]
	s_cbranch_execz .LBB45_46
; %bb.37:
	s_andn2_b64 vcc, exec, s[8:9]
	s_cbranch_vccnz .LBB45_39
; %bb.38:
	buffer_load_dword v116, v95, s[0:3], 0 offen
	ds_read_b32 v117, v94
	s_waitcnt vmcnt(0) lgkmcnt(0)
	v_mul_f32_e32 v116, v116, v117
	s_cbranch_execz .LBB45_40
	s_branch .LBB45_41
.LBB45_39:
                                        ; implicit-def: $vgpr116
.LBB45_40:
	ds_read_b32 v116, v94
.LBB45_41:
	s_and_saveexec_b64 s[12:13], s[6:7]
	s_cbranch_execz .LBB45_45
; %bb.42:
	v_mov_b32_e32 v117, 0
	v_add_u32_e32 v117, 0xa4, v117
	v_subrev_u32_e32 v118, 41, v0
	s_movk_i32 s14, 0x164
	s_mov_b64 s[6:7], 0
.LBB45_43:                              ; =>This Inner Loop Header: Depth=1
	buffer_load_dword v119, v117, s[0:3], 0 offen
	v_mov_b32_e32 v120, s14
	ds_read_b32 v120, v120
	v_add_u32_e32 v118, -1, v118
	s_add_i32 s14, s14, 4
	v_cmp_eq_u32_e32 vcc, 0, v118
	v_add_u32_e32 v117, 4, v117
	s_or_b64 s[6:7], vcc, s[6:7]
	s_waitcnt vmcnt(0) lgkmcnt(0)
	v_fmac_f32_e32 v116, v119, v120
	s_andn2_b64 exec, exec, s[6:7]
	s_cbranch_execnz .LBB45_43
; %bb.44:
	s_or_b64 exec, exec, s[6:7]
.LBB45_45:
	s_or_b64 exec, exec, s[12:13]
	v_mov_b32_e32 v117, 0
	ds_read_b32 v117, v117 offset:160
	s_waitcnt lgkmcnt(0)
	v_mul_f32_e32 v116, v116, v117
	buffer_store_dword v116, off, s[0:3], 0 offset:160
.LBB45_46:
	s_or_b64 exec, exec, s[10:11]
	buffer_load_dword v116, off, s[0:3], 0 offset:156
	v_cmp_lt_u32_e64 s[6:7], 39, v0
	s_waitcnt vmcnt(0)
	ds_write_b32 v94, v116
	s_waitcnt lgkmcnt(0)
	; wave barrier
	s_waitcnt lgkmcnt(0)
	s_and_saveexec_b64 s[10:11], s[6:7]
	s_cbranch_execz .LBB45_56
; %bb.47:
	s_andn2_b64 vcc, exec, s[8:9]
	s_cbranch_vccnz .LBB45_49
; %bb.48:
	buffer_load_dword v116, v95, s[0:3], 0 offen
	ds_read_b32 v117, v94
	s_waitcnt vmcnt(0) lgkmcnt(0)
	v_mul_f32_e32 v116, v116, v117
	s_cbranch_execz .LBB45_50
	s_branch .LBB45_51
.LBB45_49:
                                        ; implicit-def: $vgpr116
.LBB45_50:
	ds_read_b32 v116, v94
.LBB45_51:
	s_and_saveexec_b64 s[12:13], s[4:5]
	s_cbranch_execz .LBB45_55
; %bb.52:
	v_subrev_u32_e32 v117, 40, v0
	s_movk_i32 s14, 0x160
	s_mov_b64 s[4:5], 0
.LBB45_53:                              ; =>This Inner Loop Header: Depth=1
	buffer_load_dword v118, v115, s[0:3], 0 offen
	v_mov_b32_e32 v119, s14
	ds_read_b32 v119, v119
	v_add_u32_e32 v117, -1, v117
	s_add_i32 s14, s14, 4
	v_cmp_eq_u32_e32 vcc, 0, v117
	v_add_u32_e32 v115, 4, v115
	s_or_b64 s[4:5], vcc, s[4:5]
	s_waitcnt vmcnt(0) lgkmcnt(0)
	v_fmac_f32_e32 v116, v118, v119
	s_andn2_b64 exec, exec, s[4:5]
	s_cbranch_execnz .LBB45_53
; %bb.54:
	s_or_b64 exec, exec, s[4:5]
.LBB45_55:
	s_or_b64 exec, exec, s[12:13]
	v_mov_b32_e32 v115, 0
	ds_read_b32 v115, v115 offset:156
	s_waitcnt lgkmcnt(0)
	v_mul_f32_e32 v115, v116, v115
	buffer_store_dword v115, off, s[0:3], 0 offset:156
.LBB45_56:
	s_or_b64 exec, exec, s[10:11]
	buffer_load_dword v115, off, s[0:3], 0 offset:152
	v_cmp_lt_u32_e64 s[4:5], 38, v0
	s_waitcnt vmcnt(0)
	ds_write_b32 v94, v115
	s_waitcnt lgkmcnt(0)
	; wave barrier
	s_waitcnt lgkmcnt(0)
	s_and_saveexec_b64 s[10:11], s[4:5]
	s_cbranch_execz .LBB45_66
; %bb.57:
	s_andn2_b64 vcc, exec, s[8:9]
	s_cbranch_vccnz .LBB45_59
; %bb.58:
	buffer_load_dword v115, v95, s[0:3], 0 offen
	ds_read_b32 v116, v94
	s_waitcnt vmcnt(0) lgkmcnt(0)
	v_mul_f32_e32 v115, v115, v116
	s_cbranch_execz .LBB45_60
	s_branch .LBB45_61
.LBB45_59:
                                        ; implicit-def: $vgpr115
.LBB45_60:
	ds_read_b32 v115, v94
.LBB45_61:
	s_and_saveexec_b64 s[12:13], s[6:7]
	s_cbranch_execz .LBB45_65
; %bb.62:
	v_mov_b32_e32 v116, 0
	v_add_u32_e32 v116, 0x9c, v116
	v_subrev_u32_e32 v117, 39, v0
	s_movk_i32 s14, 0x15c
	s_mov_b64 s[6:7], 0
.LBB45_63:                              ; =>This Inner Loop Header: Depth=1
	buffer_load_dword v118, v116, s[0:3], 0 offen
	v_mov_b32_e32 v119, s14
	ds_read_b32 v119, v119
	v_add_u32_e32 v117, -1, v117
	s_add_i32 s14, s14, 4
	v_cmp_eq_u32_e32 vcc, 0, v117
	v_add_u32_e32 v116, 4, v116
	s_or_b64 s[6:7], vcc, s[6:7]
	s_waitcnt vmcnt(0) lgkmcnt(0)
	v_fmac_f32_e32 v115, v118, v119
	s_andn2_b64 exec, exec, s[6:7]
	s_cbranch_execnz .LBB45_63
; %bb.64:
	s_or_b64 exec, exec, s[6:7]
.LBB45_65:
	s_or_b64 exec, exec, s[12:13]
	v_mov_b32_e32 v116, 0
	ds_read_b32 v116, v116 offset:152
	s_waitcnt lgkmcnt(0)
	v_mul_f32_e32 v115, v115, v116
	buffer_store_dword v115, off, s[0:3], 0 offset:152
.LBB45_66:
	s_or_b64 exec, exec, s[10:11]
	buffer_load_dword v115, off, s[0:3], 0 offset:148
	v_cmp_lt_u32_e64 s[6:7], 37, v0
	s_waitcnt vmcnt(0)
	ds_write_b32 v94, v115
	s_waitcnt lgkmcnt(0)
	; wave barrier
	s_waitcnt lgkmcnt(0)
	s_and_saveexec_b64 s[10:11], s[6:7]
	s_cbranch_execz .LBB45_76
; %bb.67:
	s_andn2_b64 vcc, exec, s[8:9]
	s_cbranch_vccnz .LBB45_69
; %bb.68:
	buffer_load_dword v115, v95, s[0:3], 0 offen
	ds_read_b32 v116, v94
	s_waitcnt vmcnt(0) lgkmcnt(0)
	v_mul_f32_e32 v115, v115, v116
	s_cbranch_execz .LBB45_70
	s_branch .LBB45_71
.LBB45_69:
                                        ; implicit-def: $vgpr115
.LBB45_70:
	ds_read_b32 v115, v94
.LBB45_71:
	s_and_saveexec_b64 s[12:13], s[4:5]
	s_cbranch_execz .LBB45_75
; %bb.72:
	v_subrev_u32_e32 v116, 38, v0
	s_movk_i32 s14, 0x158
	s_mov_b64 s[4:5], 0
.LBB45_73:                              ; =>This Inner Loop Header: Depth=1
	buffer_load_dword v117, v114, s[0:3], 0 offen
	v_mov_b32_e32 v118, s14
	ds_read_b32 v118, v118
	v_add_u32_e32 v116, -1, v116
	s_add_i32 s14, s14, 4
	v_cmp_eq_u32_e32 vcc, 0, v116
	v_add_u32_e32 v114, 4, v114
	s_or_b64 s[4:5], vcc, s[4:5]
	s_waitcnt vmcnt(0) lgkmcnt(0)
	v_fmac_f32_e32 v115, v117, v118
	s_andn2_b64 exec, exec, s[4:5]
	s_cbranch_execnz .LBB45_73
; %bb.74:
	s_or_b64 exec, exec, s[4:5]
.LBB45_75:
	s_or_b64 exec, exec, s[12:13]
	v_mov_b32_e32 v114, 0
	ds_read_b32 v114, v114 offset:148
	s_waitcnt lgkmcnt(0)
	v_mul_f32_e32 v114, v115, v114
	buffer_store_dword v114, off, s[0:3], 0 offset:148
.LBB45_76:
	s_or_b64 exec, exec, s[10:11]
	buffer_load_dword v114, off, s[0:3], 0 offset:144
	v_cmp_lt_u32_e64 s[4:5], 36, v0
	s_waitcnt vmcnt(0)
	ds_write_b32 v94, v114
	s_waitcnt lgkmcnt(0)
	; wave barrier
	s_waitcnt lgkmcnt(0)
	s_and_saveexec_b64 s[10:11], s[4:5]
	s_cbranch_execz .LBB45_86
; %bb.77:
	s_andn2_b64 vcc, exec, s[8:9]
	s_cbranch_vccnz .LBB45_79
; %bb.78:
	buffer_load_dword v114, v95, s[0:3], 0 offen
	ds_read_b32 v115, v94
	s_waitcnt vmcnt(0) lgkmcnt(0)
	v_mul_f32_e32 v114, v114, v115
	s_cbranch_execz .LBB45_80
	s_branch .LBB45_81
.LBB45_79:
                                        ; implicit-def: $vgpr114
.LBB45_80:
	ds_read_b32 v114, v94
.LBB45_81:
	s_and_saveexec_b64 s[12:13], s[6:7]
	s_cbranch_execz .LBB45_85
; %bb.82:
	v_mov_b32_e32 v115, 0
	v_add_u32_e32 v115, 0x94, v115
	v_subrev_u32_e32 v116, 37, v0
	s_movk_i32 s14, 0x154
	s_mov_b64 s[6:7], 0
.LBB45_83:                              ; =>This Inner Loop Header: Depth=1
	buffer_load_dword v117, v115, s[0:3], 0 offen
	v_mov_b32_e32 v118, s14
	ds_read_b32 v118, v118
	v_add_u32_e32 v116, -1, v116
	s_add_i32 s14, s14, 4
	v_cmp_eq_u32_e32 vcc, 0, v116
	v_add_u32_e32 v115, 4, v115
	s_or_b64 s[6:7], vcc, s[6:7]
	s_waitcnt vmcnt(0) lgkmcnt(0)
	v_fmac_f32_e32 v114, v117, v118
	s_andn2_b64 exec, exec, s[6:7]
	s_cbranch_execnz .LBB45_83
; %bb.84:
	s_or_b64 exec, exec, s[6:7]
.LBB45_85:
	s_or_b64 exec, exec, s[12:13]
	v_mov_b32_e32 v115, 0
	ds_read_b32 v115, v115 offset:144
	s_waitcnt lgkmcnt(0)
	v_mul_f32_e32 v114, v114, v115
	buffer_store_dword v114, off, s[0:3], 0 offset:144
.LBB45_86:
	s_or_b64 exec, exec, s[10:11]
	buffer_load_dword v114, off, s[0:3], 0 offset:140
	v_cmp_lt_u32_e64 s[6:7], 35, v0
	s_waitcnt vmcnt(0)
	ds_write_b32 v94, v114
	s_waitcnt lgkmcnt(0)
	; wave barrier
	s_waitcnt lgkmcnt(0)
	s_and_saveexec_b64 s[10:11], s[6:7]
	s_cbranch_execz .LBB45_96
; %bb.87:
	s_andn2_b64 vcc, exec, s[8:9]
	s_cbranch_vccnz .LBB45_89
; %bb.88:
	buffer_load_dword v114, v95, s[0:3], 0 offen
	ds_read_b32 v115, v94
	s_waitcnt vmcnt(0) lgkmcnt(0)
	v_mul_f32_e32 v114, v114, v115
	s_cbranch_execz .LBB45_90
	s_branch .LBB45_91
.LBB45_89:
                                        ; implicit-def: $vgpr114
.LBB45_90:
	ds_read_b32 v114, v94
.LBB45_91:
	s_and_saveexec_b64 s[12:13], s[4:5]
	s_cbranch_execz .LBB45_95
; %bb.92:
	v_subrev_u32_e32 v115, 36, v0
	s_movk_i32 s14, 0x150
	s_mov_b64 s[4:5], 0
.LBB45_93:                              ; =>This Inner Loop Header: Depth=1
	buffer_load_dword v116, v113, s[0:3], 0 offen
	v_mov_b32_e32 v117, s14
	ds_read_b32 v117, v117
	v_add_u32_e32 v115, -1, v115
	s_add_i32 s14, s14, 4
	v_cmp_eq_u32_e32 vcc, 0, v115
	v_add_u32_e32 v113, 4, v113
	s_or_b64 s[4:5], vcc, s[4:5]
	s_waitcnt vmcnt(0) lgkmcnt(0)
	v_fmac_f32_e32 v114, v116, v117
	s_andn2_b64 exec, exec, s[4:5]
	s_cbranch_execnz .LBB45_93
; %bb.94:
	s_or_b64 exec, exec, s[4:5]
.LBB45_95:
	s_or_b64 exec, exec, s[12:13]
	v_mov_b32_e32 v113, 0
	ds_read_b32 v113, v113 offset:140
	s_waitcnt lgkmcnt(0)
	v_mul_f32_e32 v113, v114, v113
	buffer_store_dword v113, off, s[0:3], 0 offset:140
.LBB45_96:
	s_or_b64 exec, exec, s[10:11]
	buffer_load_dword v113, off, s[0:3], 0 offset:136
	v_cmp_lt_u32_e64 s[4:5], 34, v0
	s_waitcnt vmcnt(0)
	ds_write_b32 v94, v113
	s_waitcnt lgkmcnt(0)
	; wave barrier
	s_waitcnt lgkmcnt(0)
	s_and_saveexec_b64 s[10:11], s[4:5]
	s_cbranch_execz .LBB45_106
; %bb.97:
	s_andn2_b64 vcc, exec, s[8:9]
	s_cbranch_vccnz .LBB45_99
; %bb.98:
	buffer_load_dword v113, v95, s[0:3], 0 offen
	ds_read_b32 v114, v94
	s_waitcnt vmcnt(0) lgkmcnt(0)
	v_mul_f32_e32 v113, v113, v114
	s_cbranch_execz .LBB45_100
	s_branch .LBB45_101
.LBB45_99:
                                        ; implicit-def: $vgpr113
.LBB45_100:
	ds_read_b32 v113, v94
.LBB45_101:
	s_and_saveexec_b64 s[12:13], s[6:7]
	s_cbranch_execz .LBB45_105
; %bb.102:
	v_mov_b32_e32 v114, 0
	v_add_u32_e32 v114, 0x8c, v114
	v_subrev_u32_e32 v115, 35, v0
	s_movk_i32 s14, 0x14c
	s_mov_b64 s[6:7], 0
.LBB45_103:                             ; =>This Inner Loop Header: Depth=1
	buffer_load_dword v116, v114, s[0:3], 0 offen
	v_mov_b32_e32 v117, s14
	ds_read_b32 v117, v117
	v_add_u32_e32 v115, -1, v115
	s_add_i32 s14, s14, 4
	v_cmp_eq_u32_e32 vcc, 0, v115
	v_add_u32_e32 v114, 4, v114
	s_or_b64 s[6:7], vcc, s[6:7]
	s_waitcnt vmcnt(0) lgkmcnt(0)
	v_fmac_f32_e32 v113, v116, v117
	s_andn2_b64 exec, exec, s[6:7]
	s_cbranch_execnz .LBB45_103
; %bb.104:
	s_or_b64 exec, exec, s[6:7]
.LBB45_105:
	s_or_b64 exec, exec, s[12:13]
	v_mov_b32_e32 v114, 0
	ds_read_b32 v114, v114 offset:136
	s_waitcnt lgkmcnt(0)
	v_mul_f32_e32 v113, v113, v114
	buffer_store_dword v113, off, s[0:3], 0 offset:136
.LBB45_106:
	s_or_b64 exec, exec, s[10:11]
	buffer_load_dword v113, off, s[0:3], 0 offset:132
	v_cmp_lt_u32_e64 s[6:7], 33, v0
	s_waitcnt vmcnt(0)
	ds_write_b32 v94, v113
	s_waitcnt lgkmcnt(0)
	; wave barrier
	s_waitcnt lgkmcnt(0)
	s_and_saveexec_b64 s[10:11], s[6:7]
	s_cbranch_execz .LBB45_116
; %bb.107:
	s_andn2_b64 vcc, exec, s[8:9]
	s_cbranch_vccnz .LBB45_109
; %bb.108:
	buffer_load_dword v113, v95, s[0:3], 0 offen
	ds_read_b32 v114, v94
	s_waitcnt vmcnt(0) lgkmcnt(0)
	v_mul_f32_e32 v113, v113, v114
	s_cbranch_execz .LBB45_110
	s_branch .LBB45_111
.LBB45_109:
                                        ; implicit-def: $vgpr113
.LBB45_110:
	ds_read_b32 v113, v94
.LBB45_111:
	s_and_saveexec_b64 s[12:13], s[4:5]
	s_cbranch_execz .LBB45_115
; %bb.112:
	v_subrev_u32_e32 v114, 34, v0
	s_movk_i32 s14, 0x148
	s_mov_b64 s[4:5], 0
.LBB45_113:                             ; =>This Inner Loop Header: Depth=1
	buffer_load_dword v115, v112, s[0:3], 0 offen
	v_mov_b32_e32 v116, s14
	ds_read_b32 v116, v116
	v_add_u32_e32 v114, -1, v114
	s_add_i32 s14, s14, 4
	v_cmp_eq_u32_e32 vcc, 0, v114
	v_add_u32_e32 v112, 4, v112
	s_or_b64 s[4:5], vcc, s[4:5]
	s_waitcnt vmcnt(0) lgkmcnt(0)
	v_fmac_f32_e32 v113, v115, v116
	s_andn2_b64 exec, exec, s[4:5]
	s_cbranch_execnz .LBB45_113
; %bb.114:
	s_or_b64 exec, exec, s[4:5]
.LBB45_115:
	s_or_b64 exec, exec, s[12:13]
	v_mov_b32_e32 v112, 0
	ds_read_b32 v112, v112 offset:132
	s_waitcnt lgkmcnt(0)
	v_mul_f32_e32 v112, v113, v112
	buffer_store_dword v112, off, s[0:3], 0 offset:132
.LBB45_116:
	s_or_b64 exec, exec, s[10:11]
	buffer_load_dword v112, off, s[0:3], 0 offset:128
	v_cmp_lt_u32_e64 s[4:5], 32, v0
	s_waitcnt vmcnt(0)
	ds_write_b32 v94, v112
	s_waitcnt lgkmcnt(0)
	; wave barrier
	s_waitcnt lgkmcnt(0)
	s_and_saveexec_b64 s[10:11], s[4:5]
	s_cbranch_execz .LBB45_126
; %bb.117:
	s_andn2_b64 vcc, exec, s[8:9]
	s_cbranch_vccnz .LBB45_119
; %bb.118:
	buffer_load_dword v112, v95, s[0:3], 0 offen
	ds_read_b32 v113, v94
	s_waitcnt vmcnt(0) lgkmcnt(0)
	v_mul_f32_e32 v112, v112, v113
	s_cbranch_execz .LBB45_120
	s_branch .LBB45_121
.LBB45_119:
                                        ; implicit-def: $vgpr112
.LBB45_120:
	ds_read_b32 v112, v94
.LBB45_121:
	s_and_saveexec_b64 s[12:13], s[6:7]
	s_cbranch_execz .LBB45_125
; %bb.122:
	v_mov_b32_e32 v113, 0
	v_add_u32_e32 v113, 0x84, v113
	v_subrev_u32_e32 v114, 33, v0
	s_movk_i32 s14, 0x144
	s_mov_b64 s[6:7], 0
.LBB45_123:                             ; =>This Inner Loop Header: Depth=1
	buffer_load_dword v115, v113, s[0:3], 0 offen
	v_mov_b32_e32 v116, s14
	ds_read_b32 v116, v116
	v_add_u32_e32 v114, -1, v114
	s_add_i32 s14, s14, 4
	v_cmp_eq_u32_e32 vcc, 0, v114
	v_add_u32_e32 v113, 4, v113
	s_or_b64 s[6:7], vcc, s[6:7]
	s_waitcnt vmcnt(0) lgkmcnt(0)
	v_fmac_f32_e32 v112, v115, v116
	s_andn2_b64 exec, exec, s[6:7]
	s_cbranch_execnz .LBB45_123
; %bb.124:
	s_or_b64 exec, exec, s[6:7]
.LBB45_125:
	s_or_b64 exec, exec, s[12:13]
	v_mov_b32_e32 v113, 0
	ds_read_b32 v113, v113 offset:128
	s_waitcnt lgkmcnt(0)
	v_mul_f32_e32 v112, v112, v113
	buffer_store_dword v112, off, s[0:3], 0 offset:128
.LBB45_126:
	s_or_b64 exec, exec, s[10:11]
	buffer_load_dword v112, off, s[0:3], 0 offset:124
	v_cmp_lt_u32_e64 s[6:7], 31, v0
	s_waitcnt vmcnt(0)
	ds_write_b32 v94, v112
	s_waitcnt lgkmcnt(0)
	; wave barrier
	s_waitcnt lgkmcnt(0)
	s_and_saveexec_b64 s[10:11], s[6:7]
	s_cbranch_execz .LBB45_136
; %bb.127:
	s_andn2_b64 vcc, exec, s[8:9]
	s_cbranch_vccnz .LBB45_129
; %bb.128:
	buffer_load_dword v112, v95, s[0:3], 0 offen
	ds_read_b32 v113, v94
	s_waitcnt vmcnt(0) lgkmcnt(0)
	v_mul_f32_e32 v112, v112, v113
	s_cbranch_execz .LBB45_130
	s_branch .LBB45_131
.LBB45_129:
                                        ; implicit-def: $vgpr112
.LBB45_130:
	ds_read_b32 v112, v94
.LBB45_131:
	s_and_saveexec_b64 s[12:13], s[4:5]
	s_cbranch_execz .LBB45_135
; %bb.132:
	v_subrev_u32_e32 v113, 32, v0
	s_movk_i32 s14, 0x140
	s_mov_b64 s[4:5], 0
.LBB45_133:                             ; =>This Inner Loop Header: Depth=1
	buffer_load_dword v114, v111, s[0:3], 0 offen
	v_mov_b32_e32 v115, s14
	ds_read_b32 v115, v115
	v_add_u32_e32 v113, -1, v113
	s_add_i32 s14, s14, 4
	v_cmp_eq_u32_e32 vcc, 0, v113
	v_add_u32_e32 v111, 4, v111
	s_or_b64 s[4:5], vcc, s[4:5]
	s_waitcnt vmcnt(0) lgkmcnt(0)
	v_fmac_f32_e32 v112, v114, v115
	s_andn2_b64 exec, exec, s[4:5]
	s_cbranch_execnz .LBB45_133
; %bb.134:
	s_or_b64 exec, exec, s[4:5]
.LBB45_135:
	s_or_b64 exec, exec, s[12:13]
	v_mov_b32_e32 v111, 0
	ds_read_b32 v111, v111 offset:124
	s_waitcnt lgkmcnt(0)
	v_mul_f32_e32 v111, v112, v111
	buffer_store_dword v111, off, s[0:3], 0 offset:124
.LBB45_136:
	s_or_b64 exec, exec, s[10:11]
	buffer_load_dword v111, off, s[0:3], 0 offset:120
	v_cmp_lt_u32_e64 s[4:5], 30, v0
	s_waitcnt vmcnt(0)
	ds_write_b32 v94, v111
	s_waitcnt lgkmcnt(0)
	; wave barrier
	s_waitcnt lgkmcnt(0)
	s_and_saveexec_b64 s[10:11], s[4:5]
	s_cbranch_execz .LBB45_146
; %bb.137:
	s_andn2_b64 vcc, exec, s[8:9]
	s_cbranch_vccnz .LBB45_139
; %bb.138:
	buffer_load_dword v111, v95, s[0:3], 0 offen
	ds_read_b32 v112, v94
	s_waitcnt vmcnt(0) lgkmcnt(0)
	v_mul_f32_e32 v111, v111, v112
	s_cbranch_execz .LBB45_140
	s_branch .LBB45_141
.LBB45_139:
                                        ; implicit-def: $vgpr111
.LBB45_140:
	ds_read_b32 v111, v94
.LBB45_141:
	s_and_saveexec_b64 s[12:13], s[6:7]
	s_cbranch_execz .LBB45_145
; %bb.142:
	v_mov_b32_e32 v112, 0
	v_add_u32_e32 v112, 0x7c, v112
	v_subrev_u32_e32 v113, 31, v0
	s_movk_i32 s14, 0x13c
	s_mov_b64 s[6:7], 0
.LBB45_143:                             ; =>This Inner Loop Header: Depth=1
	buffer_load_dword v114, v112, s[0:3], 0 offen
	v_mov_b32_e32 v115, s14
	ds_read_b32 v115, v115
	v_add_u32_e32 v113, -1, v113
	s_add_i32 s14, s14, 4
	v_cmp_eq_u32_e32 vcc, 0, v113
	v_add_u32_e32 v112, 4, v112
	s_or_b64 s[6:7], vcc, s[6:7]
	s_waitcnt vmcnt(0) lgkmcnt(0)
	v_fmac_f32_e32 v111, v114, v115
	s_andn2_b64 exec, exec, s[6:7]
	s_cbranch_execnz .LBB45_143
; %bb.144:
	s_or_b64 exec, exec, s[6:7]
.LBB45_145:
	s_or_b64 exec, exec, s[12:13]
	v_mov_b32_e32 v112, 0
	ds_read_b32 v112, v112 offset:120
	s_waitcnt lgkmcnt(0)
	v_mul_f32_e32 v111, v111, v112
	buffer_store_dword v111, off, s[0:3], 0 offset:120
.LBB45_146:
	s_or_b64 exec, exec, s[10:11]
	buffer_load_dword v111, off, s[0:3], 0 offset:116
	v_cmp_lt_u32_e64 s[6:7], 29, v0
	s_waitcnt vmcnt(0)
	ds_write_b32 v94, v111
	s_waitcnt lgkmcnt(0)
	; wave barrier
	s_waitcnt lgkmcnt(0)
	s_and_saveexec_b64 s[10:11], s[6:7]
	s_cbranch_execz .LBB45_156
; %bb.147:
	s_andn2_b64 vcc, exec, s[8:9]
	s_cbranch_vccnz .LBB45_149
; %bb.148:
	buffer_load_dword v111, v95, s[0:3], 0 offen
	ds_read_b32 v112, v94
	s_waitcnt vmcnt(0) lgkmcnt(0)
	v_mul_f32_e32 v111, v111, v112
	s_cbranch_execz .LBB45_150
	s_branch .LBB45_151
.LBB45_149:
                                        ; implicit-def: $vgpr111
.LBB45_150:
	ds_read_b32 v111, v94
.LBB45_151:
	s_and_saveexec_b64 s[12:13], s[4:5]
	s_cbranch_execz .LBB45_155
; %bb.152:
	v_subrev_u32_e32 v112, 30, v0
	s_movk_i32 s14, 0x138
	s_mov_b64 s[4:5], 0
.LBB45_153:                             ; =>This Inner Loop Header: Depth=1
	buffer_load_dword v113, v110, s[0:3], 0 offen
	v_mov_b32_e32 v114, s14
	ds_read_b32 v114, v114
	v_add_u32_e32 v112, -1, v112
	s_add_i32 s14, s14, 4
	v_cmp_eq_u32_e32 vcc, 0, v112
	v_add_u32_e32 v110, 4, v110
	s_or_b64 s[4:5], vcc, s[4:5]
	s_waitcnt vmcnt(0) lgkmcnt(0)
	v_fmac_f32_e32 v111, v113, v114
	s_andn2_b64 exec, exec, s[4:5]
	s_cbranch_execnz .LBB45_153
; %bb.154:
	s_or_b64 exec, exec, s[4:5]
.LBB45_155:
	s_or_b64 exec, exec, s[12:13]
	v_mov_b32_e32 v110, 0
	ds_read_b32 v110, v110 offset:116
	s_waitcnt lgkmcnt(0)
	v_mul_f32_e32 v110, v111, v110
	buffer_store_dword v110, off, s[0:3], 0 offset:116
.LBB45_156:
	s_or_b64 exec, exec, s[10:11]
	buffer_load_dword v110, off, s[0:3], 0 offset:112
	v_cmp_lt_u32_e64 s[4:5], 28, v0
	s_waitcnt vmcnt(0)
	ds_write_b32 v94, v110
	s_waitcnt lgkmcnt(0)
	; wave barrier
	s_waitcnt lgkmcnt(0)
	s_and_saveexec_b64 s[10:11], s[4:5]
	s_cbranch_execz .LBB45_166
; %bb.157:
	s_andn2_b64 vcc, exec, s[8:9]
	s_cbranch_vccnz .LBB45_159
; %bb.158:
	buffer_load_dword v110, v95, s[0:3], 0 offen
	ds_read_b32 v111, v94
	s_waitcnt vmcnt(0) lgkmcnt(0)
	v_mul_f32_e32 v110, v110, v111
	s_cbranch_execz .LBB45_160
	s_branch .LBB45_161
.LBB45_159:
                                        ; implicit-def: $vgpr110
.LBB45_160:
	ds_read_b32 v110, v94
.LBB45_161:
	s_and_saveexec_b64 s[12:13], s[6:7]
	s_cbranch_execz .LBB45_165
; %bb.162:
	v_mov_b32_e32 v111, 0
	v_add_u32_e32 v111, 0x74, v111
	v_subrev_u32_e32 v112, 29, v0
	s_movk_i32 s14, 0x134
	s_mov_b64 s[6:7], 0
.LBB45_163:                             ; =>This Inner Loop Header: Depth=1
	buffer_load_dword v113, v111, s[0:3], 0 offen
	v_mov_b32_e32 v114, s14
	ds_read_b32 v114, v114
	v_add_u32_e32 v112, -1, v112
	s_add_i32 s14, s14, 4
	v_cmp_eq_u32_e32 vcc, 0, v112
	v_add_u32_e32 v111, 4, v111
	s_or_b64 s[6:7], vcc, s[6:7]
	s_waitcnt vmcnt(0) lgkmcnt(0)
	v_fmac_f32_e32 v110, v113, v114
	s_andn2_b64 exec, exec, s[6:7]
	s_cbranch_execnz .LBB45_163
; %bb.164:
	s_or_b64 exec, exec, s[6:7]
.LBB45_165:
	s_or_b64 exec, exec, s[12:13]
	v_mov_b32_e32 v111, 0
	ds_read_b32 v111, v111 offset:112
	s_waitcnt lgkmcnt(0)
	v_mul_f32_e32 v110, v110, v111
	buffer_store_dword v110, off, s[0:3], 0 offset:112
.LBB45_166:
	s_or_b64 exec, exec, s[10:11]
	buffer_load_dword v110, off, s[0:3], 0 offset:108
	v_cmp_lt_u32_e64 s[6:7], 27, v0
	s_waitcnt vmcnt(0)
	ds_write_b32 v94, v110
	s_waitcnt lgkmcnt(0)
	; wave barrier
	s_waitcnt lgkmcnt(0)
	s_and_saveexec_b64 s[10:11], s[6:7]
	s_cbranch_execz .LBB45_176
; %bb.167:
	s_andn2_b64 vcc, exec, s[8:9]
	s_cbranch_vccnz .LBB45_169
; %bb.168:
	buffer_load_dword v110, v95, s[0:3], 0 offen
	ds_read_b32 v111, v94
	s_waitcnt vmcnt(0) lgkmcnt(0)
	v_mul_f32_e32 v110, v110, v111
	s_cbranch_execz .LBB45_170
	s_branch .LBB45_171
.LBB45_169:
                                        ; implicit-def: $vgpr110
.LBB45_170:
	ds_read_b32 v110, v94
.LBB45_171:
	s_and_saveexec_b64 s[12:13], s[4:5]
	s_cbranch_execz .LBB45_175
; %bb.172:
	v_subrev_u32_e32 v111, 28, v0
	s_movk_i32 s14, 0x130
	s_mov_b64 s[4:5], 0
.LBB45_173:                             ; =>This Inner Loop Header: Depth=1
	buffer_load_dword v112, v109, s[0:3], 0 offen
	v_mov_b32_e32 v113, s14
	ds_read_b32 v113, v113
	v_add_u32_e32 v111, -1, v111
	s_add_i32 s14, s14, 4
	v_cmp_eq_u32_e32 vcc, 0, v111
	v_add_u32_e32 v109, 4, v109
	s_or_b64 s[4:5], vcc, s[4:5]
	s_waitcnt vmcnt(0) lgkmcnt(0)
	v_fmac_f32_e32 v110, v112, v113
	s_andn2_b64 exec, exec, s[4:5]
	s_cbranch_execnz .LBB45_173
; %bb.174:
	s_or_b64 exec, exec, s[4:5]
.LBB45_175:
	s_or_b64 exec, exec, s[12:13]
	v_mov_b32_e32 v109, 0
	ds_read_b32 v109, v109 offset:108
	s_waitcnt lgkmcnt(0)
	v_mul_f32_e32 v109, v110, v109
	buffer_store_dword v109, off, s[0:3], 0 offset:108
.LBB45_176:
	s_or_b64 exec, exec, s[10:11]
	buffer_load_dword v109, off, s[0:3], 0 offset:104
	v_cmp_lt_u32_e64 s[4:5], 26, v0
	s_waitcnt vmcnt(0)
	ds_write_b32 v94, v109
	s_waitcnt lgkmcnt(0)
	; wave barrier
	s_waitcnt lgkmcnt(0)
	s_and_saveexec_b64 s[10:11], s[4:5]
	s_cbranch_execz .LBB45_186
; %bb.177:
	s_andn2_b64 vcc, exec, s[8:9]
	s_cbranch_vccnz .LBB45_179
; %bb.178:
	buffer_load_dword v109, v95, s[0:3], 0 offen
	ds_read_b32 v110, v94
	s_waitcnt vmcnt(0) lgkmcnt(0)
	v_mul_f32_e32 v109, v109, v110
	s_cbranch_execz .LBB45_180
	s_branch .LBB45_181
.LBB45_179:
                                        ; implicit-def: $vgpr109
.LBB45_180:
	ds_read_b32 v109, v94
.LBB45_181:
	s_and_saveexec_b64 s[12:13], s[6:7]
	s_cbranch_execz .LBB45_185
; %bb.182:
	v_mov_b32_e32 v110, 0
	v_add_u32_e32 v110, 0x6c, v110
	v_subrev_u32_e32 v111, 27, v0
	s_movk_i32 s14, 0x12c
	s_mov_b64 s[6:7], 0
.LBB45_183:                             ; =>This Inner Loop Header: Depth=1
	buffer_load_dword v112, v110, s[0:3], 0 offen
	v_mov_b32_e32 v113, s14
	ds_read_b32 v113, v113
	v_add_u32_e32 v111, -1, v111
	s_add_i32 s14, s14, 4
	v_cmp_eq_u32_e32 vcc, 0, v111
	v_add_u32_e32 v110, 4, v110
	s_or_b64 s[6:7], vcc, s[6:7]
	s_waitcnt vmcnt(0) lgkmcnt(0)
	v_fmac_f32_e32 v109, v112, v113
	s_andn2_b64 exec, exec, s[6:7]
	s_cbranch_execnz .LBB45_183
; %bb.184:
	s_or_b64 exec, exec, s[6:7]
.LBB45_185:
	s_or_b64 exec, exec, s[12:13]
	v_mov_b32_e32 v110, 0
	ds_read_b32 v110, v110 offset:104
	s_waitcnt lgkmcnt(0)
	v_mul_f32_e32 v109, v109, v110
	buffer_store_dword v109, off, s[0:3], 0 offset:104
.LBB45_186:
	s_or_b64 exec, exec, s[10:11]
	buffer_load_dword v109, off, s[0:3], 0 offset:100
	v_cmp_lt_u32_e64 s[6:7], 25, v0
	s_waitcnt vmcnt(0)
	ds_write_b32 v94, v109
	s_waitcnt lgkmcnt(0)
	; wave barrier
	s_waitcnt lgkmcnt(0)
	s_and_saveexec_b64 s[10:11], s[6:7]
	s_cbranch_execz .LBB45_196
; %bb.187:
	s_andn2_b64 vcc, exec, s[8:9]
	s_cbranch_vccnz .LBB45_189
; %bb.188:
	buffer_load_dword v109, v95, s[0:3], 0 offen
	ds_read_b32 v110, v94
	s_waitcnt vmcnt(0) lgkmcnt(0)
	v_mul_f32_e32 v109, v109, v110
	s_cbranch_execz .LBB45_190
	s_branch .LBB45_191
.LBB45_189:
                                        ; implicit-def: $vgpr109
.LBB45_190:
	ds_read_b32 v109, v94
.LBB45_191:
	s_and_saveexec_b64 s[12:13], s[4:5]
	s_cbranch_execz .LBB45_195
; %bb.192:
	v_subrev_u32_e32 v110, 26, v0
	s_movk_i32 s14, 0x128
	s_mov_b64 s[4:5], 0
.LBB45_193:                             ; =>This Inner Loop Header: Depth=1
	buffer_load_dword v111, v108, s[0:3], 0 offen
	v_mov_b32_e32 v112, s14
	ds_read_b32 v112, v112
	v_add_u32_e32 v110, -1, v110
	s_add_i32 s14, s14, 4
	v_cmp_eq_u32_e32 vcc, 0, v110
	v_add_u32_e32 v108, 4, v108
	s_or_b64 s[4:5], vcc, s[4:5]
	s_waitcnt vmcnt(0) lgkmcnt(0)
	v_fmac_f32_e32 v109, v111, v112
	s_andn2_b64 exec, exec, s[4:5]
	s_cbranch_execnz .LBB45_193
; %bb.194:
	s_or_b64 exec, exec, s[4:5]
.LBB45_195:
	s_or_b64 exec, exec, s[12:13]
	v_mov_b32_e32 v108, 0
	ds_read_b32 v108, v108 offset:100
	s_waitcnt lgkmcnt(0)
	v_mul_f32_e32 v108, v109, v108
	buffer_store_dword v108, off, s[0:3], 0 offset:100
.LBB45_196:
	s_or_b64 exec, exec, s[10:11]
	buffer_load_dword v108, off, s[0:3], 0 offset:96
	v_cmp_lt_u32_e64 s[4:5], 24, v0
	s_waitcnt vmcnt(0)
	ds_write_b32 v94, v108
	s_waitcnt lgkmcnt(0)
	; wave barrier
	s_waitcnt lgkmcnt(0)
	s_and_saveexec_b64 s[10:11], s[4:5]
	s_cbranch_execz .LBB45_206
; %bb.197:
	s_andn2_b64 vcc, exec, s[8:9]
	s_cbranch_vccnz .LBB45_199
; %bb.198:
	buffer_load_dword v108, v95, s[0:3], 0 offen
	ds_read_b32 v109, v94
	s_waitcnt vmcnt(0) lgkmcnt(0)
	v_mul_f32_e32 v108, v108, v109
	s_cbranch_execz .LBB45_200
	s_branch .LBB45_201
.LBB45_199:
                                        ; implicit-def: $vgpr108
.LBB45_200:
	ds_read_b32 v108, v94
.LBB45_201:
	s_and_saveexec_b64 s[12:13], s[6:7]
	s_cbranch_execz .LBB45_205
; %bb.202:
	v_mov_b32_e32 v109, 0
	v_add_u32_e32 v109, 0x64, v109
	v_subrev_u32_e32 v110, 25, v0
	s_movk_i32 s14, 0x124
	s_mov_b64 s[6:7], 0
.LBB45_203:                             ; =>This Inner Loop Header: Depth=1
	buffer_load_dword v111, v109, s[0:3], 0 offen
	v_mov_b32_e32 v112, s14
	ds_read_b32 v112, v112
	v_add_u32_e32 v110, -1, v110
	s_add_i32 s14, s14, 4
	v_cmp_eq_u32_e32 vcc, 0, v110
	v_add_u32_e32 v109, 4, v109
	s_or_b64 s[6:7], vcc, s[6:7]
	s_waitcnt vmcnt(0) lgkmcnt(0)
	v_fmac_f32_e32 v108, v111, v112
	s_andn2_b64 exec, exec, s[6:7]
	s_cbranch_execnz .LBB45_203
; %bb.204:
	s_or_b64 exec, exec, s[6:7]
.LBB45_205:
	s_or_b64 exec, exec, s[12:13]
	v_mov_b32_e32 v109, 0
	ds_read_b32 v109, v109 offset:96
	s_waitcnt lgkmcnt(0)
	v_mul_f32_e32 v108, v108, v109
	buffer_store_dword v108, off, s[0:3], 0 offset:96
.LBB45_206:
	s_or_b64 exec, exec, s[10:11]
	buffer_load_dword v108, off, s[0:3], 0 offset:92
	v_cmp_lt_u32_e64 s[6:7], 23, v0
	s_waitcnt vmcnt(0)
	ds_write_b32 v94, v108
	s_waitcnt lgkmcnt(0)
	; wave barrier
	s_waitcnt lgkmcnt(0)
	s_and_saveexec_b64 s[10:11], s[6:7]
	s_cbranch_execz .LBB45_216
; %bb.207:
	s_andn2_b64 vcc, exec, s[8:9]
	s_cbranch_vccnz .LBB45_209
; %bb.208:
	buffer_load_dword v108, v95, s[0:3], 0 offen
	ds_read_b32 v109, v94
	s_waitcnt vmcnt(0) lgkmcnt(0)
	v_mul_f32_e32 v108, v108, v109
	s_cbranch_execz .LBB45_210
	s_branch .LBB45_211
.LBB45_209:
                                        ; implicit-def: $vgpr108
.LBB45_210:
	ds_read_b32 v108, v94
.LBB45_211:
	s_and_saveexec_b64 s[12:13], s[4:5]
	s_cbranch_execz .LBB45_215
; %bb.212:
	v_subrev_u32_e32 v109, 24, v0
	s_movk_i32 s14, 0x120
	s_mov_b64 s[4:5], 0
.LBB45_213:                             ; =>This Inner Loop Header: Depth=1
	buffer_load_dword v110, v107, s[0:3], 0 offen
	v_mov_b32_e32 v111, s14
	ds_read_b32 v111, v111
	v_add_u32_e32 v109, -1, v109
	s_add_i32 s14, s14, 4
	v_cmp_eq_u32_e32 vcc, 0, v109
	v_add_u32_e32 v107, 4, v107
	s_or_b64 s[4:5], vcc, s[4:5]
	s_waitcnt vmcnt(0) lgkmcnt(0)
	v_fmac_f32_e32 v108, v110, v111
	s_andn2_b64 exec, exec, s[4:5]
	s_cbranch_execnz .LBB45_213
; %bb.214:
	s_or_b64 exec, exec, s[4:5]
.LBB45_215:
	s_or_b64 exec, exec, s[12:13]
	v_mov_b32_e32 v107, 0
	ds_read_b32 v107, v107 offset:92
	s_waitcnt lgkmcnt(0)
	v_mul_f32_e32 v107, v108, v107
	buffer_store_dword v107, off, s[0:3], 0 offset:92
.LBB45_216:
	s_or_b64 exec, exec, s[10:11]
	buffer_load_dword v107, off, s[0:3], 0 offset:88
	v_cmp_lt_u32_e64 s[4:5], 22, v0
	s_waitcnt vmcnt(0)
	ds_write_b32 v94, v107
	s_waitcnt lgkmcnt(0)
	; wave barrier
	s_waitcnt lgkmcnt(0)
	s_and_saveexec_b64 s[10:11], s[4:5]
	s_cbranch_execz .LBB45_226
; %bb.217:
	s_andn2_b64 vcc, exec, s[8:9]
	s_cbranch_vccnz .LBB45_219
; %bb.218:
	buffer_load_dword v107, v95, s[0:3], 0 offen
	ds_read_b32 v108, v94
	s_waitcnt vmcnt(0) lgkmcnt(0)
	v_mul_f32_e32 v107, v107, v108
	s_cbranch_execz .LBB45_220
	s_branch .LBB45_221
.LBB45_219:
                                        ; implicit-def: $vgpr107
.LBB45_220:
	ds_read_b32 v107, v94
.LBB45_221:
	s_and_saveexec_b64 s[12:13], s[6:7]
	s_cbranch_execz .LBB45_225
; %bb.222:
	v_mov_b32_e32 v108, 0
	v_add_u32_e32 v108, 0x5c, v108
	v_subrev_u32_e32 v109, 23, v0
	s_movk_i32 s14, 0x11c
	s_mov_b64 s[6:7], 0
.LBB45_223:                             ; =>This Inner Loop Header: Depth=1
	buffer_load_dword v110, v108, s[0:3], 0 offen
	v_mov_b32_e32 v111, s14
	ds_read_b32 v111, v111
	v_add_u32_e32 v109, -1, v109
	s_add_i32 s14, s14, 4
	v_cmp_eq_u32_e32 vcc, 0, v109
	v_add_u32_e32 v108, 4, v108
	s_or_b64 s[6:7], vcc, s[6:7]
	s_waitcnt vmcnt(0) lgkmcnt(0)
	v_fmac_f32_e32 v107, v110, v111
	s_andn2_b64 exec, exec, s[6:7]
	s_cbranch_execnz .LBB45_223
; %bb.224:
	s_or_b64 exec, exec, s[6:7]
.LBB45_225:
	s_or_b64 exec, exec, s[12:13]
	v_mov_b32_e32 v108, 0
	ds_read_b32 v108, v108 offset:88
	s_waitcnt lgkmcnt(0)
	v_mul_f32_e32 v107, v107, v108
	buffer_store_dword v107, off, s[0:3], 0 offset:88
.LBB45_226:
	s_or_b64 exec, exec, s[10:11]
	buffer_load_dword v107, off, s[0:3], 0 offset:84
	v_cmp_lt_u32_e64 s[6:7], 21, v0
	s_waitcnt vmcnt(0)
	ds_write_b32 v94, v107
	s_waitcnt lgkmcnt(0)
	; wave barrier
	s_waitcnt lgkmcnt(0)
	s_and_saveexec_b64 s[10:11], s[6:7]
	s_cbranch_execz .LBB45_236
; %bb.227:
	s_andn2_b64 vcc, exec, s[8:9]
	s_cbranch_vccnz .LBB45_229
; %bb.228:
	buffer_load_dword v107, v95, s[0:3], 0 offen
	ds_read_b32 v108, v94
	s_waitcnt vmcnt(0) lgkmcnt(0)
	v_mul_f32_e32 v107, v107, v108
	s_cbranch_execz .LBB45_230
	s_branch .LBB45_231
.LBB45_229:
                                        ; implicit-def: $vgpr107
.LBB45_230:
	ds_read_b32 v107, v94
.LBB45_231:
	s_and_saveexec_b64 s[12:13], s[4:5]
	s_cbranch_execz .LBB45_235
; %bb.232:
	v_subrev_u32_e32 v108, 22, v0
	s_movk_i32 s14, 0x118
	s_mov_b64 s[4:5], 0
.LBB45_233:                             ; =>This Inner Loop Header: Depth=1
	buffer_load_dword v109, v106, s[0:3], 0 offen
	v_mov_b32_e32 v110, s14
	ds_read_b32 v110, v110
	v_add_u32_e32 v108, -1, v108
	s_add_i32 s14, s14, 4
	v_cmp_eq_u32_e32 vcc, 0, v108
	v_add_u32_e32 v106, 4, v106
	s_or_b64 s[4:5], vcc, s[4:5]
	s_waitcnt vmcnt(0) lgkmcnt(0)
	v_fmac_f32_e32 v107, v109, v110
	s_andn2_b64 exec, exec, s[4:5]
	s_cbranch_execnz .LBB45_233
; %bb.234:
	s_or_b64 exec, exec, s[4:5]
.LBB45_235:
	s_or_b64 exec, exec, s[12:13]
	v_mov_b32_e32 v106, 0
	ds_read_b32 v106, v106 offset:84
	s_waitcnt lgkmcnt(0)
	v_mul_f32_e32 v106, v107, v106
	buffer_store_dword v106, off, s[0:3], 0 offset:84
.LBB45_236:
	s_or_b64 exec, exec, s[10:11]
	buffer_load_dword v106, off, s[0:3], 0 offset:80
	v_cmp_lt_u32_e64 s[4:5], 20, v0
	s_waitcnt vmcnt(0)
	ds_write_b32 v94, v106
	s_waitcnt lgkmcnt(0)
	; wave barrier
	s_waitcnt lgkmcnt(0)
	s_and_saveexec_b64 s[10:11], s[4:5]
	s_cbranch_execz .LBB45_246
; %bb.237:
	s_andn2_b64 vcc, exec, s[8:9]
	s_cbranch_vccnz .LBB45_239
; %bb.238:
	buffer_load_dword v106, v95, s[0:3], 0 offen
	ds_read_b32 v107, v94
	s_waitcnt vmcnt(0) lgkmcnt(0)
	v_mul_f32_e32 v106, v106, v107
	s_cbranch_execz .LBB45_240
	s_branch .LBB45_241
.LBB45_239:
                                        ; implicit-def: $vgpr106
.LBB45_240:
	ds_read_b32 v106, v94
.LBB45_241:
	s_and_saveexec_b64 s[12:13], s[6:7]
	s_cbranch_execz .LBB45_245
; %bb.242:
	v_mov_b32_e32 v107, 0
	v_add_u32_e32 v107, 0x54, v107
	v_subrev_u32_e32 v108, 21, v0
	s_movk_i32 s14, 0x114
	s_mov_b64 s[6:7], 0
.LBB45_243:                             ; =>This Inner Loop Header: Depth=1
	buffer_load_dword v109, v107, s[0:3], 0 offen
	v_mov_b32_e32 v110, s14
	ds_read_b32 v110, v110
	v_add_u32_e32 v108, -1, v108
	s_add_i32 s14, s14, 4
	v_cmp_eq_u32_e32 vcc, 0, v108
	v_add_u32_e32 v107, 4, v107
	s_or_b64 s[6:7], vcc, s[6:7]
	s_waitcnt vmcnt(0) lgkmcnt(0)
	v_fmac_f32_e32 v106, v109, v110
	s_andn2_b64 exec, exec, s[6:7]
	s_cbranch_execnz .LBB45_243
; %bb.244:
	s_or_b64 exec, exec, s[6:7]
.LBB45_245:
	s_or_b64 exec, exec, s[12:13]
	v_mov_b32_e32 v107, 0
	ds_read_b32 v107, v107 offset:80
	s_waitcnt lgkmcnt(0)
	v_mul_f32_e32 v106, v106, v107
	buffer_store_dword v106, off, s[0:3], 0 offset:80
.LBB45_246:
	s_or_b64 exec, exec, s[10:11]
	buffer_load_dword v106, off, s[0:3], 0 offset:76
	v_cmp_lt_u32_e64 s[6:7], 19, v0
	s_waitcnt vmcnt(0)
	ds_write_b32 v94, v106
	s_waitcnt lgkmcnt(0)
	; wave barrier
	s_waitcnt lgkmcnt(0)
	s_and_saveexec_b64 s[10:11], s[6:7]
	s_cbranch_execz .LBB45_256
; %bb.247:
	s_andn2_b64 vcc, exec, s[8:9]
	s_cbranch_vccnz .LBB45_249
; %bb.248:
	buffer_load_dword v106, v95, s[0:3], 0 offen
	ds_read_b32 v107, v94
	s_waitcnt vmcnt(0) lgkmcnt(0)
	v_mul_f32_e32 v106, v106, v107
	s_cbranch_execz .LBB45_250
	s_branch .LBB45_251
.LBB45_249:
                                        ; implicit-def: $vgpr106
.LBB45_250:
	ds_read_b32 v106, v94
.LBB45_251:
	s_and_saveexec_b64 s[12:13], s[4:5]
	s_cbranch_execz .LBB45_255
; %bb.252:
	v_subrev_u32_e32 v107, 20, v0
	s_movk_i32 s14, 0x110
	s_mov_b64 s[4:5], 0
.LBB45_253:                             ; =>This Inner Loop Header: Depth=1
	buffer_load_dword v108, v105, s[0:3], 0 offen
	v_mov_b32_e32 v109, s14
	ds_read_b32 v109, v109
	v_add_u32_e32 v107, -1, v107
	s_add_i32 s14, s14, 4
	v_cmp_eq_u32_e32 vcc, 0, v107
	v_add_u32_e32 v105, 4, v105
	s_or_b64 s[4:5], vcc, s[4:5]
	s_waitcnt vmcnt(0) lgkmcnt(0)
	v_fmac_f32_e32 v106, v108, v109
	s_andn2_b64 exec, exec, s[4:5]
	s_cbranch_execnz .LBB45_253
; %bb.254:
	s_or_b64 exec, exec, s[4:5]
.LBB45_255:
	s_or_b64 exec, exec, s[12:13]
	v_mov_b32_e32 v105, 0
	ds_read_b32 v105, v105 offset:76
	s_waitcnt lgkmcnt(0)
	v_mul_f32_e32 v105, v106, v105
	buffer_store_dword v105, off, s[0:3], 0 offset:76
.LBB45_256:
	s_or_b64 exec, exec, s[10:11]
	buffer_load_dword v105, off, s[0:3], 0 offset:72
	v_cmp_lt_u32_e64 s[4:5], 18, v0
	s_waitcnt vmcnt(0)
	ds_write_b32 v94, v105
	s_waitcnt lgkmcnt(0)
	; wave barrier
	s_waitcnt lgkmcnt(0)
	s_and_saveexec_b64 s[10:11], s[4:5]
	s_cbranch_execz .LBB45_266
; %bb.257:
	s_andn2_b64 vcc, exec, s[8:9]
	s_cbranch_vccnz .LBB45_259
; %bb.258:
	buffer_load_dword v105, v95, s[0:3], 0 offen
	ds_read_b32 v106, v94
	s_waitcnt vmcnt(0) lgkmcnt(0)
	v_mul_f32_e32 v105, v105, v106
	s_cbranch_execz .LBB45_260
	s_branch .LBB45_261
.LBB45_259:
                                        ; implicit-def: $vgpr105
.LBB45_260:
	ds_read_b32 v105, v94
.LBB45_261:
	s_and_saveexec_b64 s[12:13], s[6:7]
	s_cbranch_execz .LBB45_265
; %bb.262:
	v_mov_b32_e32 v106, 0
	v_add_u32_e32 v106, 0x4c, v106
	v_subrev_u32_e32 v107, 19, v0
	s_movk_i32 s14, 0x10c
	s_mov_b64 s[6:7], 0
.LBB45_263:                             ; =>This Inner Loop Header: Depth=1
	buffer_load_dword v108, v106, s[0:3], 0 offen
	v_mov_b32_e32 v109, s14
	ds_read_b32 v109, v109
	v_add_u32_e32 v107, -1, v107
	s_add_i32 s14, s14, 4
	v_cmp_eq_u32_e32 vcc, 0, v107
	v_add_u32_e32 v106, 4, v106
	s_or_b64 s[6:7], vcc, s[6:7]
	s_waitcnt vmcnt(0) lgkmcnt(0)
	v_fmac_f32_e32 v105, v108, v109
	s_andn2_b64 exec, exec, s[6:7]
	s_cbranch_execnz .LBB45_263
; %bb.264:
	s_or_b64 exec, exec, s[6:7]
.LBB45_265:
	s_or_b64 exec, exec, s[12:13]
	v_mov_b32_e32 v106, 0
	ds_read_b32 v106, v106 offset:72
	s_waitcnt lgkmcnt(0)
	v_mul_f32_e32 v105, v105, v106
	buffer_store_dword v105, off, s[0:3], 0 offset:72
.LBB45_266:
	s_or_b64 exec, exec, s[10:11]
	buffer_load_dword v105, off, s[0:3], 0 offset:68
	v_cmp_lt_u32_e64 s[6:7], 17, v0
	s_waitcnt vmcnt(0)
	ds_write_b32 v94, v105
	s_waitcnt lgkmcnt(0)
	; wave barrier
	s_waitcnt lgkmcnt(0)
	s_and_saveexec_b64 s[10:11], s[6:7]
	s_cbranch_execz .LBB45_276
; %bb.267:
	s_andn2_b64 vcc, exec, s[8:9]
	s_cbranch_vccnz .LBB45_269
; %bb.268:
	buffer_load_dword v105, v95, s[0:3], 0 offen
	ds_read_b32 v106, v94
	s_waitcnt vmcnt(0) lgkmcnt(0)
	v_mul_f32_e32 v105, v105, v106
	s_cbranch_execz .LBB45_270
	s_branch .LBB45_271
.LBB45_269:
                                        ; implicit-def: $vgpr105
.LBB45_270:
	ds_read_b32 v105, v94
.LBB45_271:
	s_and_saveexec_b64 s[12:13], s[4:5]
	s_cbranch_execz .LBB45_275
; %bb.272:
	v_subrev_u32_e32 v106, 18, v0
	s_movk_i32 s14, 0x108
	s_mov_b64 s[4:5], 0
.LBB45_273:                             ; =>This Inner Loop Header: Depth=1
	buffer_load_dword v107, v104, s[0:3], 0 offen
	v_mov_b32_e32 v108, s14
	ds_read_b32 v108, v108
	v_add_u32_e32 v106, -1, v106
	s_add_i32 s14, s14, 4
	v_cmp_eq_u32_e32 vcc, 0, v106
	v_add_u32_e32 v104, 4, v104
	s_or_b64 s[4:5], vcc, s[4:5]
	s_waitcnt vmcnt(0) lgkmcnt(0)
	v_fmac_f32_e32 v105, v107, v108
	s_andn2_b64 exec, exec, s[4:5]
	s_cbranch_execnz .LBB45_273
; %bb.274:
	s_or_b64 exec, exec, s[4:5]
.LBB45_275:
	s_or_b64 exec, exec, s[12:13]
	v_mov_b32_e32 v104, 0
	ds_read_b32 v104, v104 offset:68
	s_waitcnt lgkmcnt(0)
	v_mul_f32_e32 v104, v105, v104
	buffer_store_dword v104, off, s[0:3], 0 offset:68
.LBB45_276:
	s_or_b64 exec, exec, s[10:11]
	buffer_load_dword v104, off, s[0:3], 0 offset:64
	v_cmp_lt_u32_e64 s[4:5], 16, v0
	s_waitcnt vmcnt(0)
	ds_write_b32 v94, v104
	s_waitcnt lgkmcnt(0)
	; wave barrier
	s_waitcnt lgkmcnt(0)
	s_and_saveexec_b64 s[10:11], s[4:5]
	s_cbranch_execz .LBB45_286
; %bb.277:
	s_andn2_b64 vcc, exec, s[8:9]
	s_cbranch_vccnz .LBB45_279
; %bb.278:
	buffer_load_dword v104, v95, s[0:3], 0 offen
	ds_read_b32 v105, v94
	s_waitcnt vmcnt(0) lgkmcnt(0)
	v_mul_f32_e32 v104, v104, v105
	s_cbranch_execz .LBB45_280
	s_branch .LBB45_281
.LBB45_279:
                                        ; implicit-def: $vgpr104
.LBB45_280:
	ds_read_b32 v104, v94
.LBB45_281:
	s_and_saveexec_b64 s[12:13], s[6:7]
	s_cbranch_execz .LBB45_285
; %bb.282:
	v_mov_b32_e32 v105, 0
	v_add_u32_e32 v105, 0x44, v105
	v_subrev_u32_e32 v106, 17, v0
	s_movk_i32 s14, 0x104
	s_mov_b64 s[6:7], 0
.LBB45_283:                             ; =>This Inner Loop Header: Depth=1
	buffer_load_dword v107, v105, s[0:3], 0 offen
	v_mov_b32_e32 v108, s14
	ds_read_b32 v108, v108
	v_add_u32_e32 v106, -1, v106
	s_add_i32 s14, s14, 4
	v_cmp_eq_u32_e32 vcc, 0, v106
	v_add_u32_e32 v105, 4, v105
	s_or_b64 s[6:7], vcc, s[6:7]
	s_waitcnt vmcnt(0) lgkmcnt(0)
	v_fmac_f32_e32 v104, v107, v108
	s_andn2_b64 exec, exec, s[6:7]
	s_cbranch_execnz .LBB45_283
; %bb.284:
	s_or_b64 exec, exec, s[6:7]
.LBB45_285:
	s_or_b64 exec, exec, s[12:13]
	v_mov_b32_e32 v105, 0
	ds_read_b32 v105, v105 offset:64
	s_waitcnt lgkmcnt(0)
	v_mul_f32_e32 v104, v104, v105
	buffer_store_dword v104, off, s[0:3], 0 offset:64
.LBB45_286:
	s_or_b64 exec, exec, s[10:11]
	buffer_load_dword v104, off, s[0:3], 0 offset:60
	v_cmp_lt_u32_e64 s[6:7], 15, v0
	s_waitcnt vmcnt(0)
	ds_write_b32 v94, v104
	s_waitcnt lgkmcnt(0)
	; wave barrier
	s_waitcnt lgkmcnt(0)
	s_and_saveexec_b64 s[10:11], s[6:7]
	s_cbranch_execz .LBB45_296
; %bb.287:
	s_andn2_b64 vcc, exec, s[8:9]
	s_cbranch_vccnz .LBB45_289
; %bb.288:
	buffer_load_dword v104, v95, s[0:3], 0 offen
	ds_read_b32 v105, v94
	s_waitcnt vmcnt(0) lgkmcnt(0)
	v_mul_f32_e32 v104, v104, v105
	s_cbranch_execz .LBB45_290
	s_branch .LBB45_291
.LBB45_289:
                                        ; implicit-def: $vgpr104
.LBB45_290:
	ds_read_b32 v104, v94
.LBB45_291:
	s_and_saveexec_b64 s[12:13], s[4:5]
	s_cbranch_execz .LBB45_295
; %bb.292:
	v_add_u32_e32 v105, -16, v0
	s_movk_i32 s14, 0x100
	s_mov_b64 s[4:5], 0
.LBB45_293:                             ; =>This Inner Loop Header: Depth=1
	buffer_load_dword v106, v103, s[0:3], 0 offen
	v_mov_b32_e32 v107, s14
	ds_read_b32 v107, v107
	v_add_u32_e32 v105, -1, v105
	s_add_i32 s14, s14, 4
	v_cmp_eq_u32_e32 vcc, 0, v105
	v_add_u32_e32 v103, 4, v103
	s_or_b64 s[4:5], vcc, s[4:5]
	s_waitcnt vmcnt(0) lgkmcnt(0)
	v_fmac_f32_e32 v104, v106, v107
	s_andn2_b64 exec, exec, s[4:5]
	s_cbranch_execnz .LBB45_293
; %bb.294:
	s_or_b64 exec, exec, s[4:5]
.LBB45_295:
	s_or_b64 exec, exec, s[12:13]
	v_mov_b32_e32 v103, 0
	ds_read_b32 v103, v103 offset:60
	s_waitcnt lgkmcnt(0)
	v_mul_f32_e32 v103, v104, v103
	buffer_store_dword v103, off, s[0:3], 0 offset:60
.LBB45_296:
	s_or_b64 exec, exec, s[10:11]
	buffer_load_dword v103, off, s[0:3], 0 offset:56
	v_cmp_lt_u32_e64 s[4:5], 14, v0
	s_waitcnt vmcnt(0)
	ds_write_b32 v94, v103
	s_waitcnt lgkmcnt(0)
	; wave barrier
	s_waitcnt lgkmcnt(0)
	s_and_saveexec_b64 s[10:11], s[4:5]
	s_cbranch_execz .LBB45_306
; %bb.297:
	s_andn2_b64 vcc, exec, s[8:9]
	s_cbranch_vccnz .LBB45_299
; %bb.298:
	buffer_load_dword v103, v95, s[0:3], 0 offen
	ds_read_b32 v104, v94
	s_waitcnt vmcnt(0) lgkmcnt(0)
	v_mul_f32_e32 v103, v103, v104
	s_cbranch_execz .LBB45_300
	s_branch .LBB45_301
.LBB45_299:
                                        ; implicit-def: $vgpr103
.LBB45_300:
	ds_read_b32 v103, v94
.LBB45_301:
	s_and_saveexec_b64 s[12:13], s[6:7]
	s_cbranch_execz .LBB45_305
; %bb.302:
	v_mov_b32_e32 v104, 0
	v_add_u32_e32 v104, 60, v104
	v_add_u32_e32 v105, -15, v0
	s_movk_i32 s14, 0xfc
	s_mov_b64 s[6:7], 0
.LBB45_303:                             ; =>This Inner Loop Header: Depth=1
	buffer_load_dword v106, v104, s[0:3], 0 offen
	v_mov_b32_e32 v107, s14
	ds_read_b32 v107, v107
	v_add_u32_e32 v105, -1, v105
	s_add_i32 s14, s14, 4
	v_cmp_eq_u32_e32 vcc, 0, v105
	v_add_u32_e32 v104, 4, v104
	s_or_b64 s[6:7], vcc, s[6:7]
	s_waitcnt vmcnt(0) lgkmcnt(0)
	v_fmac_f32_e32 v103, v106, v107
	s_andn2_b64 exec, exec, s[6:7]
	s_cbranch_execnz .LBB45_303
; %bb.304:
	s_or_b64 exec, exec, s[6:7]
.LBB45_305:
	s_or_b64 exec, exec, s[12:13]
	v_mov_b32_e32 v104, 0
	ds_read_b32 v104, v104 offset:56
	s_waitcnt lgkmcnt(0)
	v_mul_f32_e32 v103, v103, v104
	buffer_store_dword v103, off, s[0:3], 0 offset:56
.LBB45_306:
	s_or_b64 exec, exec, s[10:11]
	buffer_load_dword v103, off, s[0:3], 0 offset:52
	v_cmp_lt_u32_e64 s[6:7], 13, v0
	s_waitcnt vmcnt(0)
	ds_write_b32 v94, v103
	s_waitcnt lgkmcnt(0)
	; wave barrier
	s_waitcnt lgkmcnt(0)
	s_and_saveexec_b64 s[10:11], s[6:7]
	s_cbranch_execz .LBB45_316
; %bb.307:
	s_andn2_b64 vcc, exec, s[8:9]
	s_cbranch_vccnz .LBB45_309
; %bb.308:
	buffer_load_dword v103, v95, s[0:3], 0 offen
	ds_read_b32 v104, v94
	s_waitcnt vmcnt(0) lgkmcnt(0)
	v_mul_f32_e32 v103, v103, v104
	s_cbranch_execz .LBB45_310
	s_branch .LBB45_311
.LBB45_309:
                                        ; implicit-def: $vgpr103
.LBB45_310:
	ds_read_b32 v103, v94
.LBB45_311:
	s_and_saveexec_b64 s[12:13], s[4:5]
	s_cbranch_execz .LBB45_315
; %bb.312:
	v_add_u32_e32 v104, -14, v0
	s_movk_i32 s14, 0xf8
	s_mov_b64 s[4:5], 0
.LBB45_313:                             ; =>This Inner Loop Header: Depth=1
	buffer_load_dword v105, v102, s[0:3], 0 offen
	v_mov_b32_e32 v106, s14
	ds_read_b32 v106, v106
	v_add_u32_e32 v104, -1, v104
	s_add_i32 s14, s14, 4
	v_cmp_eq_u32_e32 vcc, 0, v104
	v_add_u32_e32 v102, 4, v102
	s_or_b64 s[4:5], vcc, s[4:5]
	s_waitcnt vmcnt(0) lgkmcnt(0)
	v_fmac_f32_e32 v103, v105, v106
	s_andn2_b64 exec, exec, s[4:5]
	s_cbranch_execnz .LBB45_313
; %bb.314:
	s_or_b64 exec, exec, s[4:5]
.LBB45_315:
	s_or_b64 exec, exec, s[12:13]
	v_mov_b32_e32 v102, 0
	ds_read_b32 v102, v102 offset:52
	s_waitcnt lgkmcnt(0)
	v_mul_f32_e32 v102, v103, v102
	buffer_store_dword v102, off, s[0:3], 0 offset:52
.LBB45_316:
	s_or_b64 exec, exec, s[10:11]
	buffer_load_dword v102, off, s[0:3], 0 offset:48
	v_cmp_lt_u32_e64 s[4:5], 12, v0
	s_waitcnt vmcnt(0)
	ds_write_b32 v94, v102
	s_waitcnt lgkmcnt(0)
	; wave barrier
	s_waitcnt lgkmcnt(0)
	s_and_saveexec_b64 s[10:11], s[4:5]
	s_cbranch_execz .LBB45_326
; %bb.317:
	s_andn2_b64 vcc, exec, s[8:9]
	s_cbranch_vccnz .LBB45_319
; %bb.318:
	buffer_load_dword v102, v95, s[0:3], 0 offen
	ds_read_b32 v103, v94
	s_waitcnt vmcnt(0) lgkmcnt(0)
	v_mul_f32_e32 v102, v102, v103
	s_cbranch_execz .LBB45_320
	s_branch .LBB45_321
.LBB45_319:
                                        ; implicit-def: $vgpr102
.LBB45_320:
	ds_read_b32 v102, v94
.LBB45_321:
	s_and_saveexec_b64 s[12:13], s[6:7]
	s_cbranch_execz .LBB45_325
; %bb.322:
	v_mov_b32_e32 v103, 0
	v_add_u32_e32 v103, 52, v103
	v_add_u32_e32 v104, -13, v0
	s_movk_i32 s14, 0xf4
	s_mov_b64 s[6:7], 0
.LBB45_323:                             ; =>This Inner Loop Header: Depth=1
	buffer_load_dword v105, v103, s[0:3], 0 offen
	v_mov_b32_e32 v106, s14
	ds_read_b32 v106, v106
	v_add_u32_e32 v104, -1, v104
	s_add_i32 s14, s14, 4
	v_cmp_eq_u32_e32 vcc, 0, v104
	v_add_u32_e32 v103, 4, v103
	s_or_b64 s[6:7], vcc, s[6:7]
	s_waitcnt vmcnt(0) lgkmcnt(0)
	v_fmac_f32_e32 v102, v105, v106
	s_andn2_b64 exec, exec, s[6:7]
	s_cbranch_execnz .LBB45_323
; %bb.324:
	s_or_b64 exec, exec, s[6:7]
.LBB45_325:
	s_or_b64 exec, exec, s[12:13]
	v_mov_b32_e32 v103, 0
	ds_read_b32 v103, v103 offset:48
	s_waitcnt lgkmcnt(0)
	v_mul_f32_e32 v102, v102, v103
	buffer_store_dword v102, off, s[0:3], 0 offset:48
.LBB45_326:
	s_or_b64 exec, exec, s[10:11]
	buffer_load_dword v102, off, s[0:3], 0 offset:44
	v_cmp_lt_u32_e64 s[6:7], 11, v0
	s_waitcnt vmcnt(0)
	ds_write_b32 v94, v102
	s_waitcnt lgkmcnt(0)
	; wave barrier
	s_waitcnt lgkmcnt(0)
	s_and_saveexec_b64 s[10:11], s[6:7]
	s_cbranch_execz .LBB45_336
; %bb.327:
	s_andn2_b64 vcc, exec, s[8:9]
	s_cbranch_vccnz .LBB45_329
; %bb.328:
	buffer_load_dword v102, v95, s[0:3], 0 offen
	ds_read_b32 v103, v94
	s_waitcnt vmcnt(0) lgkmcnt(0)
	v_mul_f32_e32 v102, v102, v103
	s_cbranch_execz .LBB45_330
	s_branch .LBB45_331
.LBB45_329:
                                        ; implicit-def: $vgpr102
.LBB45_330:
	ds_read_b32 v102, v94
.LBB45_331:
	s_and_saveexec_b64 s[12:13], s[4:5]
	s_cbranch_execz .LBB45_335
; %bb.332:
	v_add_u32_e32 v103, -12, v0
	s_movk_i32 s14, 0xf0
	s_mov_b64 s[4:5], 0
.LBB45_333:                             ; =>This Inner Loop Header: Depth=1
	buffer_load_dword v104, v101, s[0:3], 0 offen
	v_mov_b32_e32 v105, s14
	ds_read_b32 v105, v105
	v_add_u32_e32 v103, -1, v103
	s_add_i32 s14, s14, 4
	v_cmp_eq_u32_e32 vcc, 0, v103
	v_add_u32_e32 v101, 4, v101
	s_or_b64 s[4:5], vcc, s[4:5]
	s_waitcnt vmcnt(0) lgkmcnt(0)
	v_fmac_f32_e32 v102, v104, v105
	s_andn2_b64 exec, exec, s[4:5]
	s_cbranch_execnz .LBB45_333
; %bb.334:
	s_or_b64 exec, exec, s[4:5]
.LBB45_335:
	s_or_b64 exec, exec, s[12:13]
	v_mov_b32_e32 v101, 0
	ds_read_b32 v101, v101 offset:44
	s_waitcnt lgkmcnt(0)
	v_mul_f32_e32 v101, v102, v101
	buffer_store_dword v101, off, s[0:3], 0 offset:44
.LBB45_336:
	s_or_b64 exec, exec, s[10:11]
	buffer_load_dword v101, off, s[0:3], 0 offset:40
	v_cmp_lt_u32_e64 s[4:5], 10, v0
	s_waitcnt vmcnt(0)
	ds_write_b32 v94, v101
	s_waitcnt lgkmcnt(0)
	; wave barrier
	s_waitcnt lgkmcnt(0)
	s_and_saveexec_b64 s[10:11], s[4:5]
	s_cbranch_execz .LBB45_346
; %bb.337:
	s_andn2_b64 vcc, exec, s[8:9]
	s_cbranch_vccnz .LBB45_339
; %bb.338:
	buffer_load_dword v101, v95, s[0:3], 0 offen
	ds_read_b32 v102, v94
	s_waitcnt vmcnt(0) lgkmcnt(0)
	v_mul_f32_e32 v101, v101, v102
	s_cbranch_execz .LBB45_340
	s_branch .LBB45_341
.LBB45_339:
                                        ; implicit-def: $vgpr101
.LBB45_340:
	ds_read_b32 v101, v94
.LBB45_341:
	s_and_saveexec_b64 s[12:13], s[6:7]
	s_cbranch_execz .LBB45_345
; %bb.342:
	v_mov_b32_e32 v102, 0
	v_add_u32_e32 v102, 44, v102
	v_add_u32_e32 v103, -11, v0
	s_movk_i32 s14, 0xec
	s_mov_b64 s[6:7], 0
.LBB45_343:                             ; =>This Inner Loop Header: Depth=1
	buffer_load_dword v104, v102, s[0:3], 0 offen
	v_mov_b32_e32 v105, s14
	ds_read_b32 v105, v105
	v_add_u32_e32 v103, -1, v103
	s_add_i32 s14, s14, 4
	v_cmp_eq_u32_e32 vcc, 0, v103
	v_add_u32_e32 v102, 4, v102
	s_or_b64 s[6:7], vcc, s[6:7]
	s_waitcnt vmcnt(0) lgkmcnt(0)
	v_fmac_f32_e32 v101, v104, v105
	s_andn2_b64 exec, exec, s[6:7]
	s_cbranch_execnz .LBB45_343
; %bb.344:
	s_or_b64 exec, exec, s[6:7]
.LBB45_345:
	s_or_b64 exec, exec, s[12:13]
	v_mov_b32_e32 v102, 0
	ds_read_b32 v102, v102 offset:40
	s_waitcnt lgkmcnt(0)
	v_mul_f32_e32 v101, v101, v102
	buffer_store_dword v101, off, s[0:3], 0 offset:40
.LBB45_346:
	s_or_b64 exec, exec, s[10:11]
	buffer_load_dword v101, off, s[0:3], 0 offset:36
	v_cmp_lt_u32_e64 s[6:7], 9, v0
	s_waitcnt vmcnt(0)
	ds_write_b32 v94, v101
	s_waitcnt lgkmcnt(0)
	; wave barrier
	s_waitcnt lgkmcnt(0)
	s_and_saveexec_b64 s[10:11], s[6:7]
	s_cbranch_execz .LBB45_356
; %bb.347:
	s_andn2_b64 vcc, exec, s[8:9]
	s_cbranch_vccnz .LBB45_349
; %bb.348:
	buffer_load_dword v101, v95, s[0:3], 0 offen
	ds_read_b32 v102, v94
	s_waitcnt vmcnt(0) lgkmcnt(0)
	v_mul_f32_e32 v101, v101, v102
	s_cbranch_execz .LBB45_350
	s_branch .LBB45_351
.LBB45_349:
                                        ; implicit-def: $vgpr101
.LBB45_350:
	ds_read_b32 v101, v94
.LBB45_351:
	s_and_saveexec_b64 s[12:13], s[4:5]
	s_cbranch_execz .LBB45_355
; %bb.352:
	v_add_u32_e32 v102, -10, v0
	s_movk_i32 s14, 0xe8
	s_mov_b64 s[4:5], 0
.LBB45_353:                             ; =>This Inner Loop Header: Depth=1
	buffer_load_dword v103, v100, s[0:3], 0 offen
	v_mov_b32_e32 v104, s14
	ds_read_b32 v104, v104
	v_add_u32_e32 v102, -1, v102
	s_add_i32 s14, s14, 4
	v_cmp_eq_u32_e32 vcc, 0, v102
	v_add_u32_e32 v100, 4, v100
	s_or_b64 s[4:5], vcc, s[4:5]
	s_waitcnt vmcnt(0) lgkmcnt(0)
	v_fmac_f32_e32 v101, v103, v104
	s_andn2_b64 exec, exec, s[4:5]
	s_cbranch_execnz .LBB45_353
; %bb.354:
	s_or_b64 exec, exec, s[4:5]
.LBB45_355:
	s_or_b64 exec, exec, s[12:13]
	v_mov_b32_e32 v100, 0
	ds_read_b32 v100, v100 offset:36
	s_waitcnt lgkmcnt(0)
	v_mul_f32_e32 v100, v101, v100
	buffer_store_dword v100, off, s[0:3], 0 offset:36
.LBB45_356:
	s_or_b64 exec, exec, s[10:11]
	buffer_load_dword v100, off, s[0:3], 0 offset:32
	v_cmp_lt_u32_e64 s[4:5], 8, v0
	s_waitcnt vmcnt(0)
	ds_write_b32 v94, v100
	s_waitcnt lgkmcnt(0)
	; wave barrier
	s_waitcnt lgkmcnt(0)
	s_and_saveexec_b64 s[10:11], s[4:5]
	s_cbranch_execz .LBB45_366
; %bb.357:
	s_andn2_b64 vcc, exec, s[8:9]
	s_cbranch_vccnz .LBB45_359
; %bb.358:
	buffer_load_dword v100, v95, s[0:3], 0 offen
	ds_read_b32 v101, v94
	s_waitcnt vmcnt(0) lgkmcnt(0)
	v_mul_f32_e32 v100, v100, v101
	s_cbranch_execz .LBB45_360
	s_branch .LBB45_361
.LBB45_359:
                                        ; implicit-def: $vgpr100
.LBB45_360:
	ds_read_b32 v100, v94
.LBB45_361:
	s_and_saveexec_b64 s[12:13], s[6:7]
	s_cbranch_execz .LBB45_365
; %bb.362:
	v_mov_b32_e32 v101, 0
	v_add_u32_e32 v101, 36, v101
	v_add_u32_e32 v102, -9, v0
	s_movk_i32 s14, 0xe4
	s_mov_b64 s[6:7], 0
.LBB45_363:                             ; =>This Inner Loop Header: Depth=1
	buffer_load_dword v103, v101, s[0:3], 0 offen
	v_mov_b32_e32 v104, s14
	ds_read_b32 v104, v104
	v_add_u32_e32 v102, -1, v102
	s_add_i32 s14, s14, 4
	v_cmp_eq_u32_e32 vcc, 0, v102
	v_add_u32_e32 v101, 4, v101
	s_or_b64 s[6:7], vcc, s[6:7]
	s_waitcnt vmcnt(0) lgkmcnt(0)
	v_fmac_f32_e32 v100, v103, v104
	s_andn2_b64 exec, exec, s[6:7]
	s_cbranch_execnz .LBB45_363
; %bb.364:
	s_or_b64 exec, exec, s[6:7]
.LBB45_365:
	s_or_b64 exec, exec, s[12:13]
	v_mov_b32_e32 v101, 0
	ds_read_b32 v101, v101 offset:32
	s_waitcnt lgkmcnt(0)
	v_mul_f32_e32 v100, v100, v101
	buffer_store_dword v100, off, s[0:3], 0 offset:32
.LBB45_366:
	s_or_b64 exec, exec, s[10:11]
	buffer_load_dword v100, off, s[0:3], 0 offset:28
	v_cmp_lt_u32_e64 s[6:7], 7, v0
	s_waitcnt vmcnt(0)
	ds_write_b32 v94, v100
	s_waitcnt lgkmcnt(0)
	; wave barrier
	s_waitcnt lgkmcnt(0)
	s_and_saveexec_b64 s[10:11], s[6:7]
	s_cbranch_execz .LBB45_376
; %bb.367:
	s_andn2_b64 vcc, exec, s[8:9]
	s_cbranch_vccnz .LBB45_369
; %bb.368:
	buffer_load_dword v100, v95, s[0:3], 0 offen
	ds_read_b32 v101, v94
	s_waitcnt vmcnt(0) lgkmcnt(0)
	v_mul_f32_e32 v100, v100, v101
	s_cbranch_execz .LBB45_370
	s_branch .LBB45_371
.LBB45_369:
                                        ; implicit-def: $vgpr100
.LBB45_370:
	ds_read_b32 v100, v94
.LBB45_371:
	s_and_saveexec_b64 s[12:13], s[4:5]
	s_cbranch_execz .LBB45_375
; %bb.372:
	v_add_u32_e32 v101, -8, v0
	s_movk_i32 s14, 0xe0
	s_mov_b64 s[4:5], 0
.LBB45_373:                             ; =>This Inner Loop Header: Depth=1
	buffer_load_dword v102, v99, s[0:3], 0 offen
	v_mov_b32_e32 v103, s14
	ds_read_b32 v103, v103
	v_add_u32_e32 v101, -1, v101
	s_add_i32 s14, s14, 4
	v_cmp_eq_u32_e32 vcc, 0, v101
	v_add_u32_e32 v99, 4, v99
	s_or_b64 s[4:5], vcc, s[4:5]
	s_waitcnt vmcnt(0) lgkmcnt(0)
	v_fmac_f32_e32 v100, v102, v103
	s_andn2_b64 exec, exec, s[4:5]
	s_cbranch_execnz .LBB45_373
; %bb.374:
	s_or_b64 exec, exec, s[4:5]
.LBB45_375:
	s_or_b64 exec, exec, s[12:13]
	v_mov_b32_e32 v99, 0
	ds_read_b32 v99, v99 offset:28
	s_waitcnt lgkmcnt(0)
	v_mul_f32_e32 v99, v100, v99
	buffer_store_dword v99, off, s[0:3], 0 offset:28
.LBB45_376:
	s_or_b64 exec, exec, s[10:11]
	buffer_load_dword v99, off, s[0:3], 0 offset:24
	v_cmp_lt_u32_e64 s[4:5], 6, v0
	s_waitcnt vmcnt(0)
	ds_write_b32 v94, v99
	s_waitcnt lgkmcnt(0)
	; wave barrier
	s_waitcnt lgkmcnt(0)
	s_and_saveexec_b64 s[10:11], s[4:5]
	s_cbranch_execz .LBB45_386
; %bb.377:
	s_andn2_b64 vcc, exec, s[8:9]
	s_cbranch_vccnz .LBB45_379
; %bb.378:
	buffer_load_dword v99, v95, s[0:3], 0 offen
	ds_read_b32 v100, v94
	s_waitcnt vmcnt(0) lgkmcnt(0)
	v_mul_f32_e32 v99, v99, v100
	s_cbranch_execz .LBB45_380
	s_branch .LBB45_381
.LBB45_379:
                                        ; implicit-def: $vgpr99
.LBB45_380:
	ds_read_b32 v99, v94
.LBB45_381:
	s_and_saveexec_b64 s[12:13], s[6:7]
	s_cbranch_execz .LBB45_385
; %bb.382:
	v_mov_b32_e32 v100, 0
	v_add_u32_e32 v100, 28, v100
	v_add_u32_e32 v101, -7, v0
	s_movk_i32 s14, 0xdc
	s_mov_b64 s[6:7], 0
.LBB45_383:                             ; =>This Inner Loop Header: Depth=1
	buffer_load_dword v102, v100, s[0:3], 0 offen
	v_mov_b32_e32 v103, s14
	ds_read_b32 v103, v103
	v_add_u32_e32 v101, -1, v101
	s_add_i32 s14, s14, 4
	v_cmp_eq_u32_e32 vcc, 0, v101
	v_add_u32_e32 v100, 4, v100
	s_or_b64 s[6:7], vcc, s[6:7]
	s_waitcnt vmcnt(0) lgkmcnt(0)
	v_fmac_f32_e32 v99, v102, v103
	s_andn2_b64 exec, exec, s[6:7]
	s_cbranch_execnz .LBB45_383
; %bb.384:
	s_or_b64 exec, exec, s[6:7]
.LBB45_385:
	s_or_b64 exec, exec, s[12:13]
	v_mov_b32_e32 v100, 0
	ds_read_b32 v100, v100 offset:24
	s_waitcnt lgkmcnt(0)
	v_mul_f32_e32 v99, v99, v100
	buffer_store_dword v99, off, s[0:3], 0 offset:24
.LBB45_386:
	s_or_b64 exec, exec, s[10:11]
	buffer_load_dword v99, off, s[0:3], 0 offset:20
	v_cmp_lt_u32_e64 s[6:7], 5, v0
	s_waitcnt vmcnt(0)
	ds_write_b32 v94, v99
	s_waitcnt lgkmcnt(0)
	; wave barrier
	s_waitcnt lgkmcnt(0)
	s_and_saveexec_b64 s[10:11], s[6:7]
	s_cbranch_execz .LBB45_396
; %bb.387:
	s_andn2_b64 vcc, exec, s[8:9]
	s_cbranch_vccnz .LBB45_389
; %bb.388:
	buffer_load_dword v99, v95, s[0:3], 0 offen
	ds_read_b32 v100, v94
	s_waitcnt vmcnt(0) lgkmcnt(0)
	v_mul_f32_e32 v99, v99, v100
	s_cbranch_execz .LBB45_390
	s_branch .LBB45_391
.LBB45_389:
                                        ; implicit-def: $vgpr99
.LBB45_390:
	ds_read_b32 v99, v94
.LBB45_391:
	s_and_saveexec_b64 s[12:13], s[4:5]
	s_cbranch_execz .LBB45_395
; %bb.392:
	v_add_u32_e32 v100, -6, v0
	s_movk_i32 s14, 0xd8
	s_mov_b64 s[4:5], 0
.LBB45_393:                             ; =>This Inner Loop Header: Depth=1
	buffer_load_dword v101, v98, s[0:3], 0 offen
	v_mov_b32_e32 v102, s14
	ds_read_b32 v102, v102
	v_add_u32_e32 v100, -1, v100
	s_add_i32 s14, s14, 4
	v_cmp_eq_u32_e32 vcc, 0, v100
	v_add_u32_e32 v98, 4, v98
	s_or_b64 s[4:5], vcc, s[4:5]
	s_waitcnt vmcnt(0) lgkmcnt(0)
	v_fmac_f32_e32 v99, v101, v102
	s_andn2_b64 exec, exec, s[4:5]
	s_cbranch_execnz .LBB45_393
; %bb.394:
	s_or_b64 exec, exec, s[4:5]
.LBB45_395:
	s_or_b64 exec, exec, s[12:13]
	v_mov_b32_e32 v98, 0
	ds_read_b32 v98, v98 offset:20
	s_waitcnt lgkmcnt(0)
	v_mul_f32_e32 v98, v99, v98
	buffer_store_dword v98, off, s[0:3], 0 offset:20
.LBB45_396:
	s_or_b64 exec, exec, s[10:11]
	buffer_load_dword v98, off, s[0:3], 0 offset:16
	v_cmp_lt_u32_e64 s[4:5], 4, v0
	s_waitcnt vmcnt(0)
	ds_write_b32 v94, v98
	s_waitcnt lgkmcnt(0)
	; wave barrier
	s_waitcnt lgkmcnt(0)
	s_and_saveexec_b64 s[10:11], s[4:5]
	s_cbranch_execz .LBB45_406
; %bb.397:
	s_andn2_b64 vcc, exec, s[8:9]
	s_cbranch_vccnz .LBB45_399
; %bb.398:
	buffer_load_dword v98, v95, s[0:3], 0 offen
	ds_read_b32 v99, v94
	s_waitcnt vmcnt(0) lgkmcnt(0)
	v_mul_f32_e32 v98, v98, v99
	s_cbranch_execz .LBB45_400
	s_branch .LBB45_401
.LBB45_399:
                                        ; implicit-def: $vgpr98
.LBB45_400:
	ds_read_b32 v98, v94
.LBB45_401:
	s_and_saveexec_b64 s[12:13], s[6:7]
	s_cbranch_execz .LBB45_405
; %bb.402:
	v_mov_b32_e32 v99, 0
	v_add_u32_e32 v99, 20, v99
	v_add_u32_e32 v100, -5, v0
	s_movk_i32 s14, 0xd4
	s_mov_b64 s[6:7], 0
.LBB45_403:                             ; =>This Inner Loop Header: Depth=1
	buffer_load_dword v101, v99, s[0:3], 0 offen
	v_mov_b32_e32 v102, s14
	ds_read_b32 v102, v102
	v_add_u32_e32 v100, -1, v100
	s_add_i32 s14, s14, 4
	v_cmp_eq_u32_e32 vcc, 0, v100
	v_add_u32_e32 v99, 4, v99
	s_or_b64 s[6:7], vcc, s[6:7]
	s_waitcnt vmcnt(0) lgkmcnt(0)
	v_fmac_f32_e32 v98, v101, v102
	s_andn2_b64 exec, exec, s[6:7]
	s_cbranch_execnz .LBB45_403
; %bb.404:
	s_or_b64 exec, exec, s[6:7]
.LBB45_405:
	s_or_b64 exec, exec, s[12:13]
	v_mov_b32_e32 v99, 0
	ds_read_b32 v99, v99 offset:16
	s_waitcnt lgkmcnt(0)
	v_mul_f32_e32 v98, v98, v99
	buffer_store_dword v98, off, s[0:3], 0 offset:16
.LBB45_406:
	s_or_b64 exec, exec, s[10:11]
	buffer_load_dword v98, off, s[0:3], 0 offset:12
	v_cmp_lt_u32_e64 s[6:7], 3, v0
	s_waitcnt vmcnt(0)
	ds_write_b32 v94, v98
	s_waitcnt lgkmcnt(0)
	; wave barrier
	s_waitcnt lgkmcnt(0)
	s_and_saveexec_b64 s[10:11], s[6:7]
	s_cbranch_execz .LBB45_416
; %bb.407:
	s_andn2_b64 vcc, exec, s[8:9]
	s_cbranch_vccnz .LBB45_409
; %bb.408:
	buffer_load_dword v98, v95, s[0:3], 0 offen
	ds_read_b32 v99, v94
	s_waitcnt vmcnt(0) lgkmcnt(0)
	v_mul_f32_e32 v98, v98, v99
	s_cbranch_execz .LBB45_410
	s_branch .LBB45_411
.LBB45_409:
                                        ; implicit-def: $vgpr98
.LBB45_410:
	ds_read_b32 v98, v94
.LBB45_411:
	s_and_saveexec_b64 s[12:13], s[4:5]
	s_cbranch_execz .LBB45_415
; %bb.412:
	v_add_u32_e32 v99, -4, v0
	s_movk_i32 s14, 0xd0
	s_mov_b64 s[4:5], 0
.LBB45_413:                             ; =>This Inner Loop Header: Depth=1
	buffer_load_dword v100, v97, s[0:3], 0 offen
	v_mov_b32_e32 v101, s14
	ds_read_b32 v101, v101
	v_add_u32_e32 v99, -1, v99
	s_add_i32 s14, s14, 4
	v_cmp_eq_u32_e32 vcc, 0, v99
	v_add_u32_e32 v97, 4, v97
	s_or_b64 s[4:5], vcc, s[4:5]
	s_waitcnt vmcnt(0) lgkmcnt(0)
	v_fmac_f32_e32 v98, v100, v101
	s_andn2_b64 exec, exec, s[4:5]
	s_cbranch_execnz .LBB45_413
; %bb.414:
	s_or_b64 exec, exec, s[4:5]
.LBB45_415:
	s_or_b64 exec, exec, s[12:13]
	v_mov_b32_e32 v97, 0
	ds_read_b32 v97, v97 offset:12
	s_waitcnt lgkmcnt(0)
	v_mul_f32_e32 v97, v98, v97
	buffer_store_dword v97, off, s[0:3], 0 offset:12
.LBB45_416:
	s_or_b64 exec, exec, s[10:11]
	buffer_load_dword v97, off, s[0:3], 0 offset:8
	v_cmp_lt_u32_e64 s[4:5], 2, v0
	s_waitcnt vmcnt(0)
	ds_write_b32 v94, v97
	s_waitcnt lgkmcnt(0)
	; wave barrier
	s_waitcnt lgkmcnt(0)
	s_and_saveexec_b64 s[10:11], s[4:5]
	s_cbranch_execz .LBB45_426
; %bb.417:
	s_andn2_b64 vcc, exec, s[8:9]
	s_cbranch_vccnz .LBB45_419
; %bb.418:
	buffer_load_dword v97, v95, s[0:3], 0 offen
	ds_read_b32 v98, v94
	s_waitcnt vmcnt(0) lgkmcnt(0)
	v_mul_f32_e32 v97, v97, v98
	s_cbranch_execz .LBB45_420
	s_branch .LBB45_421
.LBB45_419:
                                        ; implicit-def: $vgpr97
.LBB45_420:
	ds_read_b32 v97, v94
.LBB45_421:
	s_and_saveexec_b64 s[12:13], s[6:7]
	s_cbranch_execz .LBB45_425
; %bb.422:
	v_mov_b32_e32 v98, 0
	v_or_b32_e32 v98, 12, v98
	v_add_u32_e32 v99, -3, v0
	s_movk_i32 s14, 0xcc
	s_mov_b64 s[6:7], 0
.LBB45_423:                             ; =>This Inner Loop Header: Depth=1
	buffer_load_dword v100, v98, s[0:3], 0 offen
	v_mov_b32_e32 v101, s14
	ds_read_b32 v101, v101
	v_add_u32_e32 v99, -1, v99
	s_add_i32 s14, s14, 4
	v_cmp_eq_u32_e32 vcc, 0, v99
	v_add_u32_e32 v98, 4, v98
	s_or_b64 s[6:7], vcc, s[6:7]
	s_waitcnt vmcnt(0) lgkmcnt(0)
	v_fmac_f32_e32 v97, v100, v101
	s_andn2_b64 exec, exec, s[6:7]
	s_cbranch_execnz .LBB45_423
; %bb.424:
	s_or_b64 exec, exec, s[6:7]
.LBB45_425:
	s_or_b64 exec, exec, s[12:13]
	v_mov_b32_e32 v98, 0
	ds_read_b32 v98, v98 offset:8
	s_waitcnt lgkmcnt(0)
	v_mul_f32_e32 v97, v97, v98
	buffer_store_dword v97, off, s[0:3], 0 offset:8
.LBB45_426:
	s_or_b64 exec, exec, s[10:11]
	buffer_load_dword v97, off, s[0:3], 0 offset:4
	v_cmp_lt_u32_e64 s[6:7], 1, v0
	s_waitcnt vmcnt(0)
	ds_write_b32 v94, v97
	s_waitcnt lgkmcnt(0)
	; wave barrier
	s_waitcnt lgkmcnt(0)
	s_and_saveexec_b64 s[10:11], s[6:7]
	s_cbranch_execz .LBB45_436
; %bb.427:
	s_andn2_b64 vcc, exec, s[8:9]
	s_cbranch_vccnz .LBB45_429
; %bb.428:
	buffer_load_dword v97, v95, s[0:3], 0 offen
	ds_read_b32 v98, v94
	s_waitcnt vmcnt(0) lgkmcnt(0)
	v_mul_f32_e32 v97, v97, v98
	s_cbranch_execz .LBB45_430
	s_branch .LBB45_431
.LBB45_429:
                                        ; implicit-def: $vgpr97
.LBB45_430:
	ds_read_b32 v97, v94
.LBB45_431:
	s_and_saveexec_b64 s[12:13], s[4:5]
	s_cbranch_execz .LBB45_435
; %bb.432:
	v_add_u32_e32 v98, -2, v0
	s_movk_i32 s14, 0xc8
	s_mov_b64 s[4:5], 0
.LBB45_433:                             ; =>This Inner Loop Header: Depth=1
	buffer_load_dword v99, v96, s[0:3], 0 offen
	v_mov_b32_e32 v100, s14
	ds_read_b32 v100, v100
	v_add_u32_e32 v98, -1, v98
	s_add_i32 s14, s14, 4
	v_cmp_eq_u32_e32 vcc, 0, v98
	v_add_u32_e32 v96, 4, v96
	s_or_b64 s[4:5], vcc, s[4:5]
	s_waitcnt vmcnt(0) lgkmcnt(0)
	v_fmac_f32_e32 v97, v99, v100
	s_andn2_b64 exec, exec, s[4:5]
	s_cbranch_execnz .LBB45_433
; %bb.434:
	s_or_b64 exec, exec, s[4:5]
.LBB45_435:
	s_or_b64 exec, exec, s[12:13]
	v_mov_b32_e32 v96, 0
	ds_read_b32 v96, v96 offset:4
	s_waitcnt lgkmcnt(0)
	v_mul_f32_e32 v96, v97, v96
	buffer_store_dword v96, off, s[0:3], 0 offset:4
.LBB45_436:
	s_or_b64 exec, exec, s[10:11]
	buffer_load_dword v96, off, s[0:3], 0
	v_cmp_ne_u32_e32 vcc, 0, v0
	s_waitcnt vmcnt(0)
	ds_write_b32 v94, v96
	s_waitcnt lgkmcnt(0)
	; wave barrier
	s_waitcnt lgkmcnt(0)
	s_and_saveexec_b64 s[4:5], vcc
	s_cbranch_execz .LBB45_446
; %bb.437:
	s_andn2_b64 vcc, exec, s[8:9]
	s_cbranch_vccnz .LBB45_439
; %bb.438:
	buffer_load_dword v96, v95, s[0:3], 0 offen
	ds_read_b32 v97, v94
	s_waitcnt vmcnt(0) lgkmcnt(0)
	v_mul_f32_e32 v96, v96, v97
	s_cbranch_execz .LBB45_440
	s_branch .LBB45_441
.LBB45_439:
                                        ; implicit-def: $vgpr96
.LBB45_440:
	ds_read_b32 v96, v94
.LBB45_441:
	s_and_saveexec_b64 s[10:11], s[6:7]
	s_cbranch_execz .LBB45_445
; %bb.442:
	v_mov_b32_e32 v97, 0
	v_or_b32_e32 v97, 4, v97
	v_add_u32_e32 v98, -1, v0
	s_movk_i32 s12, 0xc4
	s_mov_b64 s[6:7], 0
.LBB45_443:                             ; =>This Inner Loop Header: Depth=1
	buffer_load_dword v99, v97, s[0:3], 0 offen
	v_mov_b32_e32 v100, s12
	ds_read_b32 v100, v100
	v_add_u32_e32 v98, -1, v98
	s_add_i32 s12, s12, 4
	v_cmp_eq_u32_e32 vcc, 0, v98
	v_add_u32_e32 v97, 4, v97
	s_or_b64 s[6:7], vcc, s[6:7]
	s_waitcnt vmcnt(0) lgkmcnt(0)
	v_fmac_f32_e32 v96, v99, v100
	s_andn2_b64 exec, exec, s[6:7]
	s_cbranch_execnz .LBB45_443
; %bb.444:
	s_or_b64 exec, exec, s[6:7]
.LBB45_445:
	s_or_b64 exec, exec, s[10:11]
	v_mov_b32_e32 v97, 0
	ds_read_b32 v97, v97
	s_waitcnt lgkmcnt(0)
	v_mul_f32_e32 v96, v96, v97
	buffer_store_dword v96, off, s[0:3], 0
.LBB45_446:
	s_or_b64 exec, exec, s[4:5]
	s_mov_b64 s[4:5], 0
.LBB45_447:
	s_and_b64 vcc, exec, s[4:5]
	s_cbranch_vccz .LBB45_891
; %bb.448:
	buffer_load_dword v96, off, s[0:3], 0 offset:4
	v_cmp_eq_u32_e64 s[6:7], 0, v0
	s_waitcnt vmcnt(0)
	ds_write_b32 v94, v96
	s_waitcnt lgkmcnt(0)
	; wave barrier
	s_waitcnt lgkmcnt(0)
	s_and_saveexec_b64 s[4:5], s[6:7]
	s_cbranch_execz .LBB45_454
; %bb.449:
	s_and_b64 vcc, exec, s[8:9]
	s_cbranch_vccz .LBB45_451
; %bb.450:
	buffer_load_dword v96, v95, s[0:3], 0 offen
	ds_read_b32 v97, v94
	s_waitcnt vmcnt(0) lgkmcnt(0)
	v_mul_f32_e32 v96, v96, v97
	s_cbranch_execz .LBB45_452
	s_branch .LBB45_453
.LBB45_451:
                                        ; implicit-def: $vgpr96
.LBB45_452:
	ds_read_b32 v96, v94
.LBB45_453:
	v_mov_b32_e32 v97, 0
	ds_read_b32 v97, v97 offset:4
	s_waitcnt lgkmcnt(0)
	v_mul_f32_e32 v96, v96, v97
	buffer_store_dword v96, off, s[0:3], 0 offset:4
.LBB45_454:
	s_or_b64 exec, exec, s[4:5]
	buffer_load_dword v96, off, s[0:3], 0 offset:8
	v_cndmask_b32_e64 v97, 0, 1, s[8:9]
	v_cmp_gt_u32_e32 vcc, 2, v0
	v_cmp_ne_u32_e64 s[4:5], 1, v97
	s_waitcnt vmcnt(0)
	ds_write_b32 v94, v96
	s_waitcnt lgkmcnt(0)
	; wave barrier
	s_waitcnt lgkmcnt(0)
	s_and_saveexec_b64 s[8:9], vcc
	s_cbranch_execz .LBB45_462
; %bb.455:
	s_and_b64 vcc, exec, s[4:5]
	s_cbranch_vccnz .LBB45_457
; %bb.456:
	buffer_load_dword v96, v95, s[0:3], 0 offen
	ds_read_b32 v97, v94
	s_waitcnt vmcnt(0) lgkmcnt(0)
	v_mul_f32_e32 v96, v96, v97
	s_cbranch_execz .LBB45_458
	s_branch .LBB45_459
.LBB45_457:
                                        ; implicit-def: $vgpr96
.LBB45_458:
	ds_read_b32 v96, v94
.LBB45_459:
	s_and_saveexec_b64 s[10:11], s[6:7]
	s_cbranch_execz .LBB45_461
; %bb.460:
	buffer_load_dword v97, v95, s[0:3], 0 offen offset:4
	ds_read_b32 v98, v94 offset:4
	s_waitcnt vmcnt(0) lgkmcnt(0)
	v_fmac_f32_e32 v96, v97, v98
.LBB45_461:
	s_or_b64 exec, exec, s[10:11]
	v_mov_b32_e32 v97, 0
	ds_read_b32 v97, v97 offset:8
	s_waitcnt lgkmcnt(0)
	v_mul_f32_e32 v96, v96, v97
	buffer_store_dword v96, off, s[0:3], 0 offset:8
.LBB45_462:
	s_or_b64 exec, exec, s[8:9]
	buffer_load_dword v96, off, s[0:3], 0 offset:12
	v_cmp_gt_u32_e32 vcc, 3, v0
	s_waitcnt vmcnt(0)
	ds_write_b32 v94, v96
	s_waitcnt lgkmcnt(0)
	; wave barrier
	s_waitcnt lgkmcnt(0)
	s_and_saveexec_b64 s[8:9], vcc
	s_cbranch_execz .LBB45_470
; %bb.463:
	s_and_b64 vcc, exec, s[4:5]
	s_cbranch_vccnz .LBB45_465
; %bb.464:
	buffer_load_dword v96, v95, s[0:3], 0 offen
	ds_read_b32 v97, v94
	s_waitcnt vmcnt(0) lgkmcnt(0)
	v_mul_f32_e32 v96, v96, v97
	s_cbranch_execz .LBB45_466
	s_branch .LBB45_467
.LBB45_465:
                                        ; implicit-def: $vgpr96
.LBB45_466:
	ds_read_b32 v96, v94
.LBB45_467:
	v_cmp_ne_u32_e32 vcc, 2, v0
	s_and_saveexec_b64 s[10:11], vcc
	s_cbranch_execz .LBB45_469
; %bb.468:
	buffer_load_dword v97, v95, s[0:3], 0 offen offset:4
	buffer_load_dword v98, off, s[0:3], 0 offset:8
	v_mov_b32_e32 v99, 0
	ds_read_b32 v100, v94 offset:4
	ds_read_b32 v99, v99 offset:200
	s_waitcnt vmcnt(1) lgkmcnt(1)
	v_fmac_f32_e32 v96, v97, v100
	s_waitcnt vmcnt(0) lgkmcnt(0)
	v_fma_f32 v97, v98, v99, v96
	v_cndmask_b32_e64 v96, v96, v97, s[6:7]
.LBB45_469:
	s_or_b64 exec, exec, s[10:11]
	v_mov_b32_e32 v97, 0
	ds_read_b32 v97, v97 offset:12
	s_waitcnt lgkmcnt(0)
	v_mul_f32_e32 v96, v96, v97
	buffer_store_dword v96, off, s[0:3], 0 offset:12
.LBB45_470:
	s_or_b64 exec, exec, s[8:9]
	buffer_load_dword v96, off, s[0:3], 0 offset:16
	v_cmp_gt_u32_e32 vcc, 4, v0
	s_waitcnt vmcnt(0)
	ds_write_b32 v94, v96
	s_waitcnt lgkmcnt(0)
	; wave barrier
	s_waitcnt lgkmcnt(0)
	s_and_saveexec_b64 s[6:7], vcc
	s_cbranch_execz .LBB45_480
; %bb.471:
	s_and_b64 vcc, exec, s[4:5]
	s_cbranch_vccnz .LBB45_473
; %bb.472:
	buffer_load_dword v96, v95, s[0:3], 0 offen
	ds_read_b32 v97, v94
	s_waitcnt vmcnt(0) lgkmcnt(0)
	v_mul_f32_e32 v96, v96, v97
	s_cbranch_execz .LBB45_474
	s_branch .LBB45_475
.LBB45_473:
                                        ; implicit-def: $vgpr96
.LBB45_474:
	ds_read_b32 v96, v94
.LBB45_475:
	v_cmp_ne_u32_e32 vcc, 3, v0
	s_and_saveexec_b64 s[8:9], vcc
	s_cbranch_execz .LBB45_479
; %bb.476:
	v_mov_b32_e32 v98, 0
	v_add_u32_e32 v97, 0xc4, v1
	v_add3_u32 v98, v1, v98, 4
	s_mov_b64 s[10:11], 0
	v_mov_b32_e32 v99, v0
.LBB45_477:                             ; =>This Inner Loop Header: Depth=1
	buffer_load_dword v100, v98, s[0:3], 0 offen
	ds_read_b32 v101, v97
	v_add_u32_e32 v99, 1, v99
	v_cmp_lt_u32_e32 vcc, 2, v99
	v_add_u32_e32 v97, 4, v97
	v_add_u32_e32 v98, 4, v98
	s_or_b64 s[10:11], vcc, s[10:11]
	s_waitcnt vmcnt(0) lgkmcnt(0)
	v_fmac_f32_e32 v96, v100, v101
	s_andn2_b64 exec, exec, s[10:11]
	s_cbranch_execnz .LBB45_477
; %bb.478:
	s_or_b64 exec, exec, s[10:11]
.LBB45_479:
	s_or_b64 exec, exec, s[8:9]
	v_mov_b32_e32 v97, 0
	ds_read_b32 v97, v97 offset:16
	s_waitcnt lgkmcnt(0)
	v_mul_f32_e32 v96, v96, v97
	buffer_store_dword v96, off, s[0:3], 0 offset:16
.LBB45_480:
	s_or_b64 exec, exec, s[6:7]
	buffer_load_dword v96, off, s[0:3], 0 offset:20
	v_cmp_gt_u32_e32 vcc, 5, v0
	s_waitcnt vmcnt(0)
	ds_write_b32 v94, v96
	s_waitcnt lgkmcnt(0)
	; wave barrier
	s_waitcnt lgkmcnt(0)
	s_and_saveexec_b64 s[6:7], vcc
	s_cbranch_execz .LBB45_490
; %bb.481:
	s_and_b64 vcc, exec, s[4:5]
	s_cbranch_vccnz .LBB45_483
; %bb.482:
	buffer_load_dword v96, v95, s[0:3], 0 offen
	ds_read_b32 v97, v94
	s_waitcnt vmcnt(0) lgkmcnt(0)
	v_mul_f32_e32 v96, v96, v97
	s_cbranch_execz .LBB45_484
	s_branch .LBB45_485
.LBB45_483:
                                        ; implicit-def: $vgpr96
.LBB45_484:
	ds_read_b32 v96, v94
.LBB45_485:
	v_cmp_ne_u32_e32 vcc, 4, v0
	s_and_saveexec_b64 s[8:9], vcc
	s_cbranch_execz .LBB45_489
; %bb.486:
	v_mov_b32_e32 v98, 0
	v_add_u32_e32 v97, 0xc4, v1
	v_add3_u32 v98, v1, v98, 4
	s_mov_b64 s[10:11], 0
	v_mov_b32_e32 v99, v0
.LBB45_487:                             ; =>This Inner Loop Header: Depth=1
	buffer_load_dword v100, v98, s[0:3], 0 offen
	ds_read_b32 v101, v97
	v_add_u32_e32 v99, 1, v99
	v_cmp_lt_u32_e32 vcc, 3, v99
	v_add_u32_e32 v97, 4, v97
	v_add_u32_e32 v98, 4, v98
	s_or_b64 s[10:11], vcc, s[10:11]
	s_waitcnt vmcnt(0) lgkmcnt(0)
	v_fmac_f32_e32 v96, v100, v101
	s_andn2_b64 exec, exec, s[10:11]
	s_cbranch_execnz .LBB45_487
; %bb.488:
	s_or_b64 exec, exec, s[10:11]
.LBB45_489:
	s_or_b64 exec, exec, s[8:9]
	v_mov_b32_e32 v97, 0
	ds_read_b32 v97, v97 offset:20
	s_waitcnt lgkmcnt(0)
	v_mul_f32_e32 v96, v96, v97
	buffer_store_dword v96, off, s[0:3], 0 offset:20
.LBB45_490:
	;; [unrolled: 56-line block ×40, first 2 shown]
	s_or_b64 exec, exec, s[6:7]
	buffer_load_dword v96, off, s[0:3], 0 offset:176
	v_cmp_gt_u32_e64 s[6:7], 44, v0
	s_waitcnt vmcnt(0)
	ds_write_b32 v94, v96
	s_waitcnt lgkmcnt(0)
	; wave barrier
	s_waitcnt lgkmcnt(0)
	s_and_saveexec_b64 s[8:9], s[6:7]
	s_cbranch_execz .LBB45_880
; %bb.871:
	s_and_b64 vcc, exec, s[4:5]
	s_cbranch_vccnz .LBB45_873
; %bb.872:
	buffer_load_dword v96, v95, s[0:3], 0 offen
	ds_read_b32 v97, v94
	s_waitcnt vmcnt(0) lgkmcnt(0)
	v_mul_f32_e32 v96, v96, v97
	s_cbranch_execz .LBB45_874
	s_branch .LBB45_875
.LBB45_873:
                                        ; implicit-def: $vgpr96
.LBB45_874:
	ds_read_b32 v96, v94
.LBB45_875:
	v_cmp_ne_u32_e32 vcc, 43, v0
	s_and_saveexec_b64 s[10:11], vcc
	s_cbranch_execz .LBB45_879
; %bb.876:
	v_mov_b32_e32 v98, 0
	v_add_u32_e32 v97, 0xc4, v1
	v_add3_u32 v98, v1, v98, 4
	s_mov_b64 s[12:13], 0
	v_mov_b32_e32 v99, v0
.LBB45_877:                             ; =>This Inner Loop Header: Depth=1
	buffer_load_dword v100, v98, s[0:3], 0 offen
	ds_read_b32 v101, v97
	v_add_u32_e32 v99, 1, v99
	v_cmp_lt_u32_e32 vcc, 42, v99
	v_add_u32_e32 v97, 4, v97
	v_add_u32_e32 v98, 4, v98
	s_or_b64 s[12:13], vcc, s[12:13]
	s_waitcnt vmcnt(0) lgkmcnt(0)
	v_fmac_f32_e32 v96, v100, v101
	s_andn2_b64 exec, exec, s[12:13]
	s_cbranch_execnz .LBB45_877
; %bb.878:
	s_or_b64 exec, exec, s[12:13]
.LBB45_879:
	s_or_b64 exec, exec, s[10:11]
	v_mov_b32_e32 v97, 0
	ds_read_b32 v97, v97 offset:176
	s_waitcnt lgkmcnt(0)
	v_mul_f32_e32 v96, v96, v97
	buffer_store_dword v96, off, s[0:3], 0 offset:176
.LBB45_880:
	s_or_b64 exec, exec, s[8:9]
	buffer_load_dword v96, off, s[0:3], 0 offset:180
	v_cmp_ne_u32_e32 vcc, 45, v0
	s_waitcnt vmcnt(0)
	ds_write_b32 v94, v96
	s_waitcnt lgkmcnt(0)
	; wave barrier
	s_waitcnt lgkmcnt(0)
	s_and_saveexec_b64 s[8:9], vcc
	s_cbranch_execz .LBB45_890
; %bb.881:
	s_and_b64 vcc, exec, s[4:5]
	s_cbranch_vccnz .LBB45_883
; %bb.882:
	buffer_load_dword v95, v95, s[0:3], 0 offen
	ds_read_b32 v96, v94
	s_waitcnt vmcnt(0) lgkmcnt(0)
	v_mul_f32_e32 v95, v95, v96
	s_cbranch_execz .LBB45_884
	s_branch .LBB45_885
.LBB45_883:
                                        ; implicit-def: $vgpr95
.LBB45_884:
	ds_read_b32 v95, v94
.LBB45_885:
	s_and_saveexec_b64 s[4:5], s[6:7]
	s_cbranch_execz .LBB45_889
; %bb.886:
	v_mov_b32_e32 v96, 0
	v_add_u32_e32 v94, 0xc4, v1
	v_add3_u32 v1, v1, v96, 4
	s_mov_b64 s[6:7], 0
.LBB45_887:                             ; =>This Inner Loop Header: Depth=1
	buffer_load_dword v96, v1, s[0:3], 0 offen
	ds_read_b32 v97, v94
	v_add_u32_e32 v0, 1, v0
	v_cmp_lt_u32_e32 vcc, 43, v0
	v_add_u32_e32 v94, 4, v94
	v_add_u32_e32 v1, 4, v1
	s_or_b64 s[6:7], vcc, s[6:7]
	s_waitcnt vmcnt(0) lgkmcnt(0)
	v_fmac_f32_e32 v95, v96, v97
	s_andn2_b64 exec, exec, s[6:7]
	s_cbranch_execnz .LBB45_887
; %bb.888:
	s_or_b64 exec, exec, s[6:7]
.LBB45_889:
	s_or_b64 exec, exec, s[4:5]
	v_mov_b32_e32 v0, 0
	ds_read_b32 v0, v0 offset:180
	s_waitcnt lgkmcnt(0)
	v_mul_f32_e32 v0, v95, v0
	buffer_store_dword v0, off, s[0:3], 0 offset:180
.LBB45_890:
	s_or_b64 exec, exec, s[8:9]
.LBB45_891:
	buffer_load_dword v0, off, s[0:3], 0
	buffer_load_dword v1, off, s[0:3], 0 offset:4
	buffer_load_dword v94, off, s[0:3], 0 offset:8
	;; [unrolled: 1-line block ×31, first 2 shown]
	s_waitcnt vmcnt(31)
	global_store_dword v[76:77], v0, off
	s_waitcnt vmcnt(31)
	global_store_dword v[80:81], v1, off
	;; [unrolled: 2-line block ×3, first 2 shown]
	buffer_load_dword v0, off, s[0:3], 0 offset:128
	buffer_load_dword v1, off, s[0:3], 0 offset:132
	s_nop 0
	buffer_load_dword v4, off, s[0:3], 0 offset:136
	buffer_load_dword v5, off, s[0:3], 0 offset:140
	;; [unrolled: 1-line block ×6, first 2 shown]
	s_waitcnt vmcnt(39)
	global_store_dword v[2:3], v95, off
	s_waitcnt vmcnt(39)
	global_store_dword v[8:9], v96, off
	buffer_load_dword v2, off, s[0:3], 0 offset:160
	buffer_load_dword v3, off, s[0:3], 0 offset:164
	s_nop 0
	buffer_load_dword v8, off, s[0:3], 0 offset:168
	buffer_load_dword v9, off, s[0:3], 0 offset:172
	;; [unrolled: 1-line block ×4, first 2 shown]
	s_waitcnt vmcnt(45)
	global_store_dword v[6:7], v97, off
	s_waitcnt vmcnt(45)
	global_store_dword v[10:11], v98, off
	;; [unrolled: 2-line block ×41, first 2 shown]
.LBB45_892:
	s_endpgm
	.section	.rodata,"a",@progbits
	.p2align	6, 0x0
	.amdhsa_kernel _ZN9rocsolver6v33100L18trti2_kernel_smallILi46EfPfEEv13rocblas_fill_17rocblas_diagonal_T1_iil
		.amdhsa_group_segment_fixed_size 376
		.amdhsa_private_segment_fixed_size 192
		.amdhsa_kernarg_size 32
		.amdhsa_user_sgpr_count 8
		.amdhsa_user_sgpr_private_segment_buffer 1
		.amdhsa_user_sgpr_dispatch_ptr 0
		.amdhsa_user_sgpr_queue_ptr 0
		.amdhsa_user_sgpr_kernarg_segment_ptr 1
		.amdhsa_user_sgpr_dispatch_id 0
		.amdhsa_user_sgpr_flat_scratch_init 1
		.amdhsa_user_sgpr_kernarg_preload_length 0
		.amdhsa_user_sgpr_kernarg_preload_offset 0
		.amdhsa_user_sgpr_private_segment_size 0
		.amdhsa_uses_dynamic_stack 0
		.amdhsa_system_sgpr_private_segment_wavefront_offset 1
		.amdhsa_system_sgpr_workgroup_id_x 1
		.amdhsa_system_sgpr_workgroup_id_y 0
		.amdhsa_system_sgpr_workgroup_id_z 0
		.amdhsa_system_sgpr_workgroup_info 0
		.amdhsa_system_vgpr_workitem_id 0
		.amdhsa_next_free_vgpr 124
		.amdhsa_next_free_sgpr 20
		.amdhsa_accum_offset 124
		.amdhsa_reserve_vcc 1
		.amdhsa_reserve_flat_scratch 0
		.amdhsa_float_round_mode_32 0
		.amdhsa_float_round_mode_16_64 0
		.amdhsa_float_denorm_mode_32 3
		.amdhsa_float_denorm_mode_16_64 3
		.amdhsa_dx10_clamp 1
		.amdhsa_ieee_mode 1
		.amdhsa_fp16_overflow 0
		.amdhsa_tg_split 0
		.amdhsa_exception_fp_ieee_invalid_op 0
		.amdhsa_exception_fp_denorm_src 0
		.amdhsa_exception_fp_ieee_div_zero 0
		.amdhsa_exception_fp_ieee_overflow 0
		.amdhsa_exception_fp_ieee_underflow 0
		.amdhsa_exception_fp_ieee_inexact 0
		.amdhsa_exception_int_div_zero 0
	.end_amdhsa_kernel
	.section	.text._ZN9rocsolver6v33100L18trti2_kernel_smallILi46EfPfEEv13rocblas_fill_17rocblas_diagonal_T1_iil,"axG",@progbits,_ZN9rocsolver6v33100L18trti2_kernel_smallILi46EfPfEEv13rocblas_fill_17rocblas_diagonal_T1_iil,comdat
.Lfunc_end45:
	.size	_ZN9rocsolver6v33100L18trti2_kernel_smallILi46EfPfEEv13rocblas_fill_17rocblas_diagonal_T1_iil, .Lfunc_end45-_ZN9rocsolver6v33100L18trti2_kernel_smallILi46EfPfEEv13rocblas_fill_17rocblas_diagonal_T1_iil
                                        ; -- End function
	.section	.AMDGPU.csdata,"",@progbits
; Kernel info:
; codeLenInByte = 22476
; NumSgprs: 24
; NumVgprs: 124
; NumAgprs: 0
; TotalNumVgprs: 124
; ScratchSize: 192
; MemoryBound: 0
; FloatMode: 240
; IeeeMode: 1
; LDSByteSize: 376 bytes/workgroup (compile time only)
; SGPRBlocks: 2
; VGPRBlocks: 15
; NumSGPRsForWavesPerEU: 24
; NumVGPRsForWavesPerEU: 124
; AccumOffset: 124
; Occupancy: 4
; WaveLimiterHint : 0
; COMPUTE_PGM_RSRC2:SCRATCH_EN: 1
; COMPUTE_PGM_RSRC2:USER_SGPR: 8
; COMPUTE_PGM_RSRC2:TRAP_HANDLER: 0
; COMPUTE_PGM_RSRC2:TGID_X_EN: 1
; COMPUTE_PGM_RSRC2:TGID_Y_EN: 0
; COMPUTE_PGM_RSRC2:TGID_Z_EN: 0
; COMPUTE_PGM_RSRC2:TIDIG_COMP_CNT: 0
; COMPUTE_PGM_RSRC3_GFX90A:ACCUM_OFFSET: 30
; COMPUTE_PGM_RSRC3_GFX90A:TG_SPLIT: 0
	.section	.text._ZN9rocsolver6v33100L18trti2_kernel_smallILi47EfPfEEv13rocblas_fill_17rocblas_diagonal_T1_iil,"axG",@progbits,_ZN9rocsolver6v33100L18trti2_kernel_smallILi47EfPfEEv13rocblas_fill_17rocblas_diagonal_T1_iil,comdat
	.globl	_ZN9rocsolver6v33100L18trti2_kernel_smallILi47EfPfEEv13rocblas_fill_17rocblas_diagonal_T1_iil ; -- Begin function _ZN9rocsolver6v33100L18trti2_kernel_smallILi47EfPfEEv13rocblas_fill_17rocblas_diagonal_T1_iil
	.p2align	8
	.type	_ZN9rocsolver6v33100L18trti2_kernel_smallILi47EfPfEEv13rocblas_fill_17rocblas_diagonal_T1_iil,@function
_ZN9rocsolver6v33100L18trti2_kernel_smallILi47EfPfEEv13rocblas_fill_17rocblas_diagonal_T1_iil: ; @_ZN9rocsolver6v33100L18trti2_kernel_smallILi47EfPfEEv13rocblas_fill_17rocblas_diagonal_T1_iil
; %bb.0:
	s_add_u32 s0, s0, s9
	s_addc_u32 s1, s1, 0
	v_cmp_gt_u32_e32 vcc, 47, v0
	s_and_saveexec_b64 s[6:7], vcc
	s_cbranch_execz .LBB46_912
; %bb.1:
	s_load_dwordx8 s[12:19], s[4:5], 0x0
	s_ashr_i32 s6, s8, 31
	s_waitcnt lgkmcnt(0)
	s_mul_i32 s7, s8, s19
	s_mul_hi_u32 s9, s8, s18
	s_add_i32 s7, s9, s7
	s_mul_i32 s6, s6, s18
	s_add_i32 s7, s7, s6
	s_mul_i32 s6, s8, s18
	s_ashr_i32 s5, s16, 31
	s_lshl_b64 s[6:7], s[6:7], 2
	s_mov_b32 s4, s16
	s_add_u32 s6, s14, s6
	s_addc_u32 s7, s15, s7
	s_lshl_b64 s[4:5], s[4:5], 2
	s_add_u32 s4, s6, s4
	s_addc_u32 s5, s7, s5
	s_add_i32 s6, s17, s17
	v_add_u32_e32 v4, s6, v0
	v_ashrrev_i32_e32 v5, 31, v4
	v_lshlrev_b64 v[2:3], 2, v[4:5]
	v_add_u32_e32 v4, s17, v4
	v_mov_b32_e32 v1, s5
	v_add_co_u32_e32 v2, vcc, s4, v2
	v_ashrrev_i32_e32 v5, 31, v4
	v_addc_co_u32_e32 v3, vcc, v1, v3, vcc
	v_lshlrev_b64 v[6:7], 2, v[4:5]
	v_add_u32_e32 v8, s17, v4
	v_add_co_u32_e32 v6, vcc, s4, v6
	v_ashrrev_i32_e32 v9, 31, v8
	v_addc_co_u32_e32 v7, vcc, v1, v7, vcc
	v_lshlrev_b64 v[4:5], 2, v[8:9]
	v_add_u32_e32 v8, s17, v8
	;; [unrolled: 5-line block ×34, first 2 shown]
	v_add_co_u32_e32 v70, vcc, s4, v70
	v_ashrrev_i32_e32 v75, 31, v74
	v_addc_co_u32_e32 v71, vcc, v1, v71, vcc
	v_lshlrev_b64 v[72:73], 2, v[74:75]
	v_add_co_u32_e32 v72, vcc, s4, v72
	v_add_u32_e32 v76, s17, v74
	v_addc_co_u32_e32 v73, vcc, v1, v73, vcc
	v_ashrrev_i32_e32 v77, 31, v76
	v_lshlrev_b32_e32 v1, 2, v0
	v_lshlrev_b64 v[74:75], 2, v[76:77]
	v_mov_b32_e32 v77, s5
	v_add_co_u32_e32 v84, vcc, s4, v1
	s_ashr_i32 s7, s17, 31
	s_mov_b32 s6, s17
	v_addc_co_u32_e32 v85, vcc, 0, v77, vcc
	s_lshl_b64 s[6:7], s[6:7], 2
	v_mov_b32_e32 v77, s7
	v_add_co_u32_e32 v82, vcc, s6, v84
	v_addc_co_u32_e32 v83, vcc, v85, v77, vcc
	global_load_dword v96, v1, s[4:5]
	global_load_dword v97, v[82:83], off
	global_load_dword v98, v[4:5], off
	global_load_dword v99, v[10:11], off
	global_load_dword v100, v[8:9], off
	global_load_dword v101, v[12:13], off
	global_load_dword v102, v[14:15], off
	global_load_dword v103, v[6:7], off
	global_load_dword v104, v[2:3], off
	global_load_dword v105, v[16:17], off
	global_load_dword v106, v[22:23], off
	global_load_dword v107, v[24:25], off
	global_load_dword v108, v[26:27], off
	global_load_dword v109, v[28:29], off
	global_load_dword v110, v[30:31], off
	global_load_dword v111, v[20:21], off
	global_load_dword v112, v[18:19], off
	global_load_dword v113, v[32:33], off
	global_load_dword v114, v[34:35], off
	v_mov_b32_e32 v78, s5
	v_add_co_u32_e32 v74, vcc, s4, v74
	v_addc_co_u32_e32 v75, vcc, v78, v75, vcc
	v_add_u32_e32 v78, s17, v76
	v_ashrrev_i32_e32 v79, 31, v78
	v_lshlrev_b64 v[76:77], 2, v[78:79]
	v_mov_b32_e32 v80, s5
	v_add_co_u32_e32 v76, vcc, s4, v76
	v_addc_co_u32_e32 v77, vcc, v80, v77, vcc
	v_add_u32_e32 v80, s17, v78
	v_ashrrev_i32_e32 v81, 31, v80
	v_lshlrev_b64 v[78:79], 2, v[80:81]
	;; [unrolled: 6-line block ×7, first 2 shown]
	v_add_u32_e32 v94, s17, v94
	v_mov_b32_e32 v115, s5
	v_add_co_u32_e32 v92, vcc, s4, v92
	v_ashrrev_i32_e32 v95, 31, v94
	v_addc_co_u32_e32 v93, vcc, v115, v93, vcc
	v_lshlrev_b64 v[94:95], 2, v[94:95]
	v_add_co_u32_e32 v94, vcc, s4, v94
	v_addc_co_u32_e32 v95, vcc, v115, v95, vcc
	global_load_dword v115, v[94:95], off
	s_waitcnt vmcnt(19)
	buffer_store_dword v96, off, s[0:3], 0
	s_waitcnt vmcnt(19)
	buffer_store_dword v97, off, s[0:3], 0 offset:4
	s_waitcnt vmcnt(14)
	buffer_store_dword v103, off, s[0:3], 0 offset:12
	;; [unrolled: 2-line block ×3, first 2 shown]
	buffer_store_dword v98, off, s[0:3], 0 offset:16
	buffer_store_dword v99, off, s[0:3], 0 offset:20
	;; [unrolled: 1-line block ×5, first 2 shown]
	s_waitcnt vmcnt(19)
	buffer_store_dword v105, off, s[0:3], 0 offset:36
	s_waitcnt vmcnt(14)
	buffer_store_dword v111, off, s[0:3], 0 offset:44
	;; [unrolled: 2-line block ×3, first 2 shown]
	buffer_store_dword v106, off, s[0:3], 0 offset:48
	buffer_store_dword v107, off, s[0:3], 0 offset:52
	;; [unrolled: 1-line block ×3, first 2 shown]
	global_load_dword v96, v[36:37], off
	global_load_dword v97, v[46:47], off
	;; [unrolled: 1-line block ×22, first 2 shown]
	s_nop 0
	buffer_store_dword v109, off, s[0:3], 0 offset:60
	buffer_store_dword v110, off, s[0:3], 0 offset:64
	s_waitcnt vmcnt(41)
	buffer_store_dword v113, off, s[0:3], 0 offset:68
	s_waitcnt vmcnt(41)
	buffer_store_dword v114, off, s[0:3], 0 offset:72
	global_load_dword v109, v[80:81], off
	global_load_dword v110, v[90:91], off
	;; [unrolled: 1-line block ×3, first 2 shown]
	s_nop 0
	global_load_dword v114, v[86:87], off
	global_load_dword v123, v[92:93], off
	s_cmpk_lg_i32 s13, 0x84
	s_waitcnt vmcnt(30)
	buffer_store_dword v96, off, s[0:3], 0 offset:76
	s_waitcnt vmcnt(27)
	buffer_store_dword v100, off, s[0:3], 0 offset:84
	;; [unrolled: 2-line block ×3, first 2 shown]
	buffer_store_dword v98, off, s[0:3], 0 offset:92
	buffer_store_dword v99, off, s[0:3], 0 offset:88
	s_waitcnt vmcnt(29)
	buffer_store_dword v102, off, s[0:3], 0 offset:100
	buffer_store_dword v97, off, s[0:3], 0 offset:96
	s_waitcnt vmcnt(25)
	buffer_store_dword v108, off, s[0:3], 0 offset:108
	s_waitcnt vmcnt(25)
	buffer_store_dword v111, off, s[0:3], 0 offset:104
	buffer_store_dword v106, off, s[0:3], 0 offset:116
	;; [unrolled: 1-line block ×5, first 2 shown]
	s_waitcnt vmcnt(29)
	buffer_store_dword v112, off, s[0:3], 0 offset:132
	buffer_store_dword v103, off, s[0:3], 0 offset:128
	s_waitcnt vmcnt(25)
	buffer_store_dword v121, off, s[0:3], 0 offset:140
	s_waitcnt vmcnt(25)
	buffer_store_dword v122, off, s[0:3], 0 offset:136
	buffer_store_dword v119, off, s[0:3], 0 offset:148
	;; [unrolled: 1-line block ×5, first 2 shown]
	s_waitcnt vmcnt(25)
	buffer_store_dword v109, off, s[0:3], 0 offset:164
	buffer_store_dword v116, off, s[0:3], 0 offset:160
	s_waitcnt vmcnt(25)
	buffer_store_dword v113, off, s[0:3], 0 offset:172
	s_waitcnt vmcnt(25)
	;; [unrolled: 2-line block ×3, first 2 shown]
	buffer_store_dword v123, off, s[0:3], 0 offset:180
	buffer_store_dword v110, off, s[0:3], 0 offset:176
	;; [unrolled: 1-line block ×3, first 2 shown]
	s_cselect_b64 s[10:11], -1, 0
	s_cmpk_eq_i32 s13, 0x84
	v_mov_b32_e32 v119, 0
	v_mov_b32_e32 v96, -1.0
	s_cbranch_scc1 .LBB46_3
; %bb.2:
	v_lshl_add_u32 v96, v0, 2, v119
	buffer_load_dword v97, v96, s[0:3], 0 offen
	s_waitcnt vmcnt(0)
	v_div_scale_f32 v98, s[4:5], v97, v97, 1.0
	v_rcp_f32_e32 v99, v98
	v_div_scale_f32 v100, vcc, 1.0, v97, 1.0
	v_fma_f32 v101, -v98, v99, 1.0
	v_fmac_f32_e32 v99, v101, v99
	v_mul_f32_e32 v101, v100, v99
	v_fma_f32 v102, -v98, v101, v100
	v_fmac_f32_e32 v101, v102, v99
	v_fma_f32 v98, -v98, v101, v100
	v_div_fmas_f32 v98, v98, v99, v101
	v_div_fixup_f32 v97, v98, v97, 1.0
	buffer_store_dword v97, v96, s[0:3], 0 offen
	v_xor_b32_e32 v96, 0x80000000, v97
.LBB46_3:
	ds_write_b32 v1, v96
	s_cmpk_eq_i32 s12, 0x79
	v_add_u32_e32 v96, 0xc0, v1
	v_add_u32_e32 v97, 0, v1
	s_mov_b64 s[4:5], -1
	s_cbranch_scc1 .LBB46_457
; %bb.4:
	buffer_load_dword v98, off, s[0:3], 0 offset:180
	v_cmp_eq_u32_e64 s[4:5], 46, v0
	s_waitcnt vmcnt(0)
	ds_write_b32 v96, v98
	s_waitcnt lgkmcnt(0)
	; wave barrier
	s_waitcnt lgkmcnt(0)
	s_and_saveexec_b64 s[6:7], s[4:5]
	s_cbranch_execz .LBB46_10
; %bb.5:
	s_and_b64 vcc, exec, s[10:11]
	s_cbranch_vccz .LBB46_7
; %bb.6:
	buffer_load_dword v98, v97, s[0:3], 0 offen
	ds_read_b32 v99, v96
	s_waitcnt vmcnt(0) lgkmcnt(0)
	v_mul_f32_e32 v98, v98, v99
	s_cbranch_execz .LBB46_8
	s_branch .LBB46_9
.LBB46_7:
                                        ; implicit-def: $vgpr98
.LBB46_8:
	ds_read_b32 v98, v96
.LBB46_9:
	v_mov_b32_e32 v99, 0
	ds_read_b32 v99, v99 offset:180
	s_waitcnt lgkmcnt(0)
	v_mul_f32_e32 v98, v98, v99
	buffer_store_dword v98, off, s[0:3], 0 offset:180
.LBB46_10:
	s_or_b64 exec, exec, s[6:7]
	buffer_load_dword v120, off, s[0:3], 0 offset:176
	v_or_b32_e32 v98, 8, v119
	v_add_u32_e32 v99, 16, v119
	v_add_u32_e32 v100, 24, v119
	;; [unrolled: 1-line block ×21, first 2 shown]
	v_cmp_lt_u32_e64 s[8:9], 44, v0
	s_waitcnt vmcnt(0)
	ds_write_b32 v96, v120
	s_waitcnt lgkmcnt(0)
	; wave barrier
	s_waitcnt lgkmcnt(0)
	s_and_saveexec_b64 s[6:7], s[8:9]
	s_cbranch_execz .LBB46_16
; %bb.11:
	s_andn2_b64 vcc, exec, s[10:11]
	s_cbranch_vccnz .LBB46_13
; %bb.12:
	buffer_load_dword v120, v97, s[0:3], 0 offen
	ds_read_b32 v121, v96
	s_waitcnt vmcnt(0) lgkmcnt(0)
	v_mul_f32_e32 v120, v120, v121
	s_cbranch_execz .LBB46_14
	s_branch .LBB46_15
.LBB46_13:
                                        ; implicit-def: $vgpr120
.LBB46_14:
	ds_read_b32 v120, v96
.LBB46_15:
	buffer_load_dword v121, off, s[0:3], 0 offset:180
	v_mov_b32_e32 v122, 0
	ds_read2_b32 v[122:123], v122 offset0:44 offset1:93
	s_waitcnt vmcnt(0) lgkmcnt(0)
	v_fma_f32 v121, v121, v123, v120
	v_cndmask_b32_e64 v120, v120, v121, s[4:5]
	v_mul_f32_e32 v120, v120, v122
	buffer_store_dword v120, off, s[0:3], 0 offset:176
.LBB46_16:
	s_or_b64 exec, exec, s[6:7]
	buffer_load_dword v120, off, s[0:3], 0 offset:172
	v_cmp_lt_u32_e64 s[6:7], 43, v0
	s_waitcnt vmcnt(0)
	ds_write_b32 v96, v120
	s_waitcnt lgkmcnt(0)
	; wave barrier
	s_waitcnt lgkmcnt(0)
	s_and_saveexec_b64 s[4:5], s[6:7]
	s_cbranch_execz .LBB46_26
; %bb.17:
	s_andn2_b64 vcc, exec, s[10:11]
	s_cbranch_vccnz .LBB46_19
; %bb.18:
	buffer_load_dword v120, v97, s[0:3], 0 offen
	ds_read_b32 v121, v96
	s_waitcnt vmcnt(0) lgkmcnt(0)
	v_mul_f32_e32 v120, v120, v121
	s_cbranch_execz .LBB46_20
	s_branch .LBB46_21
.LBB46_19:
                                        ; implicit-def: $vgpr120
.LBB46_20:
	ds_read_b32 v120, v96
.LBB46_21:
	s_and_saveexec_b64 s[12:13], s[8:9]
	s_cbranch_execz .LBB46_25
; %bb.22:
	v_subrev_u32_e32 v121, 44, v0
	s_movk_i32 s14, 0x170
	s_mov_b64 s[8:9], 0
.LBB46_23:                              ; =>This Inner Loop Header: Depth=1
	buffer_load_dword v122, v119, s[0:3], 0 offen
	v_mov_b32_e32 v123, s14
	ds_read_b32 v123, v123
	v_add_u32_e32 v121, -1, v121
	s_add_i32 s14, s14, 4
	v_cmp_eq_u32_e32 vcc, 0, v121
	v_add_u32_e32 v119, 4, v119
	s_or_b64 s[8:9], vcc, s[8:9]
	s_waitcnt vmcnt(0) lgkmcnt(0)
	v_fmac_f32_e32 v120, v122, v123
	s_andn2_b64 exec, exec, s[8:9]
	s_cbranch_execnz .LBB46_23
; %bb.24:
	s_or_b64 exec, exec, s[8:9]
.LBB46_25:
	s_or_b64 exec, exec, s[12:13]
	v_mov_b32_e32 v119, 0
	ds_read_b32 v119, v119 offset:172
	s_waitcnt lgkmcnt(0)
	v_mul_f32_e32 v119, v120, v119
	buffer_store_dword v119, off, s[0:3], 0 offset:172
.LBB46_26:
	s_or_b64 exec, exec, s[4:5]
	buffer_load_dword v119, off, s[0:3], 0 offset:168
	v_cmp_lt_u32_e64 s[4:5], 42, v0
	s_waitcnt vmcnt(0)
	ds_write_b32 v96, v119
	s_waitcnt lgkmcnt(0)
	; wave barrier
	s_waitcnt lgkmcnt(0)
	s_and_saveexec_b64 s[8:9], s[4:5]
	s_cbranch_execz .LBB46_36
; %bb.27:
	s_andn2_b64 vcc, exec, s[10:11]
	s_cbranch_vccnz .LBB46_29
; %bb.28:
	buffer_load_dword v119, v97, s[0:3], 0 offen
	ds_read_b32 v120, v96
	s_waitcnt vmcnt(0) lgkmcnt(0)
	v_mul_f32_e32 v119, v119, v120
	s_cbranch_execz .LBB46_30
	s_branch .LBB46_31
.LBB46_29:
                                        ; implicit-def: $vgpr119
.LBB46_30:
	ds_read_b32 v119, v96
.LBB46_31:
	s_and_saveexec_b64 s[12:13], s[6:7]
	s_cbranch_execz .LBB46_35
; %bb.32:
	v_mov_b32_e32 v120, 0
	v_add_u32_e32 v120, 0xac, v120
	v_subrev_u32_e32 v121, 43, v0
	s_movk_i32 s14, 0x16c
	s_mov_b64 s[6:7], 0
.LBB46_33:                              ; =>This Inner Loop Header: Depth=1
	buffer_load_dword v122, v120, s[0:3], 0 offen
	v_mov_b32_e32 v123, s14
	ds_read_b32 v123, v123
	v_add_u32_e32 v121, -1, v121
	s_add_i32 s14, s14, 4
	v_cmp_eq_u32_e32 vcc, 0, v121
	v_add_u32_e32 v120, 4, v120
	s_or_b64 s[6:7], vcc, s[6:7]
	s_waitcnt vmcnt(0) lgkmcnt(0)
	v_fmac_f32_e32 v119, v122, v123
	s_andn2_b64 exec, exec, s[6:7]
	s_cbranch_execnz .LBB46_33
; %bb.34:
	s_or_b64 exec, exec, s[6:7]
.LBB46_35:
	s_or_b64 exec, exec, s[12:13]
	v_mov_b32_e32 v120, 0
	ds_read_b32 v120, v120 offset:168
	s_waitcnt lgkmcnt(0)
	v_mul_f32_e32 v119, v119, v120
	buffer_store_dword v119, off, s[0:3], 0 offset:168
.LBB46_36:
	s_or_b64 exec, exec, s[8:9]
	buffer_load_dword v119, off, s[0:3], 0 offset:164
	v_cmp_lt_u32_e64 s[6:7], 41, v0
	s_waitcnt vmcnt(0)
	ds_write_b32 v96, v119
	s_waitcnt lgkmcnt(0)
	; wave barrier
	s_waitcnt lgkmcnt(0)
	s_and_saveexec_b64 s[8:9], s[6:7]
	s_cbranch_execz .LBB46_46
; %bb.37:
	s_andn2_b64 vcc, exec, s[10:11]
	s_cbranch_vccnz .LBB46_39
; %bb.38:
	buffer_load_dword v119, v97, s[0:3], 0 offen
	ds_read_b32 v120, v96
	s_waitcnt vmcnt(0) lgkmcnt(0)
	v_mul_f32_e32 v119, v119, v120
	s_cbranch_execz .LBB46_40
	s_branch .LBB46_41
.LBB46_39:
                                        ; implicit-def: $vgpr119
.LBB46_40:
	ds_read_b32 v119, v96
.LBB46_41:
	s_and_saveexec_b64 s[12:13], s[4:5]
	s_cbranch_execz .LBB46_45
; %bb.42:
	v_subrev_u32_e32 v120, 42, v0
	s_movk_i32 s14, 0x168
	s_mov_b64 s[4:5], 0
.LBB46_43:                              ; =>This Inner Loop Header: Depth=1
	buffer_load_dword v121, v118, s[0:3], 0 offen
	v_mov_b32_e32 v122, s14
	ds_read_b32 v122, v122
	v_add_u32_e32 v120, -1, v120
	s_add_i32 s14, s14, 4
	v_cmp_eq_u32_e32 vcc, 0, v120
	v_add_u32_e32 v118, 4, v118
	s_or_b64 s[4:5], vcc, s[4:5]
	s_waitcnt vmcnt(0) lgkmcnt(0)
	v_fmac_f32_e32 v119, v121, v122
	s_andn2_b64 exec, exec, s[4:5]
	s_cbranch_execnz .LBB46_43
; %bb.44:
	s_or_b64 exec, exec, s[4:5]
.LBB46_45:
	s_or_b64 exec, exec, s[12:13]
	v_mov_b32_e32 v118, 0
	ds_read_b32 v118, v118 offset:164
	s_waitcnt lgkmcnt(0)
	v_mul_f32_e32 v118, v119, v118
	buffer_store_dword v118, off, s[0:3], 0 offset:164
.LBB46_46:
	s_or_b64 exec, exec, s[8:9]
	buffer_load_dword v118, off, s[0:3], 0 offset:160
	v_cmp_lt_u32_e64 s[4:5], 40, v0
	s_waitcnt vmcnt(0)
	ds_write_b32 v96, v118
	s_waitcnt lgkmcnt(0)
	; wave barrier
	s_waitcnt lgkmcnt(0)
	s_and_saveexec_b64 s[8:9], s[4:5]
	s_cbranch_execz .LBB46_56
; %bb.47:
	s_andn2_b64 vcc, exec, s[10:11]
	s_cbranch_vccnz .LBB46_49
; %bb.48:
	buffer_load_dword v118, v97, s[0:3], 0 offen
	ds_read_b32 v119, v96
	s_waitcnt vmcnt(0) lgkmcnt(0)
	v_mul_f32_e32 v118, v118, v119
	s_cbranch_execz .LBB46_50
	s_branch .LBB46_51
.LBB46_49:
                                        ; implicit-def: $vgpr118
.LBB46_50:
	ds_read_b32 v118, v96
.LBB46_51:
	s_and_saveexec_b64 s[12:13], s[6:7]
	s_cbranch_execz .LBB46_55
; %bb.52:
	v_mov_b32_e32 v119, 0
	v_add_u32_e32 v119, 0xa4, v119
	v_subrev_u32_e32 v120, 41, v0
	s_movk_i32 s14, 0x164
	s_mov_b64 s[6:7], 0
.LBB46_53:                              ; =>This Inner Loop Header: Depth=1
	buffer_load_dword v121, v119, s[0:3], 0 offen
	v_mov_b32_e32 v122, s14
	ds_read_b32 v122, v122
	v_add_u32_e32 v120, -1, v120
	s_add_i32 s14, s14, 4
	v_cmp_eq_u32_e32 vcc, 0, v120
	v_add_u32_e32 v119, 4, v119
	s_or_b64 s[6:7], vcc, s[6:7]
	s_waitcnt vmcnt(0) lgkmcnt(0)
	v_fmac_f32_e32 v118, v121, v122
	s_andn2_b64 exec, exec, s[6:7]
	s_cbranch_execnz .LBB46_53
; %bb.54:
	s_or_b64 exec, exec, s[6:7]
.LBB46_55:
	s_or_b64 exec, exec, s[12:13]
	v_mov_b32_e32 v119, 0
	ds_read_b32 v119, v119 offset:160
	s_waitcnt lgkmcnt(0)
	v_mul_f32_e32 v118, v118, v119
	buffer_store_dword v118, off, s[0:3], 0 offset:160
.LBB46_56:
	s_or_b64 exec, exec, s[8:9]
	buffer_load_dword v118, off, s[0:3], 0 offset:156
	v_cmp_lt_u32_e64 s[6:7], 39, v0
	s_waitcnt vmcnt(0)
	ds_write_b32 v96, v118
	s_waitcnt lgkmcnt(0)
	; wave barrier
	s_waitcnt lgkmcnt(0)
	s_and_saveexec_b64 s[8:9], s[6:7]
	s_cbranch_execz .LBB46_66
; %bb.57:
	s_andn2_b64 vcc, exec, s[10:11]
	s_cbranch_vccnz .LBB46_59
; %bb.58:
	buffer_load_dword v118, v97, s[0:3], 0 offen
	ds_read_b32 v119, v96
	s_waitcnt vmcnt(0) lgkmcnt(0)
	v_mul_f32_e32 v118, v118, v119
	s_cbranch_execz .LBB46_60
	s_branch .LBB46_61
.LBB46_59:
                                        ; implicit-def: $vgpr118
.LBB46_60:
	ds_read_b32 v118, v96
.LBB46_61:
	s_and_saveexec_b64 s[12:13], s[4:5]
	s_cbranch_execz .LBB46_65
; %bb.62:
	v_subrev_u32_e32 v119, 40, v0
	s_movk_i32 s14, 0x160
	s_mov_b64 s[4:5], 0
.LBB46_63:                              ; =>This Inner Loop Header: Depth=1
	buffer_load_dword v120, v117, s[0:3], 0 offen
	v_mov_b32_e32 v121, s14
	ds_read_b32 v121, v121
	v_add_u32_e32 v119, -1, v119
	s_add_i32 s14, s14, 4
	v_cmp_eq_u32_e32 vcc, 0, v119
	v_add_u32_e32 v117, 4, v117
	s_or_b64 s[4:5], vcc, s[4:5]
	s_waitcnt vmcnt(0) lgkmcnt(0)
	v_fmac_f32_e32 v118, v120, v121
	s_andn2_b64 exec, exec, s[4:5]
	s_cbranch_execnz .LBB46_63
; %bb.64:
	s_or_b64 exec, exec, s[4:5]
.LBB46_65:
	s_or_b64 exec, exec, s[12:13]
	v_mov_b32_e32 v117, 0
	ds_read_b32 v117, v117 offset:156
	s_waitcnt lgkmcnt(0)
	v_mul_f32_e32 v117, v118, v117
	buffer_store_dword v117, off, s[0:3], 0 offset:156
.LBB46_66:
	s_or_b64 exec, exec, s[8:9]
	buffer_load_dword v117, off, s[0:3], 0 offset:152
	v_cmp_lt_u32_e64 s[4:5], 38, v0
	s_waitcnt vmcnt(0)
	ds_write_b32 v96, v117
	s_waitcnt lgkmcnt(0)
	; wave barrier
	s_waitcnt lgkmcnt(0)
	s_and_saveexec_b64 s[8:9], s[4:5]
	s_cbranch_execz .LBB46_76
; %bb.67:
	s_andn2_b64 vcc, exec, s[10:11]
	s_cbranch_vccnz .LBB46_69
; %bb.68:
	buffer_load_dword v117, v97, s[0:3], 0 offen
	ds_read_b32 v118, v96
	s_waitcnt vmcnt(0) lgkmcnt(0)
	v_mul_f32_e32 v117, v117, v118
	s_cbranch_execz .LBB46_70
	s_branch .LBB46_71
.LBB46_69:
                                        ; implicit-def: $vgpr117
.LBB46_70:
	ds_read_b32 v117, v96
.LBB46_71:
	s_and_saveexec_b64 s[12:13], s[6:7]
	s_cbranch_execz .LBB46_75
; %bb.72:
	v_mov_b32_e32 v118, 0
	v_add_u32_e32 v118, 0x9c, v118
	v_subrev_u32_e32 v119, 39, v0
	s_movk_i32 s14, 0x15c
	s_mov_b64 s[6:7], 0
.LBB46_73:                              ; =>This Inner Loop Header: Depth=1
	buffer_load_dword v120, v118, s[0:3], 0 offen
	v_mov_b32_e32 v121, s14
	ds_read_b32 v121, v121
	v_add_u32_e32 v119, -1, v119
	s_add_i32 s14, s14, 4
	v_cmp_eq_u32_e32 vcc, 0, v119
	v_add_u32_e32 v118, 4, v118
	s_or_b64 s[6:7], vcc, s[6:7]
	s_waitcnt vmcnt(0) lgkmcnt(0)
	v_fmac_f32_e32 v117, v120, v121
	s_andn2_b64 exec, exec, s[6:7]
	s_cbranch_execnz .LBB46_73
; %bb.74:
	s_or_b64 exec, exec, s[6:7]
.LBB46_75:
	s_or_b64 exec, exec, s[12:13]
	v_mov_b32_e32 v118, 0
	ds_read_b32 v118, v118 offset:152
	s_waitcnt lgkmcnt(0)
	v_mul_f32_e32 v117, v117, v118
	buffer_store_dword v117, off, s[0:3], 0 offset:152
.LBB46_76:
	s_or_b64 exec, exec, s[8:9]
	buffer_load_dword v117, off, s[0:3], 0 offset:148
	v_cmp_lt_u32_e64 s[6:7], 37, v0
	s_waitcnt vmcnt(0)
	ds_write_b32 v96, v117
	s_waitcnt lgkmcnt(0)
	; wave barrier
	s_waitcnt lgkmcnt(0)
	s_and_saveexec_b64 s[8:9], s[6:7]
	s_cbranch_execz .LBB46_86
; %bb.77:
	s_andn2_b64 vcc, exec, s[10:11]
	s_cbranch_vccnz .LBB46_79
; %bb.78:
	buffer_load_dword v117, v97, s[0:3], 0 offen
	ds_read_b32 v118, v96
	s_waitcnt vmcnt(0) lgkmcnt(0)
	v_mul_f32_e32 v117, v117, v118
	s_cbranch_execz .LBB46_80
	s_branch .LBB46_81
.LBB46_79:
                                        ; implicit-def: $vgpr117
.LBB46_80:
	ds_read_b32 v117, v96
.LBB46_81:
	s_and_saveexec_b64 s[12:13], s[4:5]
	s_cbranch_execz .LBB46_85
; %bb.82:
	v_subrev_u32_e32 v118, 38, v0
	s_movk_i32 s14, 0x158
	s_mov_b64 s[4:5], 0
.LBB46_83:                              ; =>This Inner Loop Header: Depth=1
	buffer_load_dword v119, v116, s[0:3], 0 offen
	v_mov_b32_e32 v120, s14
	ds_read_b32 v120, v120
	v_add_u32_e32 v118, -1, v118
	s_add_i32 s14, s14, 4
	v_cmp_eq_u32_e32 vcc, 0, v118
	v_add_u32_e32 v116, 4, v116
	s_or_b64 s[4:5], vcc, s[4:5]
	s_waitcnt vmcnt(0) lgkmcnt(0)
	v_fmac_f32_e32 v117, v119, v120
	s_andn2_b64 exec, exec, s[4:5]
	s_cbranch_execnz .LBB46_83
; %bb.84:
	s_or_b64 exec, exec, s[4:5]
.LBB46_85:
	s_or_b64 exec, exec, s[12:13]
	v_mov_b32_e32 v116, 0
	ds_read_b32 v116, v116 offset:148
	s_waitcnt lgkmcnt(0)
	v_mul_f32_e32 v116, v117, v116
	buffer_store_dword v116, off, s[0:3], 0 offset:148
.LBB46_86:
	s_or_b64 exec, exec, s[8:9]
	buffer_load_dword v116, off, s[0:3], 0 offset:144
	v_cmp_lt_u32_e64 s[4:5], 36, v0
	s_waitcnt vmcnt(0)
	ds_write_b32 v96, v116
	s_waitcnt lgkmcnt(0)
	; wave barrier
	s_waitcnt lgkmcnt(0)
	s_and_saveexec_b64 s[8:9], s[4:5]
	s_cbranch_execz .LBB46_96
; %bb.87:
	s_andn2_b64 vcc, exec, s[10:11]
	s_cbranch_vccnz .LBB46_89
; %bb.88:
	buffer_load_dword v116, v97, s[0:3], 0 offen
	ds_read_b32 v117, v96
	s_waitcnt vmcnt(0) lgkmcnt(0)
	v_mul_f32_e32 v116, v116, v117
	s_cbranch_execz .LBB46_90
	s_branch .LBB46_91
.LBB46_89:
                                        ; implicit-def: $vgpr116
.LBB46_90:
	ds_read_b32 v116, v96
.LBB46_91:
	s_and_saveexec_b64 s[12:13], s[6:7]
	s_cbranch_execz .LBB46_95
; %bb.92:
	v_mov_b32_e32 v117, 0
	v_add_u32_e32 v117, 0x94, v117
	v_subrev_u32_e32 v118, 37, v0
	s_movk_i32 s14, 0x154
	s_mov_b64 s[6:7], 0
.LBB46_93:                              ; =>This Inner Loop Header: Depth=1
	buffer_load_dword v119, v117, s[0:3], 0 offen
	v_mov_b32_e32 v120, s14
	ds_read_b32 v120, v120
	v_add_u32_e32 v118, -1, v118
	s_add_i32 s14, s14, 4
	v_cmp_eq_u32_e32 vcc, 0, v118
	v_add_u32_e32 v117, 4, v117
	s_or_b64 s[6:7], vcc, s[6:7]
	s_waitcnt vmcnt(0) lgkmcnt(0)
	v_fmac_f32_e32 v116, v119, v120
	s_andn2_b64 exec, exec, s[6:7]
	s_cbranch_execnz .LBB46_93
; %bb.94:
	s_or_b64 exec, exec, s[6:7]
.LBB46_95:
	s_or_b64 exec, exec, s[12:13]
	v_mov_b32_e32 v117, 0
	ds_read_b32 v117, v117 offset:144
	s_waitcnt lgkmcnt(0)
	v_mul_f32_e32 v116, v116, v117
	buffer_store_dword v116, off, s[0:3], 0 offset:144
.LBB46_96:
	s_or_b64 exec, exec, s[8:9]
	buffer_load_dword v116, off, s[0:3], 0 offset:140
	v_cmp_lt_u32_e64 s[6:7], 35, v0
	s_waitcnt vmcnt(0)
	ds_write_b32 v96, v116
	s_waitcnt lgkmcnt(0)
	; wave barrier
	s_waitcnt lgkmcnt(0)
	s_and_saveexec_b64 s[8:9], s[6:7]
	s_cbranch_execz .LBB46_106
; %bb.97:
	s_andn2_b64 vcc, exec, s[10:11]
	s_cbranch_vccnz .LBB46_99
; %bb.98:
	buffer_load_dword v116, v97, s[0:3], 0 offen
	ds_read_b32 v117, v96
	s_waitcnt vmcnt(0) lgkmcnt(0)
	v_mul_f32_e32 v116, v116, v117
	s_cbranch_execz .LBB46_100
	s_branch .LBB46_101
.LBB46_99:
                                        ; implicit-def: $vgpr116
.LBB46_100:
	ds_read_b32 v116, v96
.LBB46_101:
	s_and_saveexec_b64 s[12:13], s[4:5]
	s_cbranch_execz .LBB46_105
; %bb.102:
	v_subrev_u32_e32 v117, 36, v0
	s_movk_i32 s14, 0x150
	s_mov_b64 s[4:5], 0
.LBB46_103:                             ; =>This Inner Loop Header: Depth=1
	buffer_load_dword v118, v115, s[0:3], 0 offen
	v_mov_b32_e32 v119, s14
	ds_read_b32 v119, v119
	v_add_u32_e32 v117, -1, v117
	s_add_i32 s14, s14, 4
	v_cmp_eq_u32_e32 vcc, 0, v117
	v_add_u32_e32 v115, 4, v115
	s_or_b64 s[4:5], vcc, s[4:5]
	s_waitcnt vmcnt(0) lgkmcnt(0)
	v_fmac_f32_e32 v116, v118, v119
	s_andn2_b64 exec, exec, s[4:5]
	s_cbranch_execnz .LBB46_103
; %bb.104:
	s_or_b64 exec, exec, s[4:5]
.LBB46_105:
	s_or_b64 exec, exec, s[12:13]
	v_mov_b32_e32 v115, 0
	ds_read_b32 v115, v115 offset:140
	s_waitcnt lgkmcnt(0)
	v_mul_f32_e32 v115, v116, v115
	buffer_store_dword v115, off, s[0:3], 0 offset:140
.LBB46_106:
	s_or_b64 exec, exec, s[8:9]
	buffer_load_dword v115, off, s[0:3], 0 offset:136
	v_cmp_lt_u32_e64 s[4:5], 34, v0
	s_waitcnt vmcnt(0)
	ds_write_b32 v96, v115
	s_waitcnt lgkmcnt(0)
	; wave barrier
	s_waitcnt lgkmcnt(0)
	s_and_saveexec_b64 s[8:9], s[4:5]
	s_cbranch_execz .LBB46_116
; %bb.107:
	s_andn2_b64 vcc, exec, s[10:11]
	s_cbranch_vccnz .LBB46_109
; %bb.108:
	buffer_load_dword v115, v97, s[0:3], 0 offen
	ds_read_b32 v116, v96
	s_waitcnt vmcnt(0) lgkmcnt(0)
	v_mul_f32_e32 v115, v115, v116
	s_cbranch_execz .LBB46_110
	s_branch .LBB46_111
.LBB46_109:
                                        ; implicit-def: $vgpr115
.LBB46_110:
	ds_read_b32 v115, v96
.LBB46_111:
	s_and_saveexec_b64 s[12:13], s[6:7]
	s_cbranch_execz .LBB46_115
; %bb.112:
	v_mov_b32_e32 v116, 0
	v_add_u32_e32 v116, 0x8c, v116
	v_subrev_u32_e32 v117, 35, v0
	s_movk_i32 s14, 0x14c
	s_mov_b64 s[6:7], 0
.LBB46_113:                             ; =>This Inner Loop Header: Depth=1
	buffer_load_dword v118, v116, s[0:3], 0 offen
	v_mov_b32_e32 v119, s14
	ds_read_b32 v119, v119
	v_add_u32_e32 v117, -1, v117
	s_add_i32 s14, s14, 4
	v_cmp_eq_u32_e32 vcc, 0, v117
	v_add_u32_e32 v116, 4, v116
	s_or_b64 s[6:7], vcc, s[6:7]
	s_waitcnt vmcnt(0) lgkmcnt(0)
	v_fmac_f32_e32 v115, v118, v119
	s_andn2_b64 exec, exec, s[6:7]
	s_cbranch_execnz .LBB46_113
; %bb.114:
	s_or_b64 exec, exec, s[6:7]
.LBB46_115:
	s_or_b64 exec, exec, s[12:13]
	v_mov_b32_e32 v116, 0
	ds_read_b32 v116, v116 offset:136
	s_waitcnt lgkmcnt(0)
	v_mul_f32_e32 v115, v115, v116
	buffer_store_dword v115, off, s[0:3], 0 offset:136
.LBB46_116:
	s_or_b64 exec, exec, s[8:9]
	buffer_load_dword v115, off, s[0:3], 0 offset:132
	v_cmp_lt_u32_e64 s[6:7], 33, v0
	s_waitcnt vmcnt(0)
	ds_write_b32 v96, v115
	s_waitcnt lgkmcnt(0)
	; wave barrier
	s_waitcnt lgkmcnt(0)
	s_and_saveexec_b64 s[8:9], s[6:7]
	s_cbranch_execz .LBB46_126
; %bb.117:
	s_andn2_b64 vcc, exec, s[10:11]
	s_cbranch_vccnz .LBB46_119
; %bb.118:
	buffer_load_dword v115, v97, s[0:3], 0 offen
	ds_read_b32 v116, v96
	s_waitcnt vmcnt(0) lgkmcnt(0)
	v_mul_f32_e32 v115, v115, v116
	s_cbranch_execz .LBB46_120
	s_branch .LBB46_121
.LBB46_119:
                                        ; implicit-def: $vgpr115
.LBB46_120:
	ds_read_b32 v115, v96
.LBB46_121:
	s_and_saveexec_b64 s[12:13], s[4:5]
	s_cbranch_execz .LBB46_125
; %bb.122:
	v_subrev_u32_e32 v116, 34, v0
	s_movk_i32 s14, 0x148
	s_mov_b64 s[4:5], 0
.LBB46_123:                             ; =>This Inner Loop Header: Depth=1
	buffer_load_dword v117, v114, s[0:3], 0 offen
	v_mov_b32_e32 v118, s14
	ds_read_b32 v118, v118
	v_add_u32_e32 v116, -1, v116
	s_add_i32 s14, s14, 4
	v_cmp_eq_u32_e32 vcc, 0, v116
	v_add_u32_e32 v114, 4, v114
	s_or_b64 s[4:5], vcc, s[4:5]
	s_waitcnt vmcnt(0) lgkmcnt(0)
	v_fmac_f32_e32 v115, v117, v118
	s_andn2_b64 exec, exec, s[4:5]
	s_cbranch_execnz .LBB46_123
; %bb.124:
	s_or_b64 exec, exec, s[4:5]
.LBB46_125:
	s_or_b64 exec, exec, s[12:13]
	v_mov_b32_e32 v114, 0
	ds_read_b32 v114, v114 offset:132
	s_waitcnt lgkmcnt(0)
	v_mul_f32_e32 v114, v115, v114
	buffer_store_dword v114, off, s[0:3], 0 offset:132
.LBB46_126:
	s_or_b64 exec, exec, s[8:9]
	buffer_load_dword v114, off, s[0:3], 0 offset:128
	v_cmp_lt_u32_e64 s[4:5], 32, v0
	s_waitcnt vmcnt(0)
	ds_write_b32 v96, v114
	s_waitcnt lgkmcnt(0)
	; wave barrier
	s_waitcnt lgkmcnt(0)
	s_and_saveexec_b64 s[8:9], s[4:5]
	s_cbranch_execz .LBB46_136
; %bb.127:
	s_andn2_b64 vcc, exec, s[10:11]
	s_cbranch_vccnz .LBB46_129
; %bb.128:
	buffer_load_dword v114, v97, s[0:3], 0 offen
	ds_read_b32 v115, v96
	s_waitcnt vmcnt(0) lgkmcnt(0)
	v_mul_f32_e32 v114, v114, v115
	s_cbranch_execz .LBB46_130
	s_branch .LBB46_131
.LBB46_129:
                                        ; implicit-def: $vgpr114
.LBB46_130:
	ds_read_b32 v114, v96
.LBB46_131:
	s_and_saveexec_b64 s[12:13], s[6:7]
	s_cbranch_execz .LBB46_135
; %bb.132:
	v_mov_b32_e32 v115, 0
	v_add_u32_e32 v115, 0x84, v115
	v_subrev_u32_e32 v116, 33, v0
	s_movk_i32 s14, 0x144
	s_mov_b64 s[6:7], 0
.LBB46_133:                             ; =>This Inner Loop Header: Depth=1
	buffer_load_dword v117, v115, s[0:3], 0 offen
	v_mov_b32_e32 v118, s14
	ds_read_b32 v118, v118
	v_add_u32_e32 v116, -1, v116
	s_add_i32 s14, s14, 4
	v_cmp_eq_u32_e32 vcc, 0, v116
	v_add_u32_e32 v115, 4, v115
	s_or_b64 s[6:7], vcc, s[6:7]
	s_waitcnt vmcnt(0) lgkmcnt(0)
	v_fmac_f32_e32 v114, v117, v118
	s_andn2_b64 exec, exec, s[6:7]
	s_cbranch_execnz .LBB46_133
; %bb.134:
	s_or_b64 exec, exec, s[6:7]
.LBB46_135:
	s_or_b64 exec, exec, s[12:13]
	v_mov_b32_e32 v115, 0
	ds_read_b32 v115, v115 offset:128
	s_waitcnt lgkmcnt(0)
	v_mul_f32_e32 v114, v114, v115
	buffer_store_dword v114, off, s[0:3], 0 offset:128
.LBB46_136:
	s_or_b64 exec, exec, s[8:9]
	buffer_load_dword v114, off, s[0:3], 0 offset:124
	v_cmp_lt_u32_e64 s[6:7], 31, v0
	s_waitcnt vmcnt(0)
	ds_write_b32 v96, v114
	s_waitcnt lgkmcnt(0)
	; wave barrier
	s_waitcnt lgkmcnt(0)
	s_and_saveexec_b64 s[8:9], s[6:7]
	s_cbranch_execz .LBB46_146
; %bb.137:
	s_andn2_b64 vcc, exec, s[10:11]
	s_cbranch_vccnz .LBB46_139
; %bb.138:
	buffer_load_dword v114, v97, s[0:3], 0 offen
	ds_read_b32 v115, v96
	s_waitcnt vmcnt(0) lgkmcnt(0)
	v_mul_f32_e32 v114, v114, v115
	s_cbranch_execz .LBB46_140
	s_branch .LBB46_141
.LBB46_139:
                                        ; implicit-def: $vgpr114
.LBB46_140:
	ds_read_b32 v114, v96
.LBB46_141:
	s_and_saveexec_b64 s[12:13], s[4:5]
	s_cbranch_execz .LBB46_145
; %bb.142:
	v_subrev_u32_e32 v115, 32, v0
	s_movk_i32 s14, 0x140
	s_mov_b64 s[4:5], 0
.LBB46_143:                             ; =>This Inner Loop Header: Depth=1
	buffer_load_dword v116, v113, s[0:3], 0 offen
	v_mov_b32_e32 v117, s14
	ds_read_b32 v117, v117
	v_add_u32_e32 v115, -1, v115
	s_add_i32 s14, s14, 4
	v_cmp_eq_u32_e32 vcc, 0, v115
	v_add_u32_e32 v113, 4, v113
	s_or_b64 s[4:5], vcc, s[4:5]
	s_waitcnt vmcnt(0) lgkmcnt(0)
	v_fmac_f32_e32 v114, v116, v117
	s_andn2_b64 exec, exec, s[4:5]
	s_cbranch_execnz .LBB46_143
; %bb.144:
	s_or_b64 exec, exec, s[4:5]
.LBB46_145:
	s_or_b64 exec, exec, s[12:13]
	v_mov_b32_e32 v113, 0
	ds_read_b32 v113, v113 offset:124
	s_waitcnt lgkmcnt(0)
	v_mul_f32_e32 v113, v114, v113
	buffer_store_dword v113, off, s[0:3], 0 offset:124
.LBB46_146:
	s_or_b64 exec, exec, s[8:9]
	buffer_load_dword v113, off, s[0:3], 0 offset:120
	v_cmp_lt_u32_e64 s[4:5], 30, v0
	s_waitcnt vmcnt(0)
	ds_write_b32 v96, v113
	s_waitcnt lgkmcnt(0)
	; wave barrier
	s_waitcnt lgkmcnt(0)
	s_and_saveexec_b64 s[8:9], s[4:5]
	s_cbranch_execz .LBB46_156
; %bb.147:
	s_andn2_b64 vcc, exec, s[10:11]
	s_cbranch_vccnz .LBB46_149
; %bb.148:
	buffer_load_dword v113, v97, s[0:3], 0 offen
	ds_read_b32 v114, v96
	s_waitcnt vmcnt(0) lgkmcnt(0)
	v_mul_f32_e32 v113, v113, v114
	s_cbranch_execz .LBB46_150
	s_branch .LBB46_151
.LBB46_149:
                                        ; implicit-def: $vgpr113
.LBB46_150:
	ds_read_b32 v113, v96
.LBB46_151:
	s_and_saveexec_b64 s[12:13], s[6:7]
	s_cbranch_execz .LBB46_155
; %bb.152:
	v_mov_b32_e32 v114, 0
	v_add_u32_e32 v114, 0x7c, v114
	v_subrev_u32_e32 v115, 31, v0
	s_movk_i32 s14, 0x13c
	s_mov_b64 s[6:7], 0
.LBB46_153:                             ; =>This Inner Loop Header: Depth=1
	buffer_load_dword v116, v114, s[0:3], 0 offen
	v_mov_b32_e32 v117, s14
	ds_read_b32 v117, v117
	v_add_u32_e32 v115, -1, v115
	s_add_i32 s14, s14, 4
	v_cmp_eq_u32_e32 vcc, 0, v115
	v_add_u32_e32 v114, 4, v114
	s_or_b64 s[6:7], vcc, s[6:7]
	s_waitcnt vmcnt(0) lgkmcnt(0)
	v_fmac_f32_e32 v113, v116, v117
	s_andn2_b64 exec, exec, s[6:7]
	s_cbranch_execnz .LBB46_153
; %bb.154:
	s_or_b64 exec, exec, s[6:7]
.LBB46_155:
	s_or_b64 exec, exec, s[12:13]
	v_mov_b32_e32 v114, 0
	ds_read_b32 v114, v114 offset:120
	s_waitcnt lgkmcnt(0)
	v_mul_f32_e32 v113, v113, v114
	buffer_store_dword v113, off, s[0:3], 0 offset:120
.LBB46_156:
	s_or_b64 exec, exec, s[8:9]
	buffer_load_dword v113, off, s[0:3], 0 offset:116
	v_cmp_lt_u32_e64 s[6:7], 29, v0
	s_waitcnt vmcnt(0)
	ds_write_b32 v96, v113
	s_waitcnt lgkmcnt(0)
	; wave barrier
	s_waitcnt lgkmcnt(0)
	s_and_saveexec_b64 s[8:9], s[6:7]
	s_cbranch_execz .LBB46_166
; %bb.157:
	s_andn2_b64 vcc, exec, s[10:11]
	s_cbranch_vccnz .LBB46_159
; %bb.158:
	buffer_load_dword v113, v97, s[0:3], 0 offen
	ds_read_b32 v114, v96
	s_waitcnt vmcnt(0) lgkmcnt(0)
	v_mul_f32_e32 v113, v113, v114
	s_cbranch_execz .LBB46_160
	s_branch .LBB46_161
.LBB46_159:
                                        ; implicit-def: $vgpr113
.LBB46_160:
	ds_read_b32 v113, v96
.LBB46_161:
	s_and_saveexec_b64 s[12:13], s[4:5]
	s_cbranch_execz .LBB46_165
; %bb.162:
	v_subrev_u32_e32 v114, 30, v0
	s_movk_i32 s14, 0x138
	s_mov_b64 s[4:5], 0
.LBB46_163:                             ; =>This Inner Loop Header: Depth=1
	buffer_load_dword v115, v112, s[0:3], 0 offen
	v_mov_b32_e32 v116, s14
	ds_read_b32 v116, v116
	v_add_u32_e32 v114, -1, v114
	s_add_i32 s14, s14, 4
	v_cmp_eq_u32_e32 vcc, 0, v114
	v_add_u32_e32 v112, 4, v112
	s_or_b64 s[4:5], vcc, s[4:5]
	s_waitcnt vmcnt(0) lgkmcnt(0)
	v_fmac_f32_e32 v113, v115, v116
	s_andn2_b64 exec, exec, s[4:5]
	s_cbranch_execnz .LBB46_163
; %bb.164:
	s_or_b64 exec, exec, s[4:5]
.LBB46_165:
	s_or_b64 exec, exec, s[12:13]
	v_mov_b32_e32 v112, 0
	ds_read_b32 v112, v112 offset:116
	s_waitcnt lgkmcnt(0)
	v_mul_f32_e32 v112, v113, v112
	buffer_store_dword v112, off, s[0:3], 0 offset:116
.LBB46_166:
	s_or_b64 exec, exec, s[8:9]
	buffer_load_dword v112, off, s[0:3], 0 offset:112
	v_cmp_lt_u32_e64 s[4:5], 28, v0
	s_waitcnt vmcnt(0)
	ds_write_b32 v96, v112
	s_waitcnt lgkmcnt(0)
	; wave barrier
	s_waitcnt lgkmcnt(0)
	s_and_saveexec_b64 s[8:9], s[4:5]
	s_cbranch_execz .LBB46_176
; %bb.167:
	s_andn2_b64 vcc, exec, s[10:11]
	s_cbranch_vccnz .LBB46_169
; %bb.168:
	buffer_load_dword v112, v97, s[0:3], 0 offen
	ds_read_b32 v113, v96
	s_waitcnt vmcnt(0) lgkmcnt(0)
	v_mul_f32_e32 v112, v112, v113
	s_cbranch_execz .LBB46_170
	s_branch .LBB46_171
.LBB46_169:
                                        ; implicit-def: $vgpr112
.LBB46_170:
	ds_read_b32 v112, v96
.LBB46_171:
	s_and_saveexec_b64 s[12:13], s[6:7]
	s_cbranch_execz .LBB46_175
; %bb.172:
	v_mov_b32_e32 v113, 0
	v_add_u32_e32 v113, 0x74, v113
	v_subrev_u32_e32 v114, 29, v0
	s_movk_i32 s14, 0x134
	s_mov_b64 s[6:7], 0
.LBB46_173:                             ; =>This Inner Loop Header: Depth=1
	buffer_load_dword v115, v113, s[0:3], 0 offen
	v_mov_b32_e32 v116, s14
	ds_read_b32 v116, v116
	v_add_u32_e32 v114, -1, v114
	s_add_i32 s14, s14, 4
	v_cmp_eq_u32_e32 vcc, 0, v114
	v_add_u32_e32 v113, 4, v113
	s_or_b64 s[6:7], vcc, s[6:7]
	s_waitcnt vmcnt(0) lgkmcnt(0)
	v_fmac_f32_e32 v112, v115, v116
	s_andn2_b64 exec, exec, s[6:7]
	s_cbranch_execnz .LBB46_173
; %bb.174:
	s_or_b64 exec, exec, s[6:7]
.LBB46_175:
	s_or_b64 exec, exec, s[12:13]
	v_mov_b32_e32 v113, 0
	ds_read_b32 v113, v113 offset:112
	s_waitcnt lgkmcnt(0)
	v_mul_f32_e32 v112, v112, v113
	buffer_store_dword v112, off, s[0:3], 0 offset:112
.LBB46_176:
	s_or_b64 exec, exec, s[8:9]
	buffer_load_dword v112, off, s[0:3], 0 offset:108
	v_cmp_lt_u32_e64 s[6:7], 27, v0
	s_waitcnt vmcnt(0)
	ds_write_b32 v96, v112
	s_waitcnt lgkmcnt(0)
	; wave barrier
	s_waitcnt lgkmcnt(0)
	s_and_saveexec_b64 s[8:9], s[6:7]
	s_cbranch_execz .LBB46_186
; %bb.177:
	s_andn2_b64 vcc, exec, s[10:11]
	s_cbranch_vccnz .LBB46_179
; %bb.178:
	buffer_load_dword v112, v97, s[0:3], 0 offen
	ds_read_b32 v113, v96
	s_waitcnt vmcnt(0) lgkmcnt(0)
	v_mul_f32_e32 v112, v112, v113
	s_cbranch_execz .LBB46_180
	s_branch .LBB46_181
.LBB46_179:
                                        ; implicit-def: $vgpr112
.LBB46_180:
	ds_read_b32 v112, v96
.LBB46_181:
	s_and_saveexec_b64 s[12:13], s[4:5]
	s_cbranch_execz .LBB46_185
; %bb.182:
	v_subrev_u32_e32 v113, 28, v0
	s_movk_i32 s14, 0x130
	s_mov_b64 s[4:5], 0
.LBB46_183:                             ; =>This Inner Loop Header: Depth=1
	buffer_load_dword v114, v111, s[0:3], 0 offen
	v_mov_b32_e32 v115, s14
	ds_read_b32 v115, v115
	v_add_u32_e32 v113, -1, v113
	s_add_i32 s14, s14, 4
	v_cmp_eq_u32_e32 vcc, 0, v113
	v_add_u32_e32 v111, 4, v111
	s_or_b64 s[4:5], vcc, s[4:5]
	s_waitcnt vmcnt(0) lgkmcnt(0)
	v_fmac_f32_e32 v112, v114, v115
	s_andn2_b64 exec, exec, s[4:5]
	s_cbranch_execnz .LBB46_183
; %bb.184:
	s_or_b64 exec, exec, s[4:5]
.LBB46_185:
	s_or_b64 exec, exec, s[12:13]
	v_mov_b32_e32 v111, 0
	ds_read_b32 v111, v111 offset:108
	s_waitcnt lgkmcnt(0)
	v_mul_f32_e32 v111, v112, v111
	buffer_store_dword v111, off, s[0:3], 0 offset:108
.LBB46_186:
	s_or_b64 exec, exec, s[8:9]
	buffer_load_dword v111, off, s[0:3], 0 offset:104
	v_cmp_lt_u32_e64 s[4:5], 26, v0
	s_waitcnt vmcnt(0)
	ds_write_b32 v96, v111
	s_waitcnt lgkmcnt(0)
	; wave barrier
	s_waitcnt lgkmcnt(0)
	s_and_saveexec_b64 s[8:9], s[4:5]
	s_cbranch_execz .LBB46_196
; %bb.187:
	s_andn2_b64 vcc, exec, s[10:11]
	s_cbranch_vccnz .LBB46_189
; %bb.188:
	buffer_load_dword v111, v97, s[0:3], 0 offen
	ds_read_b32 v112, v96
	s_waitcnt vmcnt(0) lgkmcnt(0)
	v_mul_f32_e32 v111, v111, v112
	s_cbranch_execz .LBB46_190
	s_branch .LBB46_191
.LBB46_189:
                                        ; implicit-def: $vgpr111
.LBB46_190:
	ds_read_b32 v111, v96
.LBB46_191:
	s_and_saveexec_b64 s[12:13], s[6:7]
	s_cbranch_execz .LBB46_195
; %bb.192:
	v_mov_b32_e32 v112, 0
	v_add_u32_e32 v112, 0x6c, v112
	v_subrev_u32_e32 v113, 27, v0
	s_movk_i32 s14, 0x12c
	s_mov_b64 s[6:7], 0
.LBB46_193:                             ; =>This Inner Loop Header: Depth=1
	buffer_load_dword v114, v112, s[0:3], 0 offen
	v_mov_b32_e32 v115, s14
	ds_read_b32 v115, v115
	v_add_u32_e32 v113, -1, v113
	s_add_i32 s14, s14, 4
	v_cmp_eq_u32_e32 vcc, 0, v113
	v_add_u32_e32 v112, 4, v112
	s_or_b64 s[6:7], vcc, s[6:7]
	s_waitcnt vmcnt(0) lgkmcnt(0)
	v_fmac_f32_e32 v111, v114, v115
	s_andn2_b64 exec, exec, s[6:7]
	s_cbranch_execnz .LBB46_193
; %bb.194:
	s_or_b64 exec, exec, s[6:7]
.LBB46_195:
	s_or_b64 exec, exec, s[12:13]
	v_mov_b32_e32 v112, 0
	ds_read_b32 v112, v112 offset:104
	s_waitcnt lgkmcnt(0)
	v_mul_f32_e32 v111, v111, v112
	buffer_store_dword v111, off, s[0:3], 0 offset:104
.LBB46_196:
	s_or_b64 exec, exec, s[8:9]
	buffer_load_dword v111, off, s[0:3], 0 offset:100
	v_cmp_lt_u32_e64 s[6:7], 25, v0
	s_waitcnt vmcnt(0)
	ds_write_b32 v96, v111
	s_waitcnt lgkmcnt(0)
	; wave barrier
	s_waitcnt lgkmcnt(0)
	s_and_saveexec_b64 s[8:9], s[6:7]
	s_cbranch_execz .LBB46_206
; %bb.197:
	s_andn2_b64 vcc, exec, s[10:11]
	s_cbranch_vccnz .LBB46_199
; %bb.198:
	buffer_load_dword v111, v97, s[0:3], 0 offen
	ds_read_b32 v112, v96
	s_waitcnt vmcnt(0) lgkmcnt(0)
	v_mul_f32_e32 v111, v111, v112
	s_cbranch_execz .LBB46_200
	s_branch .LBB46_201
.LBB46_199:
                                        ; implicit-def: $vgpr111
.LBB46_200:
	ds_read_b32 v111, v96
.LBB46_201:
	s_and_saveexec_b64 s[12:13], s[4:5]
	s_cbranch_execz .LBB46_205
; %bb.202:
	v_subrev_u32_e32 v112, 26, v0
	s_movk_i32 s14, 0x128
	s_mov_b64 s[4:5], 0
.LBB46_203:                             ; =>This Inner Loop Header: Depth=1
	buffer_load_dword v113, v110, s[0:3], 0 offen
	v_mov_b32_e32 v114, s14
	ds_read_b32 v114, v114
	v_add_u32_e32 v112, -1, v112
	s_add_i32 s14, s14, 4
	v_cmp_eq_u32_e32 vcc, 0, v112
	v_add_u32_e32 v110, 4, v110
	s_or_b64 s[4:5], vcc, s[4:5]
	s_waitcnt vmcnt(0) lgkmcnt(0)
	v_fmac_f32_e32 v111, v113, v114
	s_andn2_b64 exec, exec, s[4:5]
	s_cbranch_execnz .LBB46_203
; %bb.204:
	s_or_b64 exec, exec, s[4:5]
.LBB46_205:
	s_or_b64 exec, exec, s[12:13]
	v_mov_b32_e32 v110, 0
	ds_read_b32 v110, v110 offset:100
	s_waitcnt lgkmcnt(0)
	v_mul_f32_e32 v110, v111, v110
	buffer_store_dword v110, off, s[0:3], 0 offset:100
.LBB46_206:
	s_or_b64 exec, exec, s[8:9]
	buffer_load_dword v110, off, s[0:3], 0 offset:96
	v_cmp_lt_u32_e64 s[4:5], 24, v0
	s_waitcnt vmcnt(0)
	ds_write_b32 v96, v110
	s_waitcnt lgkmcnt(0)
	; wave barrier
	s_waitcnt lgkmcnt(0)
	s_and_saveexec_b64 s[8:9], s[4:5]
	s_cbranch_execz .LBB46_216
; %bb.207:
	s_andn2_b64 vcc, exec, s[10:11]
	s_cbranch_vccnz .LBB46_209
; %bb.208:
	buffer_load_dword v110, v97, s[0:3], 0 offen
	ds_read_b32 v111, v96
	s_waitcnt vmcnt(0) lgkmcnt(0)
	v_mul_f32_e32 v110, v110, v111
	s_cbranch_execz .LBB46_210
	s_branch .LBB46_211
.LBB46_209:
                                        ; implicit-def: $vgpr110
.LBB46_210:
	ds_read_b32 v110, v96
.LBB46_211:
	s_and_saveexec_b64 s[12:13], s[6:7]
	s_cbranch_execz .LBB46_215
; %bb.212:
	v_mov_b32_e32 v111, 0
	v_add_u32_e32 v111, 0x64, v111
	v_subrev_u32_e32 v112, 25, v0
	s_movk_i32 s14, 0x124
	s_mov_b64 s[6:7], 0
.LBB46_213:                             ; =>This Inner Loop Header: Depth=1
	buffer_load_dword v113, v111, s[0:3], 0 offen
	v_mov_b32_e32 v114, s14
	ds_read_b32 v114, v114
	v_add_u32_e32 v112, -1, v112
	s_add_i32 s14, s14, 4
	v_cmp_eq_u32_e32 vcc, 0, v112
	v_add_u32_e32 v111, 4, v111
	s_or_b64 s[6:7], vcc, s[6:7]
	s_waitcnt vmcnt(0) lgkmcnt(0)
	v_fmac_f32_e32 v110, v113, v114
	s_andn2_b64 exec, exec, s[6:7]
	s_cbranch_execnz .LBB46_213
; %bb.214:
	s_or_b64 exec, exec, s[6:7]
.LBB46_215:
	s_or_b64 exec, exec, s[12:13]
	v_mov_b32_e32 v111, 0
	ds_read_b32 v111, v111 offset:96
	s_waitcnt lgkmcnt(0)
	v_mul_f32_e32 v110, v110, v111
	buffer_store_dword v110, off, s[0:3], 0 offset:96
.LBB46_216:
	s_or_b64 exec, exec, s[8:9]
	buffer_load_dword v110, off, s[0:3], 0 offset:92
	v_cmp_lt_u32_e64 s[6:7], 23, v0
	s_waitcnt vmcnt(0)
	ds_write_b32 v96, v110
	s_waitcnt lgkmcnt(0)
	; wave barrier
	s_waitcnt lgkmcnt(0)
	s_and_saveexec_b64 s[8:9], s[6:7]
	s_cbranch_execz .LBB46_226
; %bb.217:
	s_andn2_b64 vcc, exec, s[10:11]
	s_cbranch_vccnz .LBB46_219
; %bb.218:
	buffer_load_dword v110, v97, s[0:3], 0 offen
	ds_read_b32 v111, v96
	s_waitcnt vmcnt(0) lgkmcnt(0)
	v_mul_f32_e32 v110, v110, v111
	s_cbranch_execz .LBB46_220
	s_branch .LBB46_221
.LBB46_219:
                                        ; implicit-def: $vgpr110
.LBB46_220:
	ds_read_b32 v110, v96
.LBB46_221:
	s_and_saveexec_b64 s[12:13], s[4:5]
	s_cbranch_execz .LBB46_225
; %bb.222:
	v_subrev_u32_e32 v111, 24, v0
	s_movk_i32 s14, 0x120
	s_mov_b64 s[4:5], 0
.LBB46_223:                             ; =>This Inner Loop Header: Depth=1
	buffer_load_dword v112, v109, s[0:3], 0 offen
	v_mov_b32_e32 v113, s14
	ds_read_b32 v113, v113
	v_add_u32_e32 v111, -1, v111
	s_add_i32 s14, s14, 4
	v_cmp_eq_u32_e32 vcc, 0, v111
	v_add_u32_e32 v109, 4, v109
	s_or_b64 s[4:5], vcc, s[4:5]
	s_waitcnt vmcnt(0) lgkmcnt(0)
	v_fmac_f32_e32 v110, v112, v113
	s_andn2_b64 exec, exec, s[4:5]
	s_cbranch_execnz .LBB46_223
; %bb.224:
	s_or_b64 exec, exec, s[4:5]
.LBB46_225:
	s_or_b64 exec, exec, s[12:13]
	v_mov_b32_e32 v109, 0
	ds_read_b32 v109, v109 offset:92
	s_waitcnt lgkmcnt(0)
	v_mul_f32_e32 v109, v110, v109
	buffer_store_dword v109, off, s[0:3], 0 offset:92
.LBB46_226:
	s_or_b64 exec, exec, s[8:9]
	buffer_load_dword v109, off, s[0:3], 0 offset:88
	v_cmp_lt_u32_e64 s[4:5], 22, v0
	s_waitcnt vmcnt(0)
	ds_write_b32 v96, v109
	s_waitcnt lgkmcnt(0)
	; wave barrier
	s_waitcnt lgkmcnt(0)
	s_and_saveexec_b64 s[8:9], s[4:5]
	s_cbranch_execz .LBB46_236
; %bb.227:
	s_andn2_b64 vcc, exec, s[10:11]
	s_cbranch_vccnz .LBB46_229
; %bb.228:
	buffer_load_dword v109, v97, s[0:3], 0 offen
	ds_read_b32 v110, v96
	s_waitcnt vmcnt(0) lgkmcnt(0)
	v_mul_f32_e32 v109, v109, v110
	s_cbranch_execz .LBB46_230
	s_branch .LBB46_231
.LBB46_229:
                                        ; implicit-def: $vgpr109
.LBB46_230:
	ds_read_b32 v109, v96
.LBB46_231:
	s_and_saveexec_b64 s[12:13], s[6:7]
	s_cbranch_execz .LBB46_235
; %bb.232:
	v_mov_b32_e32 v110, 0
	v_add_u32_e32 v110, 0x5c, v110
	v_subrev_u32_e32 v111, 23, v0
	s_movk_i32 s14, 0x11c
	s_mov_b64 s[6:7], 0
.LBB46_233:                             ; =>This Inner Loop Header: Depth=1
	buffer_load_dword v112, v110, s[0:3], 0 offen
	v_mov_b32_e32 v113, s14
	ds_read_b32 v113, v113
	v_add_u32_e32 v111, -1, v111
	s_add_i32 s14, s14, 4
	v_cmp_eq_u32_e32 vcc, 0, v111
	v_add_u32_e32 v110, 4, v110
	s_or_b64 s[6:7], vcc, s[6:7]
	s_waitcnt vmcnt(0) lgkmcnt(0)
	v_fmac_f32_e32 v109, v112, v113
	s_andn2_b64 exec, exec, s[6:7]
	s_cbranch_execnz .LBB46_233
; %bb.234:
	s_or_b64 exec, exec, s[6:7]
.LBB46_235:
	s_or_b64 exec, exec, s[12:13]
	v_mov_b32_e32 v110, 0
	ds_read_b32 v110, v110 offset:88
	s_waitcnt lgkmcnt(0)
	v_mul_f32_e32 v109, v109, v110
	buffer_store_dword v109, off, s[0:3], 0 offset:88
.LBB46_236:
	s_or_b64 exec, exec, s[8:9]
	buffer_load_dword v109, off, s[0:3], 0 offset:84
	v_cmp_lt_u32_e64 s[6:7], 21, v0
	s_waitcnt vmcnt(0)
	ds_write_b32 v96, v109
	s_waitcnt lgkmcnt(0)
	; wave barrier
	s_waitcnt lgkmcnt(0)
	s_and_saveexec_b64 s[8:9], s[6:7]
	s_cbranch_execz .LBB46_246
; %bb.237:
	s_andn2_b64 vcc, exec, s[10:11]
	s_cbranch_vccnz .LBB46_239
; %bb.238:
	buffer_load_dword v109, v97, s[0:3], 0 offen
	ds_read_b32 v110, v96
	s_waitcnt vmcnt(0) lgkmcnt(0)
	v_mul_f32_e32 v109, v109, v110
	s_cbranch_execz .LBB46_240
	s_branch .LBB46_241
.LBB46_239:
                                        ; implicit-def: $vgpr109
.LBB46_240:
	ds_read_b32 v109, v96
.LBB46_241:
	s_and_saveexec_b64 s[12:13], s[4:5]
	s_cbranch_execz .LBB46_245
; %bb.242:
	v_subrev_u32_e32 v110, 22, v0
	s_movk_i32 s14, 0x118
	s_mov_b64 s[4:5], 0
.LBB46_243:                             ; =>This Inner Loop Header: Depth=1
	buffer_load_dword v111, v108, s[0:3], 0 offen
	v_mov_b32_e32 v112, s14
	ds_read_b32 v112, v112
	v_add_u32_e32 v110, -1, v110
	s_add_i32 s14, s14, 4
	v_cmp_eq_u32_e32 vcc, 0, v110
	v_add_u32_e32 v108, 4, v108
	s_or_b64 s[4:5], vcc, s[4:5]
	s_waitcnt vmcnt(0) lgkmcnt(0)
	v_fmac_f32_e32 v109, v111, v112
	s_andn2_b64 exec, exec, s[4:5]
	s_cbranch_execnz .LBB46_243
; %bb.244:
	s_or_b64 exec, exec, s[4:5]
.LBB46_245:
	s_or_b64 exec, exec, s[12:13]
	v_mov_b32_e32 v108, 0
	ds_read_b32 v108, v108 offset:84
	s_waitcnt lgkmcnt(0)
	v_mul_f32_e32 v108, v109, v108
	buffer_store_dword v108, off, s[0:3], 0 offset:84
.LBB46_246:
	s_or_b64 exec, exec, s[8:9]
	buffer_load_dword v108, off, s[0:3], 0 offset:80
	v_cmp_lt_u32_e64 s[4:5], 20, v0
	s_waitcnt vmcnt(0)
	ds_write_b32 v96, v108
	s_waitcnt lgkmcnt(0)
	; wave barrier
	s_waitcnt lgkmcnt(0)
	s_and_saveexec_b64 s[8:9], s[4:5]
	s_cbranch_execz .LBB46_256
; %bb.247:
	s_andn2_b64 vcc, exec, s[10:11]
	s_cbranch_vccnz .LBB46_249
; %bb.248:
	buffer_load_dword v108, v97, s[0:3], 0 offen
	ds_read_b32 v109, v96
	s_waitcnt vmcnt(0) lgkmcnt(0)
	v_mul_f32_e32 v108, v108, v109
	s_cbranch_execz .LBB46_250
	s_branch .LBB46_251
.LBB46_249:
                                        ; implicit-def: $vgpr108
.LBB46_250:
	ds_read_b32 v108, v96
.LBB46_251:
	s_and_saveexec_b64 s[12:13], s[6:7]
	s_cbranch_execz .LBB46_255
; %bb.252:
	v_mov_b32_e32 v109, 0
	v_add_u32_e32 v109, 0x54, v109
	v_subrev_u32_e32 v110, 21, v0
	s_movk_i32 s14, 0x114
	s_mov_b64 s[6:7], 0
.LBB46_253:                             ; =>This Inner Loop Header: Depth=1
	buffer_load_dword v111, v109, s[0:3], 0 offen
	v_mov_b32_e32 v112, s14
	ds_read_b32 v112, v112
	v_add_u32_e32 v110, -1, v110
	s_add_i32 s14, s14, 4
	v_cmp_eq_u32_e32 vcc, 0, v110
	v_add_u32_e32 v109, 4, v109
	s_or_b64 s[6:7], vcc, s[6:7]
	s_waitcnt vmcnt(0) lgkmcnt(0)
	v_fmac_f32_e32 v108, v111, v112
	s_andn2_b64 exec, exec, s[6:7]
	s_cbranch_execnz .LBB46_253
; %bb.254:
	s_or_b64 exec, exec, s[6:7]
.LBB46_255:
	s_or_b64 exec, exec, s[12:13]
	v_mov_b32_e32 v109, 0
	ds_read_b32 v109, v109 offset:80
	s_waitcnt lgkmcnt(0)
	v_mul_f32_e32 v108, v108, v109
	buffer_store_dword v108, off, s[0:3], 0 offset:80
.LBB46_256:
	s_or_b64 exec, exec, s[8:9]
	buffer_load_dword v108, off, s[0:3], 0 offset:76
	v_cmp_lt_u32_e64 s[6:7], 19, v0
	s_waitcnt vmcnt(0)
	ds_write_b32 v96, v108
	s_waitcnt lgkmcnt(0)
	; wave barrier
	s_waitcnt lgkmcnt(0)
	s_and_saveexec_b64 s[8:9], s[6:7]
	s_cbranch_execz .LBB46_266
; %bb.257:
	s_andn2_b64 vcc, exec, s[10:11]
	s_cbranch_vccnz .LBB46_259
; %bb.258:
	buffer_load_dword v108, v97, s[0:3], 0 offen
	ds_read_b32 v109, v96
	s_waitcnt vmcnt(0) lgkmcnt(0)
	v_mul_f32_e32 v108, v108, v109
	s_cbranch_execz .LBB46_260
	s_branch .LBB46_261
.LBB46_259:
                                        ; implicit-def: $vgpr108
.LBB46_260:
	ds_read_b32 v108, v96
.LBB46_261:
	s_and_saveexec_b64 s[12:13], s[4:5]
	s_cbranch_execz .LBB46_265
; %bb.262:
	v_subrev_u32_e32 v109, 20, v0
	s_movk_i32 s14, 0x110
	s_mov_b64 s[4:5], 0
.LBB46_263:                             ; =>This Inner Loop Header: Depth=1
	buffer_load_dword v110, v107, s[0:3], 0 offen
	v_mov_b32_e32 v111, s14
	ds_read_b32 v111, v111
	v_add_u32_e32 v109, -1, v109
	s_add_i32 s14, s14, 4
	v_cmp_eq_u32_e32 vcc, 0, v109
	v_add_u32_e32 v107, 4, v107
	s_or_b64 s[4:5], vcc, s[4:5]
	s_waitcnt vmcnt(0) lgkmcnt(0)
	v_fmac_f32_e32 v108, v110, v111
	s_andn2_b64 exec, exec, s[4:5]
	s_cbranch_execnz .LBB46_263
; %bb.264:
	s_or_b64 exec, exec, s[4:5]
.LBB46_265:
	s_or_b64 exec, exec, s[12:13]
	v_mov_b32_e32 v107, 0
	ds_read_b32 v107, v107 offset:76
	s_waitcnt lgkmcnt(0)
	v_mul_f32_e32 v107, v108, v107
	buffer_store_dword v107, off, s[0:3], 0 offset:76
.LBB46_266:
	s_or_b64 exec, exec, s[8:9]
	buffer_load_dword v107, off, s[0:3], 0 offset:72
	v_cmp_lt_u32_e64 s[4:5], 18, v0
	s_waitcnt vmcnt(0)
	ds_write_b32 v96, v107
	s_waitcnt lgkmcnt(0)
	; wave barrier
	s_waitcnt lgkmcnt(0)
	s_and_saveexec_b64 s[8:9], s[4:5]
	s_cbranch_execz .LBB46_276
; %bb.267:
	s_andn2_b64 vcc, exec, s[10:11]
	s_cbranch_vccnz .LBB46_269
; %bb.268:
	buffer_load_dword v107, v97, s[0:3], 0 offen
	ds_read_b32 v108, v96
	s_waitcnt vmcnt(0) lgkmcnt(0)
	v_mul_f32_e32 v107, v107, v108
	s_cbranch_execz .LBB46_270
	s_branch .LBB46_271
.LBB46_269:
                                        ; implicit-def: $vgpr107
.LBB46_270:
	ds_read_b32 v107, v96
.LBB46_271:
	s_and_saveexec_b64 s[12:13], s[6:7]
	s_cbranch_execz .LBB46_275
; %bb.272:
	v_mov_b32_e32 v108, 0
	v_add_u32_e32 v108, 0x4c, v108
	v_subrev_u32_e32 v109, 19, v0
	s_movk_i32 s14, 0x10c
	s_mov_b64 s[6:7], 0
.LBB46_273:                             ; =>This Inner Loop Header: Depth=1
	buffer_load_dword v110, v108, s[0:3], 0 offen
	v_mov_b32_e32 v111, s14
	ds_read_b32 v111, v111
	v_add_u32_e32 v109, -1, v109
	s_add_i32 s14, s14, 4
	v_cmp_eq_u32_e32 vcc, 0, v109
	v_add_u32_e32 v108, 4, v108
	s_or_b64 s[6:7], vcc, s[6:7]
	s_waitcnt vmcnt(0) lgkmcnt(0)
	v_fmac_f32_e32 v107, v110, v111
	s_andn2_b64 exec, exec, s[6:7]
	s_cbranch_execnz .LBB46_273
; %bb.274:
	s_or_b64 exec, exec, s[6:7]
.LBB46_275:
	s_or_b64 exec, exec, s[12:13]
	v_mov_b32_e32 v108, 0
	ds_read_b32 v108, v108 offset:72
	s_waitcnt lgkmcnt(0)
	v_mul_f32_e32 v107, v107, v108
	buffer_store_dword v107, off, s[0:3], 0 offset:72
.LBB46_276:
	s_or_b64 exec, exec, s[8:9]
	buffer_load_dword v107, off, s[0:3], 0 offset:68
	v_cmp_lt_u32_e64 s[6:7], 17, v0
	s_waitcnt vmcnt(0)
	ds_write_b32 v96, v107
	s_waitcnt lgkmcnt(0)
	; wave barrier
	s_waitcnt lgkmcnt(0)
	s_and_saveexec_b64 s[8:9], s[6:7]
	s_cbranch_execz .LBB46_286
; %bb.277:
	s_andn2_b64 vcc, exec, s[10:11]
	s_cbranch_vccnz .LBB46_279
; %bb.278:
	buffer_load_dword v107, v97, s[0:3], 0 offen
	ds_read_b32 v108, v96
	s_waitcnt vmcnt(0) lgkmcnt(0)
	v_mul_f32_e32 v107, v107, v108
	s_cbranch_execz .LBB46_280
	s_branch .LBB46_281
.LBB46_279:
                                        ; implicit-def: $vgpr107
.LBB46_280:
	ds_read_b32 v107, v96
.LBB46_281:
	s_and_saveexec_b64 s[12:13], s[4:5]
	s_cbranch_execz .LBB46_285
; %bb.282:
	v_subrev_u32_e32 v108, 18, v0
	s_movk_i32 s14, 0x108
	s_mov_b64 s[4:5], 0
.LBB46_283:                             ; =>This Inner Loop Header: Depth=1
	buffer_load_dword v109, v106, s[0:3], 0 offen
	v_mov_b32_e32 v110, s14
	ds_read_b32 v110, v110
	v_add_u32_e32 v108, -1, v108
	s_add_i32 s14, s14, 4
	v_cmp_eq_u32_e32 vcc, 0, v108
	v_add_u32_e32 v106, 4, v106
	s_or_b64 s[4:5], vcc, s[4:5]
	s_waitcnt vmcnt(0) lgkmcnt(0)
	v_fmac_f32_e32 v107, v109, v110
	s_andn2_b64 exec, exec, s[4:5]
	s_cbranch_execnz .LBB46_283
; %bb.284:
	s_or_b64 exec, exec, s[4:5]
.LBB46_285:
	s_or_b64 exec, exec, s[12:13]
	v_mov_b32_e32 v106, 0
	ds_read_b32 v106, v106 offset:68
	s_waitcnt lgkmcnt(0)
	v_mul_f32_e32 v106, v107, v106
	buffer_store_dword v106, off, s[0:3], 0 offset:68
.LBB46_286:
	s_or_b64 exec, exec, s[8:9]
	buffer_load_dword v106, off, s[0:3], 0 offset:64
	v_cmp_lt_u32_e64 s[4:5], 16, v0
	s_waitcnt vmcnt(0)
	ds_write_b32 v96, v106
	s_waitcnt lgkmcnt(0)
	; wave barrier
	s_waitcnt lgkmcnt(0)
	s_and_saveexec_b64 s[8:9], s[4:5]
	s_cbranch_execz .LBB46_296
; %bb.287:
	s_andn2_b64 vcc, exec, s[10:11]
	s_cbranch_vccnz .LBB46_289
; %bb.288:
	buffer_load_dword v106, v97, s[0:3], 0 offen
	ds_read_b32 v107, v96
	s_waitcnt vmcnt(0) lgkmcnt(0)
	v_mul_f32_e32 v106, v106, v107
	s_cbranch_execz .LBB46_290
	s_branch .LBB46_291
.LBB46_289:
                                        ; implicit-def: $vgpr106
.LBB46_290:
	ds_read_b32 v106, v96
.LBB46_291:
	s_and_saveexec_b64 s[12:13], s[6:7]
	s_cbranch_execz .LBB46_295
; %bb.292:
	v_mov_b32_e32 v107, 0
	v_add_u32_e32 v107, 0x44, v107
	v_subrev_u32_e32 v108, 17, v0
	s_movk_i32 s14, 0x104
	s_mov_b64 s[6:7], 0
.LBB46_293:                             ; =>This Inner Loop Header: Depth=1
	buffer_load_dword v109, v107, s[0:3], 0 offen
	v_mov_b32_e32 v110, s14
	ds_read_b32 v110, v110
	v_add_u32_e32 v108, -1, v108
	s_add_i32 s14, s14, 4
	v_cmp_eq_u32_e32 vcc, 0, v108
	v_add_u32_e32 v107, 4, v107
	s_or_b64 s[6:7], vcc, s[6:7]
	s_waitcnt vmcnt(0) lgkmcnt(0)
	v_fmac_f32_e32 v106, v109, v110
	s_andn2_b64 exec, exec, s[6:7]
	s_cbranch_execnz .LBB46_293
; %bb.294:
	s_or_b64 exec, exec, s[6:7]
.LBB46_295:
	s_or_b64 exec, exec, s[12:13]
	v_mov_b32_e32 v107, 0
	ds_read_b32 v107, v107 offset:64
	s_waitcnt lgkmcnt(0)
	v_mul_f32_e32 v106, v106, v107
	buffer_store_dword v106, off, s[0:3], 0 offset:64
.LBB46_296:
	s_or_b64 exec, exec, s[8:9]
	buffer_load_dword v106, off, s[0:3], 0 offset:60
	v_cmp_lt_u32_e64 s[6:7], 15, v0
	s_waitcnt vmcnt(0)
	ds_write_b32 v96, v106
	s_waitcnt lgkmcnt(0)
	; wave barrier
	s_waitcnt lgkmcnt(0)
	s_and_saveexec_b64 s[8:9], s[6:7]
	s_cbranch_execz .LBB46_306
; %bb.297:
	s_andn2_b64 vcc, exec, s[10:11]
	s_cbranch_vccnz .LBB46_299
; %bb.298:
	buffer_load_dword v106, v97, s[0:3], 0 offen
	ds_read_b32 v107, v96
	s_waitcnt vmcnt(0) lgkmcnt(0)
	v_mul_f32_e32 v106, v106, v107
	s_cbranch_execz .LBB46_300
	s_branch .LBB46_301
.LBB46_299:
                                        ; implicit-def: $vgpr106
.LBB46_300:
	ds_read_b32 v106, v96
.LBB46_301:
	s_and_saveexec_b64 s[12:13], s[4:5]
	s_cbranch_execz .LBB46_305
; %bb.302:
	v_add_u32_e32 v107, -16, v0
	s_movk_i32 s14, 0x100
	s_mov_b64 s[4:5], 0
.LBB46_303:                             ; =>This Inner Loop Header: Depth=1
	buffer_load_dword v108, v105, s[0:3], 0 offen
	v_mov_b32_e32 v109, s14
	ds_read_b32 v109, v109
	v_add_u32_e32 v107, -1, v107
	s_add_i32 s14, s14, 4
	v_cmp_eq_u32_e32 vcc, 0, v107
	v_add_u32_e32 v105, 4, v105
	s_or_b64 s[4:5], vcc, s[4:5]
	s_waitcnt vmcnt(0) lgkmcnt(0)
	v_fmac_f32_e32 v106, v108, v109
	s_andn2_b64 exec, exec, s[4:5]
	s_cbranch_execnz .LBB46_303
; %bb.304:
	s_or_b64 exec, exec, s[4:5]
.LBB46_305:
	s_or_b64 exec, exec, s[12:13]
	v_mov_b32_e32 v105, 0
	ds_read_b32 v105, v105 offset:60
	s_waitcnt lgkmcnt(0)
	v_mul_f32_e32 v105, v106, v105
	buffer_store_dword v105, off, s[0:3], 0 offset:60
.LBB46_306:
	s_or_b64 exec, exec, s[8:9]
	buffer_load_dword v105, off, s[0:3], 0 offset:56
	v_cmp_lt_u32_e64 s[4:5], 14, v0
	s_waitcnt vmcnt(0)
	ds_write_b32 v96, v105
	s_waitcnt lgkmcnt(0)
	; wave barrier
	s_waitcnt lgkmcnt(0)
	s_and_saveexec_b64 s[8:9], s[4:5]
	s_cbranch_execz .LBB46_316
; %bb.307:
	s_andn2_b64 vcc, exec, s[10:11]
	s_cbranch_vccnz .LBB46_309
; %bb.308:
	buffer_load_dword v105, v97, s[0:3], 0 offen
	ds_read_b32 v106, v96
	s_waitcnt vmcnt(0) lgkmcnt(0)
	v_mul_f32_e32 v105, v105, v106
	s_cbranch_execz .LBB46_310
	s_branch .LBB46_311
.LBB46_309:
                                        ; implicit-def: $vgpr105
.LBB46_310:
	ds_read_b32 v105, v96
.LBB46_311:
	s_and_saveexec_b64 s[12:13], s[6:7]
	s_cbranch_execz .LBB46_315
; %bb.312:
	v_mov_b32_e32 v106, 0
	v_add_u32_e32 v106, 60, v106
	v_add_u32_e32 v107, -15, v0
	s_movk_i32 s14, 0xfc
	s_mov_b64 s[6:7], 0
.LBB46_313:                             ; =>This Inner Loop Header: Depth=1
	buffer_load_dword v108, v106, s[0:3], 0 offen
	v_mov_b32_e32 v109, s14
	ds_read_b32 v109, v109
	v_add_u32_e32 v107, -1, v107
	s_add_i32 s14, s14, 4
	v_cmp_eq_u32_e32 vcc, 0, v107
	v_add_u32_e32 v106, 4, v106
	s_or_b64 s[6:7], vcc, s[6:7]
	s_waitcnt vmcnt(0) lgkmcnt(0)
	v_fmac_f32_e32 v105, v108, v109
	s_andn2_b64 exec, exec, s[6:7]
	s_cbranch_execnz .LBB46_313
; %bb.314:
	s_or_b64 exec, exec, s[6:7]
.LBB46_315:
	s_or_b64 exec, exec, s[12:13]
	v_mov_b32_e32 v106, 0
	ds_read_b32 v106, v106 offset:56
	s_waitcnt lgkmcnt(0)
	v_mul_f32_e32 v105, v105, v106
	buffer_store_dword v105, off, s[0:3], 0 offset:56
.LBB46_316:
	s_or_b64 exec, exec, s[8:9]
	buffer_load_dword v105, off, s[0:3], 0 offset:52
	v_cmp_lt_u32_e64 s[6:7], 13, v0
	s_waitcnt vmcnt(0)
	ds_write_b32 v96, v105
	s_waitcnt lgkmcnt(0)
	; wave barrier
	s_waitcnt lgkmcnt(0)
	s_and_saveexec_b64 s[8:9], s[6:7]
	s_cbranch_execz .LBB46_326
; %bb.317:
	s_andn2_b64 vcc, exec, s[10:11]
	s_cbranch_vccnz .LBB46_319
; %bb.318:
	buffer_load_dword v105, v97, s[0:3], 0 offen
	ds_read_b32 v106, v96
	s_waitcnt vmcnt(0) lgkmcnt(0)
	v_mul_f32_e32 v105, v105, v106
	s_cbranch_execz .LBB46_320
	s_branch .LBB46_321
.LBB46_319:
                                        ; implicit-def: $vgpr105
.LBB46_320:
	ds_read_b32 v105, v96
.LBB46_321:
	s_and_saveexec_b64 s[12:13], s[4:5]
	s_cbranch_execz .LBB46_325
; %bb.322:
	v_add_u32_e32 v106, -14, v0
	s_movk_i32 s14, 0xf8
	s_mov_b64 s[4:5], 0
.LBB46_323:                             ; =>This Inner Loop Header: Depth=1
	buffer_load_dword v107, v104, s[0:3], 0 offen
	v_mov_b32_e32 v108, s14
	ds_read_b32 v108, v108
	v_add_u32_e32 v106, -1, v106
	s_add_i32 s14, s14, 4
	v_cmp_eq_u32_e32 vcc, 0, v106
	v_add_u32_e32 v104, 4, v104
	s_or_b64 s[4:5], vcc, s[4:5]
	s_waitcnt vmcnt(0) lgkmcnt(0)
	v_fmac_f32_e32 v105, v107, v108
	s_andn2_b64 exec, exec, s[4:5]
	s_cbranch_execnz .LBB46_323
; %bb.324:
	s_or_b64 exec, exec, s[4:5]
.LBB46_325:
	s_or_b64 exec, exec, s[12:13]
	v_mov_b32_e32 v104, 0
	ds_read_b32 v104, v104 offset:52
	s_waitcnt lgkmcnt(0)
	v_mul_f32_e32 v104, v105, v104
	buffer_store_dword v104, off, s[0:3], 0 offset:52
.LBB46_326:
	s_or_b64 exec, exec, s[8:9]
	buffer_load_dword v104, off, s[0:3], 0 offset:48
	v_cmp_lt_u32_e64 s[4:5], 12, v0
	s_waitcnt vmcnt(0)
	ds_write_b32 v96, v104
	s_waitcnt lgkmcnt(0)
	; wave barrier
	s_waitcnt lgkmcnt(0)
	s_and_saveexec_b64 s[8:9], s[4:5]
	s_cbranch_execz .LBB46_336
; %bb.327:
	s_andn2_b64 vcc, exec, s[10:11]
	s_cbranch_vccnz .LBB46_329
; %bb.328:
	buffer_load_dword v104, v97, s[0:3], 0 offen
	ds_read_b32 v105, v96
	s_waitcnt vmcnt(0) lgkmcnt(0)
	v_mul_f32_e32 v104, v104, v105
	s_cbranch_execz .LBB46_330
	s_branch .LBB46_331
.LBB46_329:
                                        ; implicit-def: $vgpr104
.LBB46_330:
	ds_read_b32 v104, v96
.LBB46_331:
	s_and_saveexec_b64 s[12:13], s[6:7]
	s_cbranch_execz .LBB46_335
; %bb.332:
	v_mov_b32_e32 v105, 0
	v_add_u32_e32 v105, 52, v105
	v_add_u32_e32 v106, -13, v0
	s_movk_i32 s14, 0xf4
	s_mov_b64 s[6:7], 0
.LBB46_333:                             ; =>This Inner Loop Header: Depth=1
	buffer_load_dword v107, v105, s[0:3], 0 offen
	v_mov_b32_e32 v108, s14
	ds_read_b32 v108, v108
	v_add_u32_e32 v106, -1, v106
	s_add_i32 s14, s14, 4
	v_cmp_eq_u32_e32 vcc, 0, v106
	v_add_u32_e32 v105, 4, v105
	s_or_b64 s[6:7], vcc, s[6:7]
	s_waitcnt vmcnt(0) lgkmcnt(0)
	v_fmac_f32_e32 v104, v107, v108
	s_andn2_b64 exec, exec, s[6:7]
	s_cbranch_execnz .LBB46_333
; %bb.334:
	s_or_b64 exec, exec, s[6:7]
.LBB46_335:
	s_or_b64 exec, exec, s[12:13]
	v_mov_b32_e32 v105, 0
	ds_read_b32 v105, v105 offset:48
	s_waitcnt lgkmcnt(0)
	v_mul_f32_e32 v104, v104, v105
	buffer_store_dword v104, off, s[0:3], 0 offset:48
.LBB46_336:
	s_or_b64 exec, exec, s[8:9]
	buffer_load_dword v104, off, s[0:3], 0 offset:44
	v_cmp_lt_u32_e64 s[6:7], 11, v0
	s_waitcnt vmcnt(0)
	ds_write_b32 v96, v104
	s_waitcnt lgkmcnt(0)
	; wave barrier
	s_waitcnt lgkmcnt(0)
	s_and_saveexec_b64 s[8:9], s[6:7]
	s_cbranch_execz .LBB46_346
; %bb.337:
	s_andn2_b64 vcc, exec, s[10:11]
	s_cbranch_vccnz .LBB46_339
; %bb.338:
	buffer_load_dword v104, v97, s[0:3], 0 offen
	ds_read_b32 v105, v96
	s_waitcnt vmcnt(0) lgkmcnt(0)
	v_mul_f32_e32 v104, v104, v105
	s_cbranch_execz .LBB46_340
	s_branch .LBB46_341
.LBB46_339:
                                        ; implicit-def: $vgpr104
.LBB46_340:
	ds_read_b32 v104, v96
.LBB46_341:
	s_and_saveexec_b64 s[12:13], s[4:5]
	s_cbranch_execz .LBB46_345
; %bb.342:
	v_add_u32_e32 v105, -12, v0
	s_movk_i32 s14, 0xf0
	s_mov_b64 s[4:5], 0
.LBB46_343:                             ; =>This Inner Loop Header: Depth=1
	buffer_load_dword v106, v103, s[0:3], 0 offen
	v_mov_b32_e32 v107, s14
	ds_read_b32 v107, v107
	v_add_u32_e32 v105, -1, v105
	s_add_i32 s14, s14, 4
	v_cmp_eq_u32_e32 vcc, 0, v105
	v_add_u32_e32 v103, 4, v103
	s_or_b64 s[4:5], vcc, s[4:5]
	s_waitcnt vmcnt(0) lgkmcnt(0)
	v_fmac_f32_e32 v104, v106, v107
	s_andn2_b64 exec, exec, s[4:5]
	s_cbranch_execnz .LBB46_343
; %bb.344:
	s_or_b64 exec, exec, s[4:5]
.LBB46_345:
	s_or_b64 exec, exec, s[12:13]
	v_mov_b32_e32 v103, 0
	ds_read_b32 v103, v103 offset:44
	s_waitcnt lgkmcnt(0)
	v_mul_f32_e32 v103, v104, v103
	buffer_store_dword v103, off, s[0:3], 0 offset:44
.LBB46_346:
	s_or_b64 exec, exec, s[8:9]
	buffer_load_dword v103, off, s[0:3], 0 offset:40
	v_cmp_lt_u32_e64 s[4:5], 10, v0
	s_waitcnt vmcnt(0)
	ds_write_b32 v96, v103
	s_waitcnt lgkmcnt(0)
	; wave barrier
	s_waitcnt lgkmcnt(0)
	s_and_saveexec_b64 s[8:9], s[4:5]
	s_cbranch_execz .LBB46_356
; %bb.347:
	s_andn2_b64 vcc, exec, s[10:11]
	s_cbranch_vccnz .LBB46_349
; %bb.348:
	buffer_load_dword v103, v97, s[0:3], 0 offen
	ds_read_b32 v104, v96
	s_waitcnt vmcnt(0) lgkmcnt(0)
	v_mul_f32_e32 v103, v103, v104
	s_cbranch_execz .LBB46_350
	s_branch .LBB46_351
.LBB46_349:
                                        ; implicit-def: $vgpr103
.LBB46_350:
	ds_read_b32 v103, v96
.LBB46_351:
	s_and_saveexec_b64 s[12:13], s[6:7]
	s_cbranch_execz .LBB46_355
; %bb.352:
	v_mov_b32_e32 v104, 0
	v_add_u32_e32 v104, 44, v104
	v_add_u32_e32 v105, -11, v0
	s_movk_i32 s14, 0xec
	s_mov_b64 s[6:7], 0
.LBB46_353:                             ; =>This Inner Loop Header: Depth=1
	buffer_load_dword v106, v104, s[0:3], 0 offen
	v_mov_b32_e32 v107, s14
	ds_read_b32 v107, v107
	v_add_u32_e32 v105, -1, v105
	s_add_i32 s14, s14, 4
	v_cmp_eq_u32_e32 vcc, 0, v105
	v_add_u32_e32 v104, 4, v104
	s_or_b64 s[6:7], vcc, s[6:7]
	s_waitcnt vmcnt(0) lgkmcnt(0)
	v_fmac_f32_e32 v103, v106, v107
	s_andn2_b64 exec, exec, s[6:7]
	s_cbranch_execnz .LBB46_353
; %bb.354:
	s_or_b64 exec, exec, s[6:7]
.LBB46_355:
	s_or_b64 exec, exec, s[12:13]
	v_mov_b32_e32 v104, 0
	ds_read_b32 v104, v104 offset:40
	s_waitcnt lgkmcnt(0)
	v_mul_f32_e32 v103, v103, v104
	buffer_store_dword v103, off, s[0:3], 0 offset:40
.LBB46_356:
	s_or_b64 exec, exec, s[8:9]
	buffer_load_dword v103, off, s[0:3], 0 offset:36
	v_cmp_lt_u32_e64 s[6:7], 9, v0
	s_waitcnt vmcnt(0)
	ds_write_b32 v96, v103
	s_waitcnt lgkmcnt(0)
	; wave barrier
	s_waitcnt lgkmcnt(0)
	s_and_saveexec_b64 s[8:9], s[6:7]
	s_cbranch_execz .LBB46_366
; %bb.357:
	s_andn2_b64 vcc, exec, s[10:11]
	s_cbranch_vccnz .LBB46_359
; %bb.358:
	buffer_load_dword v103, v97, s[0:3], 0 offen
	ds_read_b32 v104, v96
	s_waitcnt vmcnt(0) lgkmcnt(0)
	v_mul_f32_e32 v103, v103, v104
	s_cbranch_execz .LBB46_360
	s_branch .LBB46_361
.LBB46_359:
                                        ; implicit-def: $vgpr103
.LBB46_360:
	ds_read_b32 v103, v96
.LBB46_361:
	s_and_saveexec_b64 s[12:13], s[4:5]
	s_cbranch_execz .LBB46_365
; %bb.362:
	v_add_u32_e32 v104, -10, v0
	s_movk_i32 s14, 0xe8
	s_mov_b64 s[4:5], 0
.LBB46_363:                             ; =>This Inner Loop Header: Depth=1
	buffer_load_dword v105, v102, s[0:3], 0 offen
	v_mov_b32_e32 v106, s14
	ds_read_b32 v106, v106
	v_add_u32_e32 v104, -1, v104
	s_add_i32 s14, s14, 4
	v_cmp_eq_u32_e32 vcc, 0, v104
	v_add_u32_e32 v102, 4, v102
	s_or_b64 s[4:5], vcc, s[4:5]
	s_waitcnt vmcnt(0) lgkmcnt(0)
	v_fmac_f32_e32 v103, v105, v106
	s_andn2_b64 exec, exec, s[4:5]
	s_cbranch_execnz .LBB46_363
; %bb.364:
	s_or_b64 exec, exec, s[4:5]
.LBB46_365:
	s_or_b64 exec, exec, s[12:13]
	v_mov_b32_e32 v102, 0
	ds_read_b32 v102, v102 offset:36
	s_waitcnt lgkmcnt(0)
	v_mul_f32_e32 v102, v103, v102
	buffer_store_dword v102, off, s[0:3], 0 offset:36
.LBB46_366:
	s_or_b64 exec, exec, s[8:9]
	buffer_load_dword v102, off, s[0:3], 0 offset:32
	v_cmp_lt_u32_e64 s[4:5], 8, v0
	s_waitcnt vmcnt(0)
	ds_write_b32 v96, v102
	s_waitcnt lgkmcnt(0)
	; wave barrier
	s_waitcnt lgkmcnt(0)
	s_and_saveexec_b64 s[8:9], s[4:5]
	s_cbranch_execz .LBB46_376
; %bb.367:
	s_andn2_b64 vcc, exec, s[10:11]
	s_cbranch_vccnz .LBB46_369
; %bb.368:
	buffer_load_dword v102, v97, s[0:3], 0 offen
	ds_read_b32 v103, v96
	s_waitcnt vmcnt(0) lgkmcnt(0)
	v_mul_f32_e32 v102, v102, v103
	s_cbranch_execz .LBB46_370
	s_branch .LBB46_371
.LBB46_369:
                                        ; implicit-def: $vgpr102
.LBB46_370:
	ds_read_b32 v102, v96
.LBB46_371:
	s_and_saveexec_b64 s[12:13], s[6:7]
	s_cbranch_execz .LBB46_375
; %bb.372:
	v_mov_b32_e32 v103, 0
	v_add_u32_e32 v103, 36, v103
	v_add_u32_e32 v104, -9, v0
	s_movk_i32 s14, 0xe4
	s_mov_b64 s[6:7], 0
.LBB46_373:                             ; =>This Inner Loop Header: Depth=1
	buffer_load_dword v105, v103, s[0:3], 0 offen
	v_mov_b32_e32 v106, s14
	ds_read_b32 v106, v106
	v_add_u32_e32 v104, -1, v104
	s_add_i32 s14, s14, 4
	v_cmp_eq_u32_e32 vcc, 0, v104
	v_add_u32_e32 v103, 4, v103
	s_or_b64 s[6:7], vcc, s[6:7]
	s_waitcnt vmcnt(0) lgkmcnt(0)
	v_fmac_f32_e32 v102, v105, v106
	s_andn2_b64 exec, exec, s[6:7]
	s_cbranch_execnz .LBB46_373
; %bb.374:
	s_or_b64 exec, exec, s[6:7]
.LBB46_375:
	s_or_b64 exec, exec, s[12:13]
	v_mov_b32_e32 v103, 0
	ds_read_b32 v103, v103 offset:32
	s_waitcnt lgkmcnt(0)
	v_mul_f32_e32 v102, v102, v103
	buffer_store_dword v102, off, s[0:3], 0 offset:32
.LBB46_376:
	s_or_b64 exec, exec, s[8:9]
	buffer_load_dword v102, off, s[0:3], 0 offset:28
	v_cmp_lt_u32_e64 s[6:7], 7, v0
	s_waitcnt vmcnt(0)
	ds_write_b32 v96, v102
	s_waitcnt lgkmcnt(0)
	; wave barrier
	s_waitcnt lgkmcnt(0)
	s_and_saveexec_b64 s[8:9], s[6:7]
	s_cbranch_execz .LBB46_386
; %bb.377:
	s_andn2_b64 vcc, exec, s[10:11]
	s_cbranch_vccnz .LBB46_379
; %bb.378:
	buffer_load_dword v102, v97, s[0:3], 0 offen
	ds_read_b32 v103, v96
	s_waitcnt vmcnt(0) lgkmcnt(0)
	v_mul_f32_e32 v102, v102, v103
	s_cbranch_execz .LBB46_380
	s_branch .LBB46_381
.LBB46_379:
                                        ; implicit-def: $vgpr102
.LBB46_380:
	ds_read_b32 v102, v96
.LBB46_381:
	s_and_saveexec_b64 s[12:13], s[4:5]
	s_cbranch_execz .LBB46_385
; %bb.382:
	v_add_u32_e32 v103, -8, v0
	s_movk_i32 s14, 0xe0
	s_mov_b64 s[4:5], 0
.LBB46_383:                             ; =>This Inner Loop Header: Depth=1
	buffer_load_dword v104, v101, s[0:3], 0 offen
	v_mov_b32_e32 v105, s14
	ds_read_b32 v105, v105
	v_add_u32_e32 v103, -1, v103
	s_add_i32 s14, s14, 4
	v_cmp_eq_u32_e32 vcc, 0, v103
	v_add_u32_e32 v101, 4, v101
	s_or_b64 s[4:5], vcc, s[4:5]
	s_waitcnt vmcnt(0) lgkmcnt(0)
	v_fmac_f32_e32 v102, v104, v105
	s_andn2_b64 exec, exec, s[4:5]
	s_cbranch_execnz .LBB46_383
; %bb.384:
	s_or_b64 exec, exec, s[4:5]
.LBB46_385:
	s_or_b64 exec, exec, s[12:13]
	v_mov_b32_e32 v101, 0
	ds_read_b32 v101, v101 offset:28
	s_waitcnt lgkmcnt(0)
	v_mul_f32_e32 v101, v102, v101
	buffer_store_dword v101, off, s[0:3], 0 offset:28
.LBB46_386:
	s_or_b64 exec, exec, s[8:9]
	buffer_load_dword v101, off, s[0:3], 0 offset:24
	v_cmp_lt_u32_e64 s[4:5], 6, v0
	s_waitcnt vmcnt(0)
	ds_write_b32 v96, v101
	s_waitcnt lgkmcnt(0)
	; wave barrier
	s_waitcnt lgkmcnt(0)
	s_and_saveexec_b64 s[8:9], s[4:5]
	s_cbranch_execz .LBB46_396
; %bb.387:
	s_andn2_b64 vcc, exec, s[10:11]
	s_cbranch_vccnz .LBB46_389
; %bb.388:
	buffer_load_dword v101, v97, s[0:3], 0 offen
	ds_read_b32 v102, v96
	s_waitcnt vmcnt(0) lgkmcnt(0)
	v_mul_f32_e32 v101, v101, v102
	s_cbranch_execz .LBB46_390
	s_branch .LBB46_391
.LBB46_389:
                                        ; implicit-def: $vgpr101
.LBB46_390:
	ds_read_b32 v101, v96
.LBB46_391:
	s_and_saveexec_b64 s[12:13], s[6:7]
	s_cbranch_execz .LBB46_395
; %bb.392:
	v_mov_b32_e32 v102, 0
	v_add_u32_e32 v102, 28, v102
	v_add_u32_e32 v103, -7, v0
	s_movk_i32 s14, 0xdc
	s_mov_b64 s[6:7], 0
.LBB46_393:                             ; =>This Inner Loop Header: Depth=1
	buffer_load_dword v104, v102, s[0:3], 0 offen
	v_mov_b32_e32 v105, s14
	ds_read_b32 v105, v105
	v_add_u32_e32 v103, -1, v103
	s_add_i32 s14, s14, 4
	v_cmp_eq_u32_e32 vcc, 0, v103
	v_add_u32_e32 v102, 4, v102
	s_or_b64 s[6:7], vcc, s[6:7]
	s_waitcnt vmcnt(0) lgkmcnt(0)
	v_fmac_f32_e32 v101, v104, v105
	s_andn2_b64 exec, exec, s[6:7]
	s_cbranch_execnz .LBB46_393
; %bb.394:
	s_or_b64 exec, exec, s[6:7]
.LBB46_395:
	s_or_b64 exec, exec, s[12:13]
	v_mov_b32_e32 v102, 0
	ds_read_b32 v102, v102 offset:24
	s_waitcnt lgkmcnt(0)
	v_mul_f32_e32 v101, v101, v102
	buffer_store_dword v101, off, s[0:3], 0 offset:24
.LBB46_396:
	s_or_b64 exec, exec, s[8:9]
	buffer_load_dword v101, off, s[0:3], 0 offset:20
	v_cmp_lt_u32_e64 s[6:7], 5, v0
	s_waitcnt vmcnt(0)
	ds_write_b32 v96, v101
	s_waitcnt lgkmcnt(0)
	; wave barrier
	s_waitcnt lgkmcnt(0)
	s_and_saveexec_b64 s[8:9], s[6:7]
	s_cbranch_execz .LBB46_406
; %bb.397:
	s_andn2_b64 vcc, exec, s[10:11]
	s_cbranch_vccnz .LBB46_399
; %bb.398:
	buffer_load_dword v101, v97, s[0:3], 0 offen
	ds_read_b32 v102, v96
	s_waitcnt vmcnt(0) lgkmcnt(0)
	v_mul_f32_e32 v101, v101, v102
	s_cbranch_execz .LBB46_400
	s_branch .LBB46_401
.LBB46_399:
                                        ; implicit-def: $vgpr101
.LBB46_400:
	ds_read_b32 v101, v96
.LBB46_401:
	s_and_saveexec_b64 s[12:13], s[4:5]
	s_cbranch_execz .LBB46_405
; %bb.402:
	v_add_u32_e32 v102, -6, v0
	s_movk_i32 s14, 0xd8
	s_mov_b64 s[4:5], 0
.LBB46_403:                             ; =>This Inner Loop Header: Depth=1
	buffer_load_dword v103, v100, s[0:3], 0 offen
	v_mov_b32_e32 v104, s14
	ds_read_b32 v104, v104
	v_add_u32_e32 v102, -1, v102
	s_add_i32 s14, s14, 4
	v_cmp_eq_u32_e32 vcc, 0, v102
	v_add_u32_e32 v100, 4, v100
	s_or_b64 s[4:5], vcc, s[4:5]
	s_waitcnt vmcnt(0) lgkmcnt(0)
	v_fmac_f32_e32 v101, v103, v104
	s_andn2_b64 exec, exec, s[4:5]
	s_cbranch_execnz .LBB46_403
; %bb.404:
	s_or_b64 exec, exec, s[4:5]
.LBB46_405:
	s_or_b64 exec, exec, s[12:13]
	v_mov_b32_e32 v100, 0
	ds_read_b32 v100, v100 offset:20
	s_waitcnt lgkmcnt(0)
	v_mul_f32_e32 v100, v101, v100
	buffer_store_dword v100, off, s[0:3], 0 offset:20
.LBB46_406:
	s_or_b64 exec, exec, s[8:9]
	buffer_load_dword v100, off, s[0:3], 0 offset:16
	v_cmp_lt_u32_e64 s[4:5], 4, v0
	s_waitcnt vmcnt(0)
	ds_write_b32 v96, v100
	s_waitcnt lgkmcnt(0)
	; wave barrier
	s_waitcnt lgkmcnt(0)
	s_and_saveexec_b64 s[8:9], s[4:5]
	s_cbranch_execz .LBB46_416
; %bb.407:
	s_andn2_b64 vcc, exec, s[10:11]
	s_cbranch_vccnz .LBB46_409
; %bb.408:
	buffer_load_dword v100, v97, s[0:3], 0 offen
	ds_read_b32 v101, v96
	s_waitcnt vmcnt(0) lgkmcnt(0)
	v_mul_f32_e32 v100, v100, v101
	s_cbranch_execz .LBB46_410
	s_branch .LBB46_411
.LBB46_409:
                                        ; implicit-def: $vgpr100
.LBB46_410:
	ds_read_b32 v100, v96
.LBB46_411:
	s_and_saveexec_b64 s[12:13], s[6:7]
	s_cbranch_execz .LBB46_415
; %bb.412:
	v_mov_b32_e32 v101, 0
	v_add_u32_e32 v101, 20, v101
	v_add_u32_e32 v102, -5, v0
	s_movk_i32 s14, 0xd4
	s_mov_b64 s[6:7], 0
.LBB46_413:                             ; =>This Inner Loop Header: Depth=1
	buffer_load_dword v103, v101, s[0:3], 0 offen
	v_mov_b32_e32 v104, s14
	ds_read_b32 v104, v104
	v_add_u32_e32 v102, -1, v102
	s_add_i32 s14, s14, 4
	v_cmp_eq_u32_e32 vcc, 0, v102
	v_add_u32_e32 v101, 4, v101
	s_or_b64 s[6:7], vcc, s[6:7]
	s_waitcnt vmcnt(0) lgkmcnt(0)
	v_fmac_f32_e32 v100, v103, v104
	s_andn2_b64 exec, exec, s[6:7]
	s_cbranch_execnz .LBB46_413
; %bb.414:
	s_or_b64 exec, exec, s[6:7]
.LBB46_415:
	s_or_b64 exec, exec, s[12:13]
	v_mov_b32_e32 v101, 0
	ds_read_b32 v101, v101 offset:16
	s_waitcnt lgkmcnt(0)
	v_mul_f32_e32 v100, v100, v101
	buffer_store_dword v100, off, s[0:3], 0 offset:16
.LBB46_416:
	s_or_b64 exec, exec, s[8:9]
	buffer_load_dword v100, off, s[0:3], 0 offset:12
	v_cmp_lt_u32_e64 s[6:7], 3, v0
	s_waitcnt vmcnt(0)
	ds_write_b32 v96, v100
	s_waitcnt lgkmcnt(0)
	; wave barrier
	s_waitcnt lgkmcnt(0)
	s_and_saveexec_b64 s[8:9], s[6:7]
	s_cbranch_execz .LBB46_426
; %bb.417:
	s_andn2_b64 vcc, exec, s[10:11]
	s_cbranch_vccnz .LBB46_419
; %bb.418:
	buffer_load_dword v100, v97, s[0:3], 0 offen
	ds_read_b32 v101, v96
	s_waitcnt vmcnt(0) lgkmcnt(0)
	v_mul_f32_e32 v100, v100, v101
	s_cbranch_execz .LBB46_420
	s_branch .LBB46_421
.LBB46_419:
                                        ; implicit-def: $vgpr100
.LBB46_420:
	ds_read_b32 v100, v96
.LBB46_421:
	s_and_saveexec_b64 s[12:13], s[4:5]
	s_cbranch_execz .LBB46_425
; %bb.422:
	v_add_u32_e32 v101, -4, v0
	s_movk_i32 s14, 0xd0
	s_mov_b64 s[4:5], 0
.LBB46_423:                             ; =>This Inner Loop Header: Depth=1
	buffer_load_dword v102, v99, s[0:3], 0 offen
	v_mov_b32_e32 v103, s14
	ds_read_b32 v103, v103
	v_add_u32_e32 v101, -1, v101
	s_add_i32 s14, s14, 4
	v_cmp_eq_u32_e32 vcc, 0, v101
	v_add_u32_e32 v99, 4, v99
	s_or_b64 s[4:5], vcc, s[4:5]
	s_waitcnt vmcnt(0) lgkmcnt(0)
	v_fmac_f32_e32 v100, v102, v103
	s_andn2_b64 exec, exec, s[4:5]
	s_cbranch_execnz .LBB46_423
; %bb.424:
	s_or_b64 exec, exec, s[4:5]
.LBB46_425:
	s_or_b64 exec, exec, s[12:13]
	v_mov_b32_e32 v99, 0
	ds_read_b32 v99, v99 offset:12
	s_waitcnt lgkmcnt(0)
	v_mul_f32_e32 v99, v100, v99
	buffer_store_dword v99, off, s[0:3], 0 offset:12
.LBB46_426:
	s_or_b64 exec, exec, s[8:9]
	buffer_load_dword v99, off, s[0:3], 0 offset:8
	v_cmp_lt_u32_e64 s[4:5], 2, v0
	s_waitcnt vmcnt(0)
	ds_write_b32 v96, v99
	s_waitcnt lgkmcnt(0)
	; wave barrier
	s_waitcnt lgkmcnt(0)
	s_and_saveexec_b64 s[8:9], s[4:5]
	s_cbranch_execz .LBB46_436
; %bb.427:
	s_andn2_b64 vcc, exec, s[10:11]
	s_cbranch_vccnz .LBB46_429
; %bb.428:
	buffer_load_dword v99, v97, s[0:3], 0 offen
	ds_read_b32 v100, v96
	s_waitcnt vmcnt(0) lgkmcnt(0)
	v_mul_f32_e32 v99, v99, v100
	s_cbranch_execz .LBB46_430
	s_branch .LBB46_431
.LBB46_429:
                                        ; implicit-def: $vgpr99
.LBB46_430:
	ds_read_b32 v99, v96
.LBB46_431:
	s_and_saveexec_b64 s[12:13], s[6:7]
	s_cbranch_execz .LBB46_435
; %bb.432:
	v_mov_b32_e32 v100, 0
	v_or_b32_e32 v100, 12, v100
	v_add_u32_e32 v101, -3, v0
	s_movk_i32 s14, 0xcc
	s_mov_b64 s[6:7], 0
.LBB46_433:                             ; =>This Inner Loop Header: Depth=1
	buffer_load_dword v102, v100, s[0:3], 0 offen
	v_mov_b32_e32 v103, s14
	ds_read_b32 v103, v103
	v_add_u32_e32 v101, -1, v101
	s_add_i32 s14, s14, 4
	v_cmp_eq_u32_e32 vcc, 0, v101
	v_add_u32_e32 v100, 4, v100
	s_or_b64 s[6:7], vcc, s[6:7]
	s_waitcnt vmcnt(0) lgkmcnt(0)
	v_fmac_f32_e32 v99, v102, v103
	s_andn2_b64 exec, exec, s[6:7]
	s_cbranch_execnz .LBB46_433
; %bb.434:
	s_or_b64 exec, exec, s[6:7]
.LBB46_435:
	s_or_b64 exec, exec, s[12:13]
	v_mov_b32_e32 v100, 0
	ds_read_b32 v100, v100 offset:8
	s_waitcnt lgkmcnt(0)
	v_mul_f32_e32 v99, v99, v100
	buffer_store_dword v99, off, s[0:3], 0 offset:8
.LBB46_436:
	s_or_b64 exec, exec, s[8:9]
	buffer_load_dword v99, off, s[0:3], 0 offset:4
	v_cmp_lt_u32_e64 s[6:7], 1, v0
	s_waitcnt vmcnt(0)
	ds_write_b32 v96, v99
	s_waitcnt lgkmcnt(0)
	; wave barrier
	s_waitcnt lgkmcnt(0)
	s_and_saveexec_b64 s[8:9], s[6:7]
	s_cbranch_execz .LBB46_446
; %bb.437:
	s_andn2_b64 vcc, exec, s[10:11]
	s_cbranch_vccnz .LBB46_439
; %bb.438:
	buffer_load_dword v99, v97, s[0:3], 0 offen
	ds_read_b32 v100, v96
	s_waitcnt vmcnt(0) lgkmcnt(0)
	v_mul_f32_e32 v99, v99, v100
	s_cbranch_execz .LBB46_440
	s_branch .LBB46_441
.LBB46_439:
                                        ; implicit-def: $vgpr99
.LBB46_440:
	ds_read_b32 v99, v96
.LBB46_441:
	s_and_saveexec_b64 s[12:13], s[4:5]
	s_cbranch_execz .LBB46_445
; %bb.442:
	v_add_u32_e32 v100, -2, v0
	s_movk_i32 s14, 0xc8
	s_mov_b64 s[4:5], 0
.LBB46_443:                             ; =>This Inner Loop Header: Depth=1
	buffer_load_dword v101, v98, s[0:3], 0 offen
	v_mov_b32_e32 v102, s14
	ds_read_b32 v102, v102
	v_add_u32_e32 v100, -1, v100
	s_add_i32 s14, s14, 4
	v_cmp_eq_u32_e32 vcc, 0, v100
	v_add_u32_e32 v98, 4, v98
	s_or_b64 s[4:5], vcc, s[4:5]
	s_waitcnt vmcnt(0) lgkmcnt(0)
	v_fmac_f32_e32 v99, v101, v102
	s_andn2_b64 exec, exec, s[4:5]
	s_cbranch_execnz .LBB46_443
; %bb.444:
	s_or_b64 exec, exec, s[4:5]
.LBB46_445:
	s_or_b64 exec, exec, s[12:13]
	v_mov_b32_e32 v98, 0
	ds_read_b32 v98, v98 offset:4
	s_waitcnt lgkmcnt(0)
	v_mul_f32_e32 v98, v99, v98
	buffer_store_dword v98, off, s[0:3], 0 offset:4
.LBB46_446:
	s_or_b64 exec, exec, s[8:9]
	buffer_load_dword v98, off, s[0:3], 0
	v_cmp_ne_u32_e32 vcc, 0, v0
	s_waitcnt vmcnt(0)
	ds_write_b32 v96, v98
	s_waitcnt lgkmcnt(0)
	; wave barrier
	s_waitcnt lgkmcnt(0)
	s_and_saveexec_b64 s[4:5], vcc
	s_cbranch_execz .LBB46_456
; %bb.447:
	s_andn2_b64 vcc, exec, s[10:11]
	s_cbranch_vccnz .LBB46_449
; %bb.448:
	buffer_load_dword v98, v97, s[0:3], 0 offen
	ds_read_b32 v99, v96
	s_waitcnt vmcnt(0) lgkmcnt(0)
	v_mul_f32_e32 v98, v98, v99
	s_cbranch_execz .LBB46_450
	s_branch .LBB46_451
.LBB46_449:
                                        ; implicit-def: $vgpr98
.LBB46_450:
	ds_read_b32 v98, v96
.LBB46_451:
	s_and_saveexec_b64 s[8:9], s[6:7]
	s_cbranch_execz .LBB46_455
; %bb.452:
	v_mov_b32_e32 v99, 0
	v_or_b32_e32 v99, 4, v99
	v_add_u32_e32 v100, -1, v0
	s_movk_i32 s12, 0xc4
	s_mov_b64 s[6:7], 0
.LBB46_453:                             ; =>This Inner Loop Header: Depth=1
	buffer_load_dword v101, v99, s[0:3], 0 offen
	v_mov_b32_e32 v102, s12
	ds_read_b32 v102, v102
	v_add_u32_e32 v100, -1, v100
	s_add_i32 s12, s12, 4
	v_cmp_eq_u32_e32 vcc, 0, v100
	v_add_u32_e32 v99, 4, v99
	s_or_b64 s[6:7], vcc, s[6:7]
	s_waitcnt vmcnt(0) lgkmcnt(0)
	v_fmac_f32_e32 v98, v101, v102
	s_andn2_b64 exec, exec, s[6:7]
	s_cbranch_execnz .LBB46_453
; %bb.454:
	s_or_b64 exec, exec, s[6:7]
.LBB46_455:
	s_or_b64 exec, exec, s[8:9]
	v_mov_b32_e32 v99, 0
	ds_read_b32 v99, v99
	s_waitcnt lgkmcnt(0)
	v_mul_f32_e32 v98, v98, v99
	buffer_store_dword v98, off, s[0:3], 0
.LBB46_456:
	s_or_b64 exec, exec, s[4:5]
	s_mov_b64 s[4:5], 0
.LBB46_457:
	s_and_b64 vcc, exec, s[4:5]
	s_cbranch_vccz .LBB46_911
; %bb.458:
	buffer_load_dword v98, off, s[0:3], 0 offset:4
	v_cmp_eq_u32_e64 s[6:7], 0, v0
	s_waitcnt vmcnt(0)
	ds_write_b32 v96, v98
	s_waitcnt lgkmcnt(0)
	; wave barrier
	s_waitcnt lgkmcnt(0)
	s_and_saveexec_b64 s[4:5], s[6:7]
	s_cbranch_execz .LBB46_464
; %bb.459:
	s_and_b64 vcc, exec, s[10:11]
	s_cbranch_vccz .LBB46_461
; %bb.460:
	buffer_load_dword v98, v97, s[0:3], 0 offen
	ds_read_b32 v99, v96
	s_waitcnt vmcnt(0) lgkmcnt(0)
	v_mul_f32_e32 v98, v98, v99
	s_cbranch_execz .LBB46_462
	s_branch .LBB46_463
.LBB46_461:
                                        ; implicit-def: $vgpr98
.LBB46_462:
	ds_read_b32 v98, v96
.LBB46_463:
	v_mov_b32_e32 v99, 0
	ds_read_b32 v99, v99 offset:4
	s_waitcnt lgkmcnt(0)
	v_mul_f32_e32 v98, v98, v99
	buffer_store_dword v98, off, s[0:3], 0 offset:4
.LBB46_464:
	s_or_b64 exec, exec, s[4:5]
	buffer_load_dword v98, off, s[0:3], 0 offset:8
	v_cndmask_b32_e64 v99, 0, 1, s[10:11]
	v_cmp_gt_u32_e32 vcc, 2, v0
	v_cmp_ne_u32_e64 s[4:5], 1, v99
	s_waitcnt vmcnt(0)
	ds_write_b32 v96, v98
	s_waitcnt lgkmcnt(0)
	; wave barrier
	s_waitcnt lgkmcnt(0)
	s_and_saveexec_b64 s[8:9], vcc
	s_cbranch_execz .LBB46_472
; %bb.465:
	s_and_b64 vcc, exec, s[4:5]
	s_cbranch_vccnz .LBB46_467
; %bb.466:
	buffer_load_dword v98, v97, s[0:3], 0 offen
	ds_read_b32 v99, v96
	s_waitcnt vmcnt(0) lgkmcnt(0)
	v_mul_f32_e32 v98, v98, v99
	s_cbranch_execz .LBB46_468
	s_branch .LBB46_469
.LBB46_467:
                                        ; implicit-def: $vgpr98
.LBB46_468:
	ds_read_b32 v98, v96
.LBB46_469:
	s_and_saveexec_b64 s[10:11], s[6:7]
	s_cbranch_execz .LBB46_471
; %bb.470:
	buffer_load_dword v99, v97, s[0:3], 0 offen offset:4
	ds_read_b32 v100, v96 offset:4
	s_waitcnt vmcnt(0) lgkmcnt(0)
	v_fmac_f32_e32 v98, v99, v100
.LBB46_471:
	s_or_b64 exec, exec, s[10:11]
	v_mov_b32_e32 v99, 0
	ds_read_b32 v99, v99 offset:8
	s_waitcnt lgkmcnt(0)
	v_mul_f32_e32 v98, v98, v99
	buffer_store_dword v98, off, s[0:3], 0 offset:8
.LBB46_472:
	s_or_b64 exec, exec, s[8:9]
	buffer_load_dword v98, off, s[0:3], 0 offset:12
	v_cmp_gt_u32_e32 vcc, 3, v0
	s_waitcnt vmcnt(0)
	ds_write_b32 v96, v98
	s_waitcnt lgkmcnt(0)
	; wave barrier
	s_waitcnt lgkmcnt(0)
	s_and_saveexec_b64 s[8:9], vcc
	s_cbranch_execz .LBB46_480
; %bb.473:
	s_and_b64 vcc, exec, s[4:5]
	s_cbranch_vccnz .LBB46_475
; %bb.474:
	buffer_load_dword v98, v97, s[0:3], 0 offen
	ds_read_b32 v99, v96
	s_waitcnt vmcnt(0) lgkmcnt(0)
	v_mul_f32_e32 v98, v98, v99
	s_cbranch_execz .LBB46_476
	s_branch .LBB46_477
.LBB46_475:
                                        ; implicit-def: $vgpr98
.LBB46_476:
	ds_read_b32 v98, v96
.LBB46_477:
	v_cmp_ne_u32_e32 vcc, 2, v0
	s_and_saveexec_b64 s[10:11], vcc
	s_cbranch_execz .LBB46_479
; %bb.478:
	buffer_load_dword v99, v97, s[0:3], 0 offen offset:4
	buffer_load_dword v100, off, s[0:3], 0 offset:8
	v_mov_b32_e32 v101, 0
	ds_read_b32 v102, v96 offset:4
	ds_read_b32 v101, v101 offset:200
	s_waitcnt vmcnt(1) lgkmcnt(1)
	v_fmac_f32_e32 v98, v99, v102
	s_waitcnt vmcnt(0) lgkmcnt(0)
	v_fma_f32 v99, v100, v101, v98
	v_cndmask_b32_e64 v98, v98, v99, s[6:7]
.LBB46_479:
	s_or_b64 exec, exec, s[10:11]
	v_mov_b32_e32 v99, 0
	ds_read_b32 v99, v99 offset:12
	s_waitcnt lgkmcnt(0)
	v_mul_f32_e32 v98, v98, v99
	buffer_store_dword v98, off, s[0:3], 0 offset:12
.LBB46_480:
	s_or_b64 exec, exec, s[8:9]
	buffer_load_dword v98, off, s[0:3], 0 offset:16
	v_cmp_gt_u32_e32 vcc, 4, v0
	s_waitcnt vmcnt(0)
	ds_write_b32 v96, v98
	s_waitcnt lgkmcnt(0)
	; wave barrier
	s_waitcnt lgkmcnt(0)
	s_and_saveexec_b64 s[6:7], vcc
	s_cbranch_execz .LBB46_490
; %bb.481:
	s_and_b64 vcc, exec, s[4:5]
	s_cbranch_vccnz .LBB46_483
; %bb.482:
	buffer_load_dword v98, v97, s[0:3], 0 offen
	ds_read_b32 v99, v96
	s_waitcnt vmcnt(0) lgkmcnt(0)
	v_mul_f32_e32 v98, v98, v99
	s_cbranch_execz .LBB46_484
	s_branch .LBB46_485
.LBB46_483:
                                        ; implicit-def: $vgpr98
.LBB46_484:
	ds_read_b32 v98, v96
.LBB46_485:
	v_cmp_ne_u32_e32 vcc, 3, v0
	s_and_saveexec_b64 s[8:9], vcc
	s_cbranch_execz .LBB46_489
; %bb.486:
	v_mov_b32_e32 v100, 0
	v_add_u32_e32 v99, 0xc4, v1
	v_add3_u32 v100, v1, v100, 4
	s_mov_b64 s[10:11], 0
	v_mov_b32_e32 v101, v0
.LBB46_487:                             ; =>This Inner Loop Header: Depth=1
	buffer_load_dword v102, v100, s[0:3], 0 offen
	ds_read_b32 v103, v99
	v_add_u32_e32 v101, 1, v101
	v_cmp_lt_u32_e32 vcc, 2, v101
	v_add_u32_e32 v99, 4, v99
	v_add_u32_e32 v100, 4, v100
	s_or_b64 s[10:11], vcc, s[10:11]
	s_waitcnt vmcnt(0) lgkmcnt(0)
	v_fmac_f32_e32 v98, v102, v103
	s_andn2_b64 exec, exec, s[10:11]
	s_cbranch_execnz .LBB46_487
; %bb.488:
	s_or_b64 exec, exec, s[10:11]
.LBB46_489:
	s_or_b64 exec, exec, s[8:9]
	v_mov_b32_e32 v99, 0
	ds_read_b32 v99, v99 offset:16
	s_waitcnt lgkmcnt(0)
	v_mul_f32_e32 v98, v98, v99
	buffer_store_dword v98, off, s[0:3], 0 offset:16
.LBB46_490:
	s_or_b64 exec, exec, s[6:7]
	buffer_load_dword v98, off, s[0:3], 0 offset:20
	v_cmp_gt_u32_e32 vcc, 5, v0
	s_waitcnt vmcnt(0)
	ds_write_b32 v96, v98
	s_waitcnt lgkmcnt(0)
	; wave barrier
	s_waitcnt lgkmcnt(0)
	s_and_saveexec_b64 s[6:7], vcc
	s_cbranch_execz .LBB46_500
; %bb.491:
	s_and_b64 vcc, exec, s[4:5]
	s_cbranch_vccnz .LBB46_493
; %bb.492:
	buffer_load_dword v98, v97, s[0:3], 0 offen
	ds_read_b32 v99, v96
	s_waitcnt vmcnt(0) lgkmcnt(0)
	v_mul_f32_e32 v98, v98, v99
	s_cbranch_execz .LBB46_494
	s_branch .LBB46_495
.LBB46_493:
                                        ; implicit-def: $vgpr98
.LBB46_494:
	ds_read_b32 v98, v96
.LBB46_495:
	v_cmp_ne_u32_e32 vcc, 4, v0
	s_and_saveexec_b64 s[8:9], vcc
	s_cbranch_execz .LBB46_499
; %bb.496:
	v_mov_b32_e32 v100, 0
	v_add_u32_e32 v99, 0xc4, v1
	v_add3_u32 v100, v1, v100, 4
	s_mov_b64 s[10:11], 0
	v_mov_b32_e32 v101, v0
.LBB46_497:                             ; =>This Inner Loop Header: Depth=1
	buffer_load_dword v102, v100, s[0:3], 0 offen
	ds_read_b32 v103, v99
	v_add_u32_e32 v101, 1, v101
	v_cmp_lt_u32_e32 vcc, 3, v101
	v_add_u32_e32 v99, 4, v99
	v_add_u32_e32 v100, 4, v100
	s_or_b64 s[10:11], vcc, s[10:11]
	s_waitcnt vmcnt(0) lgkmcnt(0)
	v_fmac_f32_e32 v98, v102, v103
	s_andn2_b64 exec, exec, s[10:11]
	s_cbranch_execnz .LBB46_497
; %bb.498:
	s_or_b64 exec, exec, s[10:11]
.LBB46_499:
	s_or_b64 exec, exec, s[8:9]
	v_mov_b32_e32 v99, 0
	ds_read_b32 v99, v99 offset:20
	s_waitcnt lgkmcnt(0)
	v_mul_f32_e32 v98, v98, v99
	buffer_store_dword v98, off, s[0:3], 0 offset:20
.LBB46_500:
	;; [unrolled: 56-line block ×41, first 2 shown]
	s_or_b64 exec, exec, s[6:7]
	buffer_load_dword v98, off, s[0:3], 0 offset:180
	v_cmp_gt_u32_e64 s[6:7], 45, v0
	s_waitcnt vmcnt(0)
	ds_write_b32 v96, v98
	s_waitcnt lgkmcnt(0)
	; wave barrier
	s_waitcnt lgkmcnt(0)
	s_and_saveexec_b64 s[8:9], s[6:7]
	s_cbranch_execz .LBB46_900
; %bb.891:
	s_and_b64 vcc, exec, s[4:5]
	s_cbranch_vccnz .LBB46_893
; %bb.892:
	buffer_load_dword v98, v97, s[0:3], 0 offen
	ds_read_b32 v99, v96
	s_waitcnt vmcnt(0) lgkmcnt(0)
	v_mul_f32_e32 v98, v98, v99
	s_cbranch_execz .LBB46_894
	s_branch .LBB46_895
.LBB46_893:
                                        ; implicit-def: $vgpr98
.LBB46_894:
	ds_read_b32 v98, v96
.LBB46_895:
	v_cmp_ne_u32_e32 vcc, 44, v0
	s_and_saveexec_b64 s[10:11], vcc
	s_cbranch_execz .LBB46_899
; %bb.896:
	v_mov_b32_e32 v100, 0
	v_add_u32_e32 v99, 0xc4, v1
	v_add3_u32 v100, v1, v100, 4
	s_mov_b64 s[12:13], 0
	v_mov_b32_e32 v101, v0
.LBB46_897:                             ; =>This Inner Loop Header: Depth=1
	buffer_load_dword v102, v100, s[0:3], 0 offen
	ds_read_b32 v103, v99
	v_add_u32_e32 v101, 1, v101
	v_cmp_lt_u32_e32 vcc, 43, v101
	v_add_u32_e32 v99, 4, v99
	v_add_u32_e32 v100, 4, v100
	s_or_b64 s[12:13], vcc, s[12:13]
	s_waitcnt vmcnt(0) lgkmcnt(0)
	v_fmac_f32_e32 v98, v102, v103
	s_andn2_b64 exec, exec, s[12:13]
	s_cbranch_execnz .LBB46_897
; %bb.898:
	s_or_b64 exec, exec, s[12:13]
.LBB46_899:
	s_or_b64 exec, exec, s[10:11]
	v_mov_b32_e32 v99, 0
	ds_read_b32 v99, v99 offset:180
	s_waitcnt lgkmcnt(0)
	v_mul_f32_e32 v98, v98, v99
	buffer_store_dword v98, off, s[0:3], 0 offset:180
.LBB46_900:
	s_or_b64 exec, exec, s[8:9]
	buffer_load_dword v98, off, s[0:3], 0 offset:184
	v_cmp_ne_u32_e32 vcc, 46, v0
	s_waitcnt vmcnt(0)
	ds_write_b32 v96, v98
	s_waitcnt lgkmcnt(0)
	; wave barrier
	s_waitcnt lgkmcnt(0)
	s_and_saveexec_b64 s[8:9], vcc
	s_cbranch_execz .LBB46_910
; %bb.901:
	s_and_b64 vcc, exec, s[4:5]
	s_cbranch_vccnz .LBB46_903
; %bb.902:
	buffer_load_dword v97, v97, s[0:3], 0 offen
	ds_read_b32 v98, v96
	s_waitcnt vmcnt(0) lgkmcnt(0)
	v_mul_f32_e32 v97, v97, v98
	s_cbranch_execz .LBB46_904
	s_branch .LBB46_905
.LBB46_903:
                                        ; implicit-def: $vgpr97
.LBB46_904:
	ds_read_b32 v97, v96
.LBB46_905:
	s_and_saveexec_b64 s[4:5], s[6:7]
	s_cbranch_execz .LBB46_909
; %bb.906:
	v_mov_b32_e32 v98, 0
	v_add_u32_e32 v96, 0xc4, v1
	v_add3_u32 v1, v1, v98, 4
	s_mov_b64 s[6:7], 0
.LBB46_907:                             ; =>This Inner Loop Header: Depth=1
	buffer_load_dword v98, v1, s[0:3], 0 offen
	ds_read_b32 v99, v96
	v_add_u32_e32 v0, 1, v0
	v_cmp_lt_u32_e32 vcc, 44, v0
	v_add_u32_e32 v96, 4, v96
	v_add_u32_e32 v1, 4, v1
	s_or_b64 s[6:7], vcc, s[6:7]
	s_waitcnt vmcnt(0) lgkmcnt(0)
	v_fmac_f32_e32 v97, v98, v99
	s_andn2_b64 exec, exec, s[6:7]
	s_cbranch_execnz .LBB46_907
; %bb.908:
	s_or_b64 exec, exec, s[6:7]
.LBB46_909:
	s_or_b64 exec, exec, s[4:5]
	v_mov_b32_e32 v0, 0
	ds_read_b32 v0, v0 offset:184
	s_waitcnt lgkmcnt(0)
	v_mul_f32_e32 v0, v97, v0
	buffer_store_dword v0, off, s[0:3], 0 offset:184
.LBB46_910:
	s_or_b64 exec, exec, s[8:9]
.LBB46_911:
	buffer_load_dword v0, off, s[0:3], 0
	buffer_load_dword v1, off, s[0:3], 0 offset:4
	buffer_load_dword v96, off, s[0:3], 0 offset:8
	;; [unrolled: 1-line block ×23, first 2 shown]
	s_waitcnt vmcnt(23)
	global_store_dword v[84:85], v0, off
	buffer_load_dword v0, off, s[0:3], 0 offset:96
	s_nop 0
	buffer_load_dword v84, off, s[0:3], 0 offset:100
	buffer_load_dword v85, off, s[0:3], 0 offset:104
	;; [unrolled: 1-line block ×7, first 2 shown]
	s_waitcnt vmcnt(31)
	global_store_dword v[82:83], v1, off
	s_waitcnt vmcnt(31)
	global_store_dword v[2:3], v96, off
	;; [unrolled: 2-line block ×3, first 2 shown]
	buffer_load_dword v1, off, s[0:3], 0 offset:128
	buffer_load_dword v2, off, s[0:3], 0 offset:132
	;; [unrolled: 1-line block ×3, first 2 shown]
	s_nop 0
	buffer_load_dword v6, off, s[0:3], 0 offset:140
	buffer_load_dword v7, off, s[0:3], 0 offset:144
	;; [unrolled: 1-line block ×5, first 2 shown]
	s_waitcnt vmcnt(39)
	global_store_dword v[4:5], v98, off
	s_waitcnt vmcnt(39)
	global_store_dword v[10:11], v99, off
	buffer_load_dword v4, off, s[0:3], 0 offset:160
	buffer_load_dword v5, off, s[0:3], 0 offset:164
	s_nop 0
	buffer_load_dword v10, off, s[0:3], 0 offset:168
	buffer_load_dword v11, off, s[0:3], 0 offset:172
	;; [unrolled: 1-line block ×5, first 2 shown]
	s_waitcnt vmcnt(46)
	global_store_dword v[8:9], v100, off
	s_waitcnt vmcnt(46)
	global_store_dword v[12:13], v101, off
	;; [unrolled: 2-line block ×41, first 2 shown]
.LBB46_912:
	s_endpgm
	.section	.rodata,"a",@progbits
	.p2align	6, 0x0
	.amdhsa_kernel _ZN9rocsolver6v33100L18trti2_kernel_smallILi47EfPfEEv13rocblas_fill_17rocblas_diagonal_T1_iil
		.amdhsa_group_segment_fixed_size 380
		.amdhsa_private_segment_fixed_size 192
		.amdhsa_kernarg_size 32
		.amdhsa_user_sgpr_count 8
		.amdhsa_user_sgpr_private_segment_buffer 1
		.amdhsa_user_sgpr_dispatch_ptr 0
		.amdhsa_user_sgpr_queue_ptr 0
		.amdhsa_user_sgpr_kernarg_segment_ptr 1
		.amdhsa_user_sgpr_dispatch_id 0
		.amdhsa_user_sgpr_flat_scratch_init 1
		.amdhsa_user_sgpr_kernarg_preload_length 0
		.amdhsa_user_sgpr_kernarg_preload_offset 0
		.amdhsa_user_sgpr_private_segment_size 0
		.amdhsa_uses_dynamic_stack 0
		.amdhsa_system_sgpr_private_segment_wavefront_offset 1
		.amdhsa_system_sgpr_workgroup_id_x 1
		.amdhsa_system_sgpr_workgroup_id_y 0
		.amdhsa_system_sgpr_workgroup_id_z 0
		.amdhsa_system_sgpr_workgroup_info 0
		.amdhsa_system_vgpr_workitem_id 0
		.amdhsa_next_free_vgpr 124
		.amdhsa_next_free_sgpr 20
		.amdhsa_accum_offset 124
		.amdhsa_reserve_vcc 1
		.amdhsa_reserve_flat_scratch 0
		.amdhsa_float_round_mode_32 0
		.amdhsa_float_round_mode_16_64 0
		.amdhsa_float_denorm_mode_32 3
		.amdhsa_float_denorm_mode_16_64 3
		.amdhsa_dx10_clamp 1
		.amdhsa_ieee_mode 1
		.amdhsa_fp16_overflow 0
		.amdhsa_tg_split 0
		.amdhsa_exception_fp_ieee_invalid_op 0
		.amdhsa_exception_fp_denorm_src 0
		.amdhsa_exception_fp_ieee_div_zero 0
		.amdhsa_exception_fp_ieee_overflow 0
		.amdhsa_exception_fp_ieee_underflow 0
		.amdhsa_exception_fp_ieee_inexact 0
		.amdhsa_exception_int_div_zero 0
	.end_amdhsa_kernel
	.section	.text._ZN9rocsolver6v33100L18trti2_kernel_smallILi47EfPfEEv13rocblas_fill_17rocblas_diagonal_T1_iil,"axG",@progbits,_ZN9rocsolver6v33100L18trti2_kernel_smallILi47EfPfEEv13rocblas_fill_17rocblas_diagonal_T1_iil,comdat
.Lfunc_end46:
	.size	_ZN9rocsolver6v33100L18trti2_kernel_smallILi47EfPfEEv13rocblas_fill_17rocblas_diagonal_T1_iil, .Lfunc_end46-_ZN9rocsolver6v33100L18trti2_kernel_smallILi47EfPfEEv13rocblas_fill_17rocblas_diagonal_T1_iil
                                        ; -- End function
	.section	.AMDGPU.csdata,"",@progbits
; Kernel info:
; codeLenInByte = 22980
; NumSgprs: 24
; NumVgprs: 124
; NumAgprs: 0
; TotalNumVgprs: 124
; ScratchSize: 192
; MemoryBound: 0
; FloatMode: 240
; IeeeMode: 1
; LDSByteSize: 380 bytes/workgroup (compile time only)
; SGPRBlocks: 2
; VGPRBlocks: 15
; NumSGPRsForWavesPerEU: 24
; NumVGPRsForWavesPerEU: 124
; AccumOffset: 124
; Occupancy: 4
; WaveLimiterHint : 0
; COMPUTE_PGM_RSRC2:SCRATCH_EN: 1
; COMPUTE_PGM_RSRC2:USER_SGPR: 8
; COMPUTE_PGM_RSRC2:TRAP_HANDLER: 0
; COMPUTE_PGM_RSRC2:TGID_X_EN: 1
; COMPUTE_PGM_RSRC2:TGID_Y_EN: 0
; COMPUTE_PGM_RSRC2:TGID_Z_EN: 0
; COMPUTE_PGM_RSRC2:TIDIG_COMP_CNT: 0
; COMPUTE_PGM_RSRC3_GFX90A:ACCUM_OFFSET: 30
; COMPUTE_PGM_RSRC3_GFX90A:TG_SPLIT: 0
	.section	.text._ZN9rocsolver6v33100L18trti2_kernel_smallILi48EfPfEEv13rocblas_fill_17rocblas_diagonal_T1_iil,"axG",@progbits,_ZN9rocsolver6v33100L18trti2_kernel_smallILi48EfPfEEv13rocblas_fill_17rocblas_diagonal_T1_iil,comdat
	.globl	_ZN9rocsolver6v33100L18trti2_kernel_smallILi48EfPfEEv13rocblas_fill_17rocblas_diagonal_T1_iil ; -- Begin function _ZN9rocsolver6v33100L18trti2_kernel_smallILi48EfPfEEv13rocblas_fill_17rocblas_diagonal_T1_iil
	.p2align	8
	.type	_ZN9rocsolver6v33100L18trti2_kernel_smallILi48EfPfEEv13rocblas_fill_17rocblas_diagonal_T1_iil,@function
_ZN9rocsolver6v33100L18trti2_kernel_smallILi48EfPfEEv13rocblas_fill_17rocblas_diagonal_T1_iil: ; @_ZN9rocsolver6v33100L18trti2_kernel_smallILi48EfPfEEv13rocblas_fill_17rocblas_diagonal_T1_iil
; %bb.0:
	s_add_u32 s0, s0, s9
	s_addc_u32 s1, s1, 0
	v_cmp_gt_u32_e32 vcc, 48, v0
	s_and_saveexec_b64 s[6:7], vcc
	s_cbranch_execz .LBB47_932
; %bb.1:
	s_load_dwordx8 s[12:19], s[4:5], 0x0
	s_ashr_i32 s6, s8, 31
	s_waitcnt lgkmcnt(0)
	s_mul_i32 s7, s8, s19
	s_mul_hi_u32 s9, s8, s18
	s_add_i32 s7, s9, s7
	s_mul_i32 s6, s6, s18
	s_add_i32 s7, s7, s6
	s_mul_i32 s6, s8, s18
	s_ashr_i32 s5, s16, 31
	s_lshl_b64 s[6:7], s[6:7], 2
	s_mov_b32 s4, s16
	s_add_u32 s6, s14, s6
	s_addc_u32 s7, s15, s7
	s_lshl_b64 s[4:5], s[4:5], 2
	s_add_u32 s4, s6, s4
	s_addc_u32 s5, s7, s5
	s_add_i32 s6, s17, s17
	v_add_u32_e32 v4, s6, v0
	v_ashrrev_i32_e32 v5, 31, v4
	v_lshlrev_b64 v[2:3], 2, v[4:5]
	v_add_u32_e32 v4, s17, v4
	v_mov_b32_e32 v1, s5
	v_add_co_u32_e32 v2, vcc, s4, v2
	v_ashrrev_i32_e32 v5, 31, v4
	v_addc_co_u32_e32 v3, vcc, v1, v3, vcc
	v_lshlrev_b64 v[6:7], 2, v[4:5]
	v_add_u32_e32 v8, s17, v4
	v_add_co_u32_e32 v6, vcc, s4, v6
	v_ashrrev_i32_e32 v9, 31, v8
	v_addc_co_u32_e32 v7, vcc, v1, v7, vcc
	v_lshlrev_b64 v[4:5], 2, v[8:9]
	v_add_u32_e32 v10, s17, v8
	;; [unrolled: 5-line block ×41, first 2 shown]
	v_add_co_u32_e32 v84, vcc, s4, v84
	v_ashrrev_i32_e32 v89, 31, v88
	v_addc_co_u32_e32 v85, vcc, v1, v85, vcc
	v_lshlrev_b64 v[86:87], 2, v[88:89]
	v_add_co_u32_e32 v86, vcc, s4, v86
	v_add_u32_e32 v90, s17, v88
	v_addc_co_u32_e32 v87, vcc, v1, v87, vcc
	v_ashrrev_i32_e32 v91, 31, v90
	v_lshlrev_b32_e32 v1, 2, v0
	v_lshlrev_b64 v[88:89], 2, v[90:91]
	v_mov_b32_e32 v91, s5
	v_add_co_u32_e32 v94, vcc, s4, v1
	s_ashr_i32 s7, s17, 31
	s_mov_b32 s6, s17
	v_addc_co_u32_e32 v95, vcc, 0, v91, vcc
	s_lshl_b64 s[6:7], s[6:7], 2
	v_mov_b32_e32 v91, s7
	v_add_co_u32_e32 v96, vcc, s6, v94
	v_addc_co_u32_e32 v97, vcc, v95, v91, vcc
	v_mov_b32_e32 v92, s5
	v_add_co_u32_e32 v88, vcc, s4, v88
	v_addc_co_u32_e32 v89, vcc, v92, v89, vcc
	v_add_u32_e32 v92, s17, v90
	v_ashrrev_i32_e32 v93, 31, v92
	v_lshlrev_b64 v[90:91], 2, v[92:93]
	v_add_u32_e32 v92, s17, v92
	global_load_dword v98, v1, s[4:5]
	global_load_dword v99, v[96:97], off
	global_load_dword v100, v[4:5], off
	;; [unrolled: 1-line block ×18, first 2 shown]
	v_mov_b32_e32 v117, s5
	v_add_co_u32_e32 v90, vcc, s4, v90
	v_ashrrev_i32_e32 v93, 31, v92
	v_addc_co_u32_e32 v91, vcc, v117, v91, vcc
	v_lshlrev_b64 v[92:93], 2, v[92:93]
	v_add_co_u32_e32 v92, vcc, s4, v92
	v_addc_co_u32_e32 v93, vcc, v117, v93, vcc
	global_load_dword v117, v[36:37], off
	global_load_dword v118, v[46:47], off
	;; [unrolled: 1-line block ×7, first 2 shown]
	s_waitcnt vmcnt(25)
	buffer_store_dword v98, off, s[0:3], 0
	s_waitcnt vmcnt(25)
	buffer_store_dword v99, off, s[0:3], 0 offset:4
	s_waitcnt vmcnt(20)
	buffer_store_dword v105, off, s[0:3], 0 offset:12
	s_waitcnt vmcnt(20)
	buffer_store_dword v106, off, s[0:3], 0 offset:8
	buffer_store_dword v100, off, s[0:3], 0 offset:16
	buffer_store_dword v101, off, s[0:3], 0 offset:20
	;; [unrolled: 1-line block ×5, first 2 shown]
	s_waitcnt vmcnt(25)
	buffer_store_dword v107, off, s[0:3], 0 offset:36
	s_waitcnt vmcnt(20)
	buffer_store_dword v113, off, s[0:3], 0 offset:44
	s_waitcnt vmcnt(20)
	buffer_store_dword v114, off, s[0:3], 0 offset:40
	buffer_store_dword v108, off, s[0:3], 0 offset:48
	buffer_store_dword v109, off, s[0:3], 0 offset:52
	;; [unrolled: 1-line block ×5, first 2 shown]
	s_waitcnt vmcnt(25)
	buffer_store_dword v115, off, s[0:3], 0 offset:68
	s_waitcnt vmcnt(25)
	buffer_store_dword v116, off, s[0:3], 0 offset:72
	global_load_dword v98, v[48:49], off
	global_load_dword v99, v[62:63], off
	;; [unrolled: 1-line block ×16, first 2 shown]
	s_waitcnt vmcnt(41)
	buffer_store_dword v117, off, s[0:3], 0 offset:76
	s_waitcnt vmcnt(39)
	buffer_store_dword v120, off, s[0:3], 0 offset:84
	;; [unrolled: 2-line block ×3, first 2 shown]
	global_load_dword v114, v[80:81], off
	global_load_dword v115, v[90:91], off
	;; [unrolled: 1-line block ×6, first 2 shown]
	s_cmpk_lg_i32 s13, 0x84
	s_waitcnt vmcnt(45)
	buffer_store_dword v122, off, s[0:3], 0 offset:92
	buffer_store_dword v119, off, s[0:3], 0 offset:88
	s_waitcnt vmcnt(26)
	buffer_store_dword v98, off, s[0:3], 0 offset:100
	buffer_store_dword v118, off, s[0:3], 0 offset:96
	s_waitcnt vmcnt(22)
	buffer_store_dword v104, off, s[0:3], 0 offset:108
	s_waitcnt vmcnt(22)
	buffer_store_dword v105, off, s[0:3], 0 offset:104
	buffer_store_dword v102, off, s[0:3], 0 offset:116
	;; [unrolled: 1-line block ×5, first 2 shown]
	s_waitcnt vmcnt(26)
	buffer_store_dword v106, off, s[0:3], 0 offset:132
	buffer_store_dword v99, off, s[0:3], 0 offset:128
	s_waitcnt vmcnt(22)
	buffer_store_dword v112, off, s[0:3], 0 offset:140
	s_waitcnt vmcnt(22)
	buffer_store_dword v113, off, s[0:3], 0 offset:136
	buffer_store_dword v110, off, s[0:3], 0 offset:148
	;; [unrolled: 1-line block ×5, first 2 shown]
	s_waitcnt vmcnt(23)
	buffer_store_dword v114, off, s[0:3], 0 offset:164
	buffer_store_dword v107, off, s[0:3], 0 offset:160
	s_waitcnt vmcnt(22)
	buffer_store_dword v117, off, s[0:3], 0 offset:172
	s_waitcnt vmcnt(22)
	buffer_store_dword v120, off, s[0:3], 0 offset:168
	s_waitcnt vmcnt(22)
	buffer_store_dword v121, off, s[0:3], 0 offset:180
	buffer_store_dword v116, off, s[0:3], 0 offset:176
	;; [unrolled: 1-line block ×4, first 2 shown]
	s_cselect_b64 s[8:9], -1, 0
	s_cmpk_eq_i32 s13, 0x84
	v_mov_b32_e32 v121, 0
	v_mov_b32_e32 v98, -1.0
	s_cbranch_scc1 .LBB47_3
; %bb.2:
	v_lshl_add_u32 v98, v0, 2, v121
	buffer_load_dword v99, v98, s[0:3], 0 offen
	s_waitcnt vmcnt(0)
	v_div_scale_f32 v100, s[4:5], v99, v99, 1.0
	v_rcp_f32_e32 v101, v100
	v_div_scale_f32 v102, vcc, 1.0, v99, 1.0
	v_fma_f32 v103, -v100, v101, 1.0
	v_fmac_f32_e32 v101, v103, v101
	v_mul_f32_e32 v103, v102, v101
	v_fma_f32 v104, -v100, v103, v102
	v_fmac_f32_e32 v103, v104, v101
	v_fma_f32 v100, -v100, v103, v102
	v_div_fmas_f32 v100, v100, v101, v103
	v_div_fixup_f32 v99, v100, v99, 1.0
	buffer_store_dword v99, v98, s[0:3], 0 offen
	v_xor_b32_e32 v98, 0x80000000, v99
.LBB47_3:
	ds_write_b32 v1, v98
	s_cmpk_eq_i32 s12, 0x79
	v_add_u32_e32 v98, 0xc0, v1
	v_add_u32_e32 v99, 0, v1
	s_mov_b64 s[4:5], -1
	s_cbranch_scc1 .LBB47_467
; %bb.4:
	buffer_load_dword v100, off, s[0:3], 0 offset:184
	v_cmp_eq_u32_e64 s[4:5], 47, v0
	s_waitcnt vmcnt(0)
	ds_write_b32 v98, v100
	s_waitcnt lgkmcnt(0)
	; wave barrier
	s_waitcnt lgkmcnt(0)
	s_and_saveexec_b64 s[6:7], s[4:5]
	s_cbranch_execz .LBB47_10
; %bb.5:
	s_and_b64 vcc, exec, s[8:9]
	s_cbranch_vccz .LBB47_7
; %bb.6:
	buffer_load_dword v100, v99, s[0:3], 0 offen
	ds_read_b32 v101, v98
	s_waitcnt vmcnt(0) lgkmcnt(0)
	v_mul_f32_e32 v100, v100, v101
	s_cbranch_execz .LBB47_8
	s_branch .LBB47_9
.LBB47_7:
                                        ; implicit-def: $vgpr100
.LBB47_8:
	ds_read_b32 v100, v98
.LBB47_9:
	v_mov_b32_e32 v101, 0
	ds_read_b32 v101, v101 offset:184
	s_waitcnt lgkmcnt(0)
	v_mul_f32_e32 v100, v100, v101
	buffer_store_dword v100, off, s[0:3], 0 offset:184
.LBB47_10:
	s_or_b64 exec, exec, s[6:7]
	buffer_load_dword v122, off, s[0:3], 0 offset:180
	v_or_b32_e32 v100, 8, v121
	v_add_u32_e32 v101, 16, v121
	v_add_u32_e32 v102, 24, v121
	;; [unrolled: 1-line block ×21, first 2 shown]
	v_cmp_lt_u32_e64 s[6:7], 45, v0
	s_waitcnt vmcnt(0)
	ds_write_b32 v98, v122
	s_waitcnt lgkmcnt(0)
	; wave barrier
	s_waitcnt lgkmcnt(0)
	s_and_saveexec_b64 s[10:11], s[6:7]
	s_cbranch_execz .LBB47_16
; %bb.11:
	s_andn2_b64 vcc, exec, s[8:9]
	s_cbranch_vccnz .LBB47_13
; %bb.12:
	buffer_load_dword v122, v99, s[0:3], 0 offen
	ds_read_b32 v123, v98
	s_waitcnt vmcnt(0) lgkmcnt(0)
	v_mul_f32_e32 v122, v122, v123
	s_cbranch_execz .LBB47_14
	s_branch .LBB47_15
.LBB47_13:
                                        ; implicit-def: $vgpr122
.LBB47_14:
	ds_read_b32 v122, v98
.LBB47_15:
	buffer_load_dword v123, off, s[0:3], 0 offset:184
	v_mov_b32_e32 v124, 0
	ds_read2_b32 v[124:125], v124 offset0:45 offset1:94
	s_waitcnt vmcnt(0) lgkmcnt(0)
	v_fma_f32 v123, v123, v125, v122
	v_cndmask_b32_e64 v122, v122, v123, s[4:5]
	v_mul_f32_e32 v122, v122, v124
	buffer_store_dword v122, off, s[0:3], 0 offset:180
.LBB47_16:
	s_or_b64 exec, exec, s[10:11]
	buffer_load_dword v122, off, s[0:3], 0 offset:176
	v_cmp_lt_u32_e64 s[4:5], 44, v0
	s_waitcnt vmcnt(0)
	ds_write_b32 v98, v122
	s_waitcnt lgkmcnt(0)
	; wave barrier
	s_waitcnt lgkmcnt(0)
	s_and_saveexec_b64 s[10:11], s[4:5]
	s_cbranch_execz .LBB47_26
; %bb.17:
	s_andn2_b64 vcc, exec, s[8:9]
	s_cbranch_vccnz .LBB47_19
; %bb.18:
	buffer_load_dword v122, v99, s[0:3], 0 offen
	ds_read_b32 v123, v98
	s_waitcnt vmcnt(0) lgkmcnt(0)
	v_mul_f32_e32 v122, v122, v123
	s_cbranch_execz .LBB47_20
	s_branch .LBB47_21
.LBB47_19:
                                        ; implicit-def: $vgpr122
.LBB47_20:
	ds_read_b32 v122, v98
.LBB47_21:
	s_and_saveexec_b64 s[12:13], s[6:7]
	s_cbranch_execz .LBB47_25
; %bb.22:
	v_mov_b32_e32 v123, 0
	v_add_u32_e32 v123, 0xb4, v123
	v_subrev_u32_e32 v124, 45, v0
	s_movk_i32 s14, 0x174
	s_mov_b64 s[6:7], 0
.LBB47_23:                              ; =>This Inner Loop Header: Depth=1
	buffer_load_dword v125, v123, s[0:3], 0 offen
	v_mov_b32_e32 v126, s14
	ds_read_b32 v126, v126
	v_add_u32_e32 v124, -1, v124
	s_add_i32 s14, s14, 4
	v_cmp_eq_u32_e32 vcc, 0, v124
	v_add_u32_e32 v123, 4, v123
	s_or_b64 s[6:7], vcc, s[6:7]
	s_waitcnt vmcnt(0) lgkmcnt(0)
	v_fmac_f32_e32 v122, v125, v126
	s_andn2_b64 exec, exec, s[6:7]
	s_cbranch_execnz .LBB47_23
; %bb.24:
	s_or_b64 exec, exec, s[6:7]
.LBB47_25:
	s_or_b64 exec, exec, s[12:13]
	v_mov_b32_e32 v123, 0
	ds_read_b32 v123, v123 offset:176
	s_waitcnt lgkmcnt(0)
	v_mul_f32_e32 v122, v122, v123
	buffer_store_dword v122, off, s[0:3], 0 offset:176
.LBB47_26:
	s_or_b64 exec, exec, s[10:11]
	buffer_load_dword v122, off, s[0:3], 0 offset:172
	v_cmp_lt_u32_e64 s[6:7], 43, v0
	s_waitcnt vmcnt(0)
	ds_write_b32 v98, v122
	s_waitcnt lgkmcnt(0)
	; wave barrier
	s_waitcnt lgkmcnt(0)
	s_and_saveexec_b64 s[10:11], s[6:7]
	s_cbranch_execz .LBB47_36
; %bb.27:
	s_andn2_b64 vcc, exec, s[8:9]
	s_cbranch_vccnz .LBB47_29
; %bb.28:
	buffer_load_dword v122, v99, s[0:3], 0 offen
	ds_read_b32 v123, v98
	s_waitcnt vmcnt(0) lgkmcnt(0)
	v_mul_f32_e32 v122, v122, v123
	s_cbranch_execz .LBB47_30
	s_branch .LBB47_31
.LBB47_29:
                                        ; implicit-def: $vgpr122
.LBB47_30:
	ds_read_b32 v122, v98
.LBB47_31:
	s_and_saveexec_b64 s[12:13], s[4:5]
	s_cbranch_execz .LBB47_35
; %bb.32:
	v_subrev_u32_e32 v123, 44, v0
	s_movk_i32 s14, 0x170
	s_mov_b64 s[4:5], 0
.LBB47_33:                              ; =>This Inner Loop Header: Depth=1
	buffer_load_dword v124, v121, s[0:3], 0 offen
	v_mov_b32_e32 v125, s14
	ds_read_b32 v125, v125
	v_add_u32_e32 v123, -1, v123
	s_add_i32 s14, s14, 4
	v_cmp_eq_u32_e32 vcc, 0, v123
	v_add_u32_e32 v121, 4, v121
	s_or_b64 s[4:5], vcc, s[4:5]
	s_waitcnt vmcnt(0) lgkmcnt(0)
	v_fmac_f32_e32 v122, v124, v125
	s_andn2_b64 exec, exec, s[4:5]
	s_cbranch_execnz .LBB47_33
; %bb.34:
	s_or_b64 exec, exec, s[4:5]
.LBB47_35:
	s_or_b64 exec, exec, s[12:13]
	v_mov_b32_e32 v121, 0
	ds_read_b32 v121, v121 offset:172
	s_waitcnt lgkmcnt(0)
	v_mul_f32_e32 v121, v122, v121
	buffer_store_dword v121, off, s[0:3], 0 offset:172
.LBB47_36:
	s_or_b64 exec, exec, s[10:11]
	buffer_load_dword v121, off, s[0:3], 0 offset:168
	v_cmp_lt_u32_e64 s[4:5], 42, v0
	s_waitcnt vmcnt(0)
	ds_write_b32 v98, v121
	s_waitcnt lgkmcnt(0)
	; wave barrier
	s_waitcnt lgkmcnt(0)
	s_and_saveexec_b64 s[10:11], s[4:5]
	s_cbranch_execz .LBB47_46
; %bb.37:
	s_andn2_b64 vcc, exec, s[8:9]
	s_cbranch_vccnz .LBB47_39
; %bb.38:
	buffer_load_dword v121, v99, s[0:3], 0 offen
	ds_read_b32 v122, v98
	s_waitcnt vmcnt(0) lgkmcnt(0)
	v_mul_f32_e32 v121, v121, v122
	s_cbranch_execz .LBB47_40
	s_branch .LBB47_41
.LBB47_39:
                                        ; implicit-def: $vgpr121
.LBB47_40:
	ds_read_b32 v121, v98
.LBB47_41:
	s_and_saveexec_b64 s[12:13], s[6:7]
	s_cbranch_execz .LBB47_45
; %bb.42:
	v_mov_b32_e32 v122, 0
	v_add_u32_e32 v122, 0xac, v122
	v_subrev_u32_e32 v123, 43, v0
	s_movk_i32 s14, 0x16c
	s_mov_b64 s[6:7], 0
.LBB47_43:                              ; =>This Inner Loop Header: Depth=1
	buffer_load_dword v124, v122, s[0:3], 0 offen
	v_mov_b32_e32 v125, s14
	ds_read_b32 v125, v125
	v_add_u32_e32 v123, -1, v123
	s_add_i32 s14, s14, 4
	v_cmp_eq_u32_e32 vcc, 0, v123
	v_add_u32_e32 v122, 4, v122
	s_or_b64 s[6:7], vcc, s[6:7]
	s_waitcnt vmcnt(0) lgkmcnt(0)
	v_fmac_f32_e32 v121, v124, v125
	s_andn2_b64 exec, exec, s[6:7]
	s_cbranch_execnz .LBB47_43
; %bb.44:
	s_or_b64 exec, exec, s[6:7]
.LBB47_45:
	s_or_b64 exec, exec, s[12:13]
	v_mov_b32_e32 v122, 0
	ds_read_b32 v122, v122 offset:168
	s_waitcnt lgkmcnt(0)
	v_mul_f32_e32 v121, v121, v122
	buffer_store_dword v121, off, s[0:3], 0 offset:168
.LBB47_46:
	s_or_b64 exec, exec, s[10:11]
	buffer_load_dword v121, off, s[0:3], 0 offset:164
	v_cmp_lt_u32_e64 s[6:7], 41, v0
	s_waitcnt vmcnt(0)
	ds_write_b32 v98, v121
	s_waitcnt lgkmcnt(0)
	; wave barrier
	s_waitcnt lgkmcnt(0)
	s_and_saveexec_b64 s[10:11], s[6:7]
	s_cbranch_execz .LBB47_56
; %bb.47:
	s_andn2_b64 vcc, exec, s[8:9]
	s_cbranch_vccnz .LBB47_49
; %bb.48:
	buffer_load_dword v121, v99, s[0:3], 0 offen
	ds_read_b32 v122, v98
	s_waitcnt vmcnt(0) lgkmcnt(0)
	v_mul_f32_e32 v121, v121, v122
	s_cbranch_execz .LBB47_50
	s_branch .LBB47_51
.LBB47_49:
                                        ; implicit-def: $vgpr121
.LBB47_50:
	ds_read_b32 v121, v98
.LBB47_51:
	s_and_saveexec_b64 s[12:13], s[4:5]
	s_cbranch_execz .LBB47_55
; %bb.52:
	v_subrev_u32_e32 v122, 42, v0
	s_movk_i32 s14, 0x168
	s_mov_b64 s[4:5], 0
.LBB47_53:                              ; =>This Inner Loop Header: Depth=1
	buffer_load_dword v123, v120, s[0:3], 0 offen
	v_mov_b32_e32 v124, s14
	ds_read_b32 v124, v124
	v_add_u32_e32 v122, -1, v122
	s_add_i32 s14, s14, 4
	v_cmp_eq_u32_e32 vcc, 0, v122
	v_add_u32_e32 v120, 4, v120
	s_or_b64 s[4:5], vcc, s[4:5]
	s_waitcnt vmcnt(0) lgkmcnt(0)
	v_fmac_f32_e32 v121, v123, v124
	s_andn2_b64 exec, exec, s[4:5]
	s_cbranch_execnz .LBB47_53
; %bb.54:
	s_or_b64 exec, exec, s[4:5]
.LBB47_55:
	s_or_b64 exec, exec, s[12:13]
	v_mov_b32_e32 v120, 0
	ds_read_b32 v120, v120 offset:164
	s_waitcnt lgkmcnt(0)
	v_mul_f32_e32 v120, v121, v120
	buffer_store_dword v120, off, s[0:3], 0 offset:164
.LBB47_56:
	s_or_b64 exec, exec, s[10:11]
	buffer_load_dword v120, off, s[0:3], 0 offset:160
	v_cmp_lt_u32_e64 s[4:5], 40, v0
	s_waitcnt vmcnt(0)
	ds_write_b32 v98, v120
	s_waitcnt lgkmcnt(0)
	; wave barrier
	s_waitcnt lgkmcnt(0)
	s_and_saveexec_b64 s[10:11], s[4:5]
	s_cbranch_execz .LBB47_66
; %bb.57:
	s_andn2_b64 vcc, exec, s[8:9]
	s_cbranch_vccnz .LBB47_59
; %bb.58:
	buffer_load_dword v120, v99, s[0:3], 0 offen
	ds_read_b32 v121, v98
	s_waitcnt vmcnt(0) lgkmcnt(0)
	v_mul_f32_e32 v120, v120, v121
	s_cbranch_execz .LBB47_60
	s_branch .LBB47_61
.LBB47_59:
                                        ; implicit-def: $vgpr120
.LBB47_60:
	ds_read_b32 v120, v98
.LBB47_61:
	s_and_saveexec_b64 s[12:13], s[6:7]
	s_cbranch_execz .LBB47_65
; %bb.62:
	v_mov_b32_e32 v121, 0
	v_add_u32_e32 v121, 0xa4, v121
	v_subrev_u32_e32 v122, 41, v0
	s_movk_i32 s14, 0x164
	s_mov_b64 s[6:7], 0
.LBB47_63:                              ; =>This Inner Loop Header: Depth=1
	buffer_load_dword v123, v121, s[0:3], 0 offen
	v_mov_b32_e32 v124, s14
	ds_read_b32 v124, v124
	v_add_u32_e32 v122, -1, v122
	s_add_i32 s14, s14, 4
	v_cmp_eq_u32_e32 vcc, 0, v122
	v_add_u32_e32 v121, 4, v121
	s_or_b64 s[6:7], vcc, s[6:7]
	s_waitcnt vmcnt(0) lgkmcnt(0)
	v_fmac_f32_e32 v120, v123, v124
	s_andn2_b64 exec, exec, s[6:7]
	s_cbranch_execnz .LBB47_63
; %bb.64:
	s_or_b64 exec, exec, s[6:7]
.LBB47_65:
	s_or_b64 exec, exec, s[12:13]
	v_mov_b32_e32 v121, 0
	ds_read_b32 v121, v121 offset:160
	s_waitcnt lgkmcnt(0)
	v_mul_f32_e32 v120, v120, v121
	buffer_store_dword v120, off, s[0:3], 0 offset:160
.LBB47_66:
	s_or_b64 exec, exec, s[10:11]
	buffer_load_dword v120, off, s[0:3], 0 offset:156
	v_cmp_lt_u32_e64 s[6:7], 39, v0
	s_waitcnt vmcnt(0)
	ds_write_b32 v98, v120
	s_waitcnt lgkmcnt(0)
	; wave barrier
	s_waitcnt lgkmcnt(0)
	s_and_saveexec_b64 s[10:11], s[6:7]
	s_cbranch_execz .LBB47_76
; %bb.67:
	s_andn2_b64 vcc, exec, s[8:9]
	s_cbranch_vccnz .LBB47_69
; %bb.68:
	buffer_load_dword v120, v99, s[0:3], 0 offen
	ds_read_b32 v121, v98
	s_waitcnt vmcnt(0) lgkmcnt(0)
	v_mul_f32_e32 v120, v120, v121
	s_cbranch_execz .LBB47_70
	s_branch .LBB47_71
.LBB47_69:
                                        ; implicit-def: $vgpr120
.LBB47_70:
	ds_read_b32 v120, v98
.LBB47_71:
	s_and_saveexec_b64 s[12:13], s[4:5]
	s_cbranch_execz .LBB47_75
; %bb.72:
	v_subrev_u32_e32 v121, 40, v0
	s_movk_i32 s14, 0x160
	s_mov_b64 s[4:5], 0
.LBB47_73:                              ; =>This Inner Loop Header: Depth=1
	buffer_load_dword v122, v119, s[0:3], 0 offen
	v_mov_b32_e32 v123, s14
	ds_read_b32 v123, v123
	v_add_u32_e32 v121, -1, v121
	s_add_i32 s14, s14, 4
	v_cmp_eq_u32_e32 vcc, 0, v121
	v_add_u32_e32 v119, 4, v119
	s_or_b64 s[4:5], vcc, s[4:5]
	s_waitcnt vmcnt(0) lgkmcnt(0)
	v_fmac_f32_e32 v120, v122, v123
	s_andn2_b64 exec, exec, s[4:5]
	s_cbranch_execnz .LBB47_73
; %bb.74:
	s_or_b64 exec, exec, s[4:5]
.LBB47_75:
	s_or_b64 exec, exec, s[12:13]
	v_mov_b32_e32 v119, 0
	ds_read_b32 v119, v119 offset:156
	s_waitcnt lgkmcnt(0)
	v_mul_f32_e32 v119, v120, v119
	buffer_store_dword v119, off, s[0:3], 0 offset:156
.LBB47_76:
	s_or_b64 exec, exec, s[10:11]
	buffer_load_dword v119, off, s[0:3], 0 offset:152
	v_cmp_lt_u32_e64 s[4:5], 38, v0
	s_waitcnt vmcnt(0)
	ds_write_b32 v98, v119
	s_waitcnt lgkmcnt(0)
	; wave barrier
	s_waitcnt lgkmcnt(0)
	s_and_saveexec_b64 s[10:11], s[4:5]
	s_cbranch_execz .LBB47_86
; %bb.77:
	s_andn2_b64 vcc, exec, s[8:9]
	s_cbranch_vccnz .LBB47_79
; %bb.78:
	buffer_load_dword v119, v99, s[0:3], 0 offen
	ds_read_b32 v120, v98
	s_waitcnt vmcnt(0) lgkmcnt(0)
	v_mul_f32_e32 v119, v119, v120
	s_cbranch_execz .LBB47_80
	s_branch .LBB47_81
.LBB47_79:
                                        ; implicit-def: $vgpr119
.LBB47_80:
	ds_read_b32 v119, v98
.LBB47_81:
	s_and_saveexec_b64 s[12:13], s[6:7]
	s_cbranch_execz .LBB47_85
; %bb.82:
	v_mov_b32_e32 v120, 0
	v_add_u32_e32 v120, 0x9c, v120
	v_subrev_u32_e32 v121, 39, v0
	s_movk_i32 s14, 0x15c
	s_mov_b64 s[6:7], 0
.LBB47_83:                              ; =>This Inner Loop Header: Depth=1
	buffer_load_dword v122, v120, s[0:3], 0 offen
	v_mov_b32_e32 v123, s14
	ds_read_b32 v123, v123
	v_add_u32_e32 v121, -1, v121
	s_add_i32 s14, s14, 4
	v_cmp_eq_u32_e32 vcc, 0, v121
	v_add_u32_e32 v120, 4, v120
	s_or_b64 s[6:7], vcc, s[6:7]
	s_waitcnt vmcnt(0) lgkmcnt(0)
	v_fmac_f32_e32 v119, v122, v123
	s_andn2_b64 exec, exec, s[6:7]
	s_cbranch_execnz .LBB47_83
; %bb.84:
	s_or_b64 exec, exec, s[6:7]
.LBB47_85:
	s_or_b64 exec, exec, s[12:13]
	v_mov_b32_e32 v120, 0
	ds_read_b32 v120, v120 offset:152
	s_waitcnt lgkmcnt(0)
	v_mul_f32_e32 v119, v119, v120
	buffer_store_dword v119, off, s[0:3], 0 offset:152
.LBB47_86:
	s_or_b64 exec, exec, s[10:11]
	buffer_load_dword v119, off, s[0:3], 0 offset:148
	v_cmp_lt_u32_e64 s[6:7], 37, v0
	s_waitcnt vmcnt(0)
	ds_write_b32 v98, v119
	s_waitcnt lgkmcnt(0)
	; wave barrier
	s_waitcnt lgkmcnt(0)
	s_and_saveexec_b64 s[10:11], s[6:7]
	s_cbranch_execz .LBB47_96
; %bb.87:
	s_andn2_b64 vcc, exec, s[8:9]
	s_cbranch_vccnz .LBB47_89
; %bb.88:
	buffer_load_dword v119, v99, s[0:3], 0 offen
	ds_read_b32 v120, v98
	s_waitcnt vmcnt(0) lgkmcnt(0)
	v_mul_f32_e32 v119, v119, v120
	s_cbranch_execz .LBB47_90
	s_branch .LBB47_91
.LBB47_89:
                                        ; implicit-def: $vgpr119
.LBB47_90:
	ds_read_b32 v119, v98
.LBB47_91:
	s_and_saveexec_b64 s[12:13], s[4:5]
	s_cbranch_execz .LBB47_95
; %bb.92:
	v_subrev_u32_e32 v120, 38, v0
	s_movk_i32 s14, 0x158
	s_mov_b64 s[4:5], 0
.LBB47_93:                              ; =>This Inner Loop Header: Depth=1
	buffer_load_dword v121, v118, s[0:3], 0 offen
	v_mov_b32_e32 v122, s14
	ds_read_b32 v122, v122
	v_add_u32_e32 v120, -1, v120
	s_add_i32 s14, s14, 4
	v_cmp_eq_u32_e32 vcc, 0, v120
	v_add_u32_e32 v118, 4, v118
	s_or_b64 s[4:5], vcc, s[4:5]
	s_waitcnt vmcnt(0) lgkmcnt(0)
	v_fmac_f32_e32 v119, v121, v122
	s_andn2_b64 exec, exec, s[4:5]
	s_cbranch_execnz .LBB47_93
; %bb.94:
	s_or_b64 exec, exec, s[4:5]
.LBB47_95:
	s_or_b64 exec, exec, s[12:13]
	v_mov_b32_e32 v118, 0
	ds_read_b32 v118, v118 offset:148
	s_waitcnt lgkmcnt(0)
	v_mul_f32_e32 v118, v119, v118
	buffer_store_dword v118, off, s[0:3], 0 offset:148
.LBB47_96:
	s_or_b64 exec, exec, s[10:11]
	buffer_load_dword v118, off, s[0:3], 0 offset:144
	v_cmp_lt_u32_e64 s[4:5], 36, v0
	s_waitcnt vmcnt(0)
	ds_write_b32 v98, v118
	s_waitcnt lgkmcnt(0)
	; wave barrier
	s_waitcnt lgkmcnt(0)
	s_and_saveexec_b64 s[10:11], s[4:5]
	s_cbranch_execz .LBB47_106
; %bb.97:
	s_andn2_b64 vcc, exec, s[8:9]
	s_cbranch_vccnz .LBB47_99
; %bb.98:
	buffer_load_dword v118, v99, s[0:3], 0 offen
	ds_read_b32 v119, v98
	s_waitcnt vmcnt(0) lgkmcnt(0)
	v_mul_f32_e32 v118, v118, v119
	s_cbranch_execz .LBB47_100
	s_branch .LBB47_101
.LBB47_99:
                                        ; implicit-def: $vgpr118
.LBB47_100:
	ds_read_b32 v118, v98
.LBB47_101:
	s_and_saveexec_b64 s[12:13], s[6:7]
	s_cbranch_execz .LBB47_105
; %bb.102:
	v_mov_b32_e32 v119, 0
	v_add_u32_e32 v119, 0x94, v119
	v_subrev_u32_e32 v120, 37, v0
	s_movk_i32 s14, 0x154
	s_mov_b64 s[6:7], 0
.LBB47_103:                             ; =>This Inner Loop Header: Depth=1
	buffer_load_dword v121, v119, s[0:3], 0 offen
	v_mov_b32_e32 v122, s14
	ds_read_b32 v122, v122
	v_add_u32_e32 v120, -1, v120
	s_add_i32 s14, s14, 4
	v_cmp_eq_u32_e32 vcc, 0, v120
	v_add_u32_e32 v119, 4, v119
	s_or_b64 s[6:7], vcc, s[6:7]
	s_waitcnt vmcnt(0) lgkmcnt(0)
	v_fmac_f32_e32 v118, v121, v122
	s_andn2_b64 exec, exec, s[6:7]
	s_cbranch_execnz .LBB47_103
; %bb.104:
	s_or_b64 exec, exec, s[6:7]
.LBB47_105:
	s_or_b64 exec, exec, s[12:13]
	v_mov_b32_e32 v119, 0
	ds_read_b32 v119, v119 offset:144
	s_waitcnt lgkmcnt(0)
	v_mul_f32_e32 v118, v118, v119
	buffer_store_dword v118, off, s[0:3], 0 offset:144
.LBB47_106:
	s_or_b64 exec, exec, s[10:11]
	buffer_load_dword v118, off, s[0:3], 0 offset:140
	v_cmp_lt_u32_e64 s[6:7], 35, v0
	s_waitcnt vmcnt(0)
	ds_write_b32 v98, v118
	s_waitcnt lgkmcnt(0)
	; wave barrier
	s_waitcnt lgkmcnt(0)
	s_and_saveexec_b64 s[10:11], s[6:7]
	s_cbranch_execz .LBB47_116
; %bb.107:
	s_andn2_b64 vcc, exec, s[8:9]
	s_cbranch_vccnz .LBB47_109
; %bb.108:
	buffer_load_dword v118, v99, s[0:3], 0 offen
	ds_read_b32 v119, v98
	s_waitcnt vmcnt(0) lgkmcnt(0)
	v_mul_f32_e32 v118, v118, v119
	s_cbranch_execz .LBB47_110
	s_branch .LBB47_111
.LBB47_109:
                                        ; implicit-def: $vgpr118
.LBB47_110:
	ds_read_b32 v118, v98
.LBB47_111:
	s_and_saveexec_b64 s[12:13], s[4:5]
	s_cbranch_execz .LBB47_115
; %bb.112:
	v_subrev_u32_e32 v119, 36, v0
	s_movk_i32 s14, 0x150
	s_mov_b64 s[4:5], 0
.LBB47_113:                             ; =>This Inner Loop Header: Depth=1
	buffer_load_dword v120, v117, s[0:3], 0 offen
	v_mov_b32_e32 v121, s14
	ds_read_b32 v121, v121
	v_add_u32_e32 v119, -1, v119
	s_add_i32 s14, s14, 4
	v_cmp_eq_u32_e32 vcc, 0, v119
	v_add_u32_e32 v117, 4, v117
	s_or_b64 s[4:5], vcc, s[4:5]
	s_waitcnt vmcnt(0) lgkmcnt(0)
	v_fmac_f32_e32 v118, v120, v121
	s_andn2_b64 exec, exec, s[4:5]
	s_cbranch_execnz .LBB47_113
; %bb.114:
	s_or_b64 exec, exec, s[4:5]
.LBB47_115:
	s_or_b64 exec, exec, s[12:13]
	v_mov_b32_e32 v117, 0
	ds_read_b32 v117, v117 offset:140
	s_waitcnt lgkmcnt(0)
	v_mul_f32_e32 v117, v118, v117
	buffer_store_dword v117, off, s[0:3], 0 offset:140
.LBB47_116:
	s_or_b64 exec, exec, s[10:11]
	buffer_load_dword v117, off, s[0:3], 0 offset:136
	v_cmp_lt_u32_e64 s[4:5], 34, v0
	s_waitcnt vmcnt(0)
	ds_write_b32 v98, v117
	s_waitcnt lgkmcnt(0)
	; wave barrier
	s_waitcnt lgkmcnt(0)
	s_and_saveexec_b64 s[10:11], s[4:5]
	s_cbranch_execz .LBB47_126
; %bb.117:
	s_andn2_b64 vcc, exec, s[8:9]
	s_cbranch_vccnz .LBB47_119
; %bb.118:
	buffer_load_dword v117, v99, s[0:3], 0 offen
	ds_read_b32 v118, v98
	s_waitcnt vmcnt(0) lgkmcnt(0)
	v_mul_f32_e32 v117, v117, v118
	s_cbranch_execz .LBB47_120
	s_branch .LBB47_121
.LBB47_119:
                                        ; implicit-def: $vgpr117
.LBB47_120:
	ds_read_b32 v117, v98
.LBB47_121:
	s_and_saveexec_b64 s[12:13], s[6:7]
	s_cbranch_execz .LBB47_125
; %bb.122:
	v_mov_b32_e32 v118, 0
	v_add_u32_e32 v118, 0x8c, v118
	v_subrev_u32_e32 v119, 35, v0
	s_movk_i32 s14, 0x14c
	s_mov_b64 s[6:7], 0
.LBB47_123:                             ; =>This Inner Loop Header: Depth=1
	buffer_load_dword v120, v118, s[0:3], 0 offen
	v_mov_b32_e32 v121, s14
	ds_read_b32 v121, v121
	v_add_u32_e32 v119, -1, v119
	s_add_i32 s14, s14, 4
	v_cmp_eq_u32_e32 vcc, 0, v119
	v_add_u32_e32 v118, 4, v118
	s_or_b64 s[6:7], vcc, s[6:7]
	s_waitcnt vmcnt(0) lgkmcnt(0)
	v_fmac_f32_e32 v117, v120, v121
	s_andn2_b64 exec, exec, s[6:7]
	s_cbranch_execnz .LBB47_123
; %bb.124:
	s_or_b64 exec, exec, s[6:7]
.LBB47_125:
	s_or_b64 exec, exec, s[12:13]
	v_mov_b32_e32 v118, 0
	ds_read_b32 v118, v118 offset:136
	s_waitcnt lgkmcnt(0)
	v_mul_f32_e32 v117, v117, v118
	buffer_store_dword v117, off, s[0:3], 0 offset:136
.LBB47_126:
	s_or_b64 exec, exec, s[10:11]
	buffer_load_dword v117, off, s[0:3], 0 offset:132
	v_cmp_lt_u32_e64 s[6:7], 33, v0
	s_waitcnt vmcnt(0)
	ds_write_b32 v98, v117
	s_waitcnt lgkmcnt(0)
	; wave barrier
	s_waitcnt lgkmcnt(0)
	s_and_saveexec_b64 s[10:11], s[6:7]
	s_cbranch_execz .LBB47_136
; %bb.127:
	s_andn2_b64 vcc, exec, s[8:9]
	s_cbranch_vccnz .LBB47_129
; %bb.128:
	buffer_load_dword v117, v99, s[0:3], 0 offen
	ds_read_b32 v118, v98
	s_waitcnt vmcnt(0) lgkmcnt(0)
	v_mul_f32_e32 v117, v117, v118
	s_cbranch_execz .LBB47_130
	s_branch .LBB47_131
.LBB47_129:
                                        ; implicit-def: $vgpr117
.LBB47_130:
	ds_read_b32 v117, v98
.LBB47_131:
	s_and_saveexec_b64 s[12:13], s[4:5]
	s_cbranch_execz .LBB47_135
; %bb.132:
	v_subrev_u32_e32 v118, 34, v0
	s_movk_i32 s14, 0x148
	s_mov_b64 s[4:5], 0
.LBB47_133:                             ; =>This Inner Loop Header: Depth=1
	buffer_load_dword v119, v116, s[0:3], 0 offen
	v_mov_b32_e32 v120, s14
	ds_read_b32 v120, v120
	v_add_u32_e32 v118, -1, v118
	s_add_i32 s14, s14, 4
	v_cmp_eq_u32_e32 vcc, 0, v118
	v_add_u32_e32 v116, 4, v116
	s_or_b64 s[4:5], vcc, s[4:5]
	s_waitcnt vmcnt(0) lgkmcnt(0)
	v_fmac_f32_e32 v117, v119, v120
	s_andn2_b64 exec, exec, s[4:5]
	s_cbranch_execnz .LBB47_133
; %bb.134:
	s_or_b64 exec, exec, s[4:5]
.LBB47_135:
	s_or_b64 exec, exec, s[12:13]
	v_mov_b32_e32 v116, 0
	ds_read_b32 v116, v116 offset:132
	s_waitcnt lgkmcnt(0)
	v_mul_f32_e32 v116, v117, v116
	buffer_store_dword v116, off, s[0:3], 0 offset:132
.LBB47_136:
	s_or_b64 exec, exec, s[10:11]
	buffer_load_dword v116, off, s[0:3], 0 offset:128
	v_cmp_lt_u32_e64 s[4:5], 32, v0
	s_waitcnt vmcnt(0)
	ds_write_b32 v98, v116
	s_waitcnt lgkmcnt(0)
	; wave barrier
	s_waitcnt lgkmcnt(0)
	s_and_saveexec_b64 s[10:11], s[4:5]
	s_cbranch_execz .LBB47_146
; %bb.137:
	s_andn2_b64 vcc, exec, s[8:9]
	s_cbranch_vccnz .LBB47_139
; %bb.138:
	buffer_load_dword v116, v99, s[0:3], 0 offen
	ds_read_b32 v117, v98
	s_waitcnt vmcnt(0) lgkmcnt(0)
	v_mul_f32_e32 v116, v116, v117
	s_cbranch_execz .LBB47_140
	s_branch .LBB47_141
.LBB47_139:
                                        ; implicit-def: $vgpr116
.LBB47_140:
	ds_read_b32 v116, v98
.LBB47_141:
	s_and_saveexec_b64 s[12:13], s[6:7]
	s_cbranch_execz .LBB47_145
; %bb.142:
	v_mov_b32_e32 v117, 0
	v_add_u32_e32 v117, 0x84, v117
	v_subrev_u32_e32 v118, 33, v0
	s_movk_i32 s14, 0x144
	s_mov_b64 s[6:7], 0
.LBB47_143:                             ; =>This Inner Loop Header: Depth=1
	buffer_load_dword v119, v117, s[0:3], 0 offen
	v_mov_b32_e32 v120, s14
	ds_read_b32 v120, v120
	v_add_u32_e32 v118, -1, v118
	s_add_i32 s14, s14, 4
	v_cmp_eq_u32_e32 vcc, 0, v118
	v_add_u32_e32 v117, 4, v117
	s_or_b64 s[6:7], vcc, s[6:7]
	s_waitcnt vmcnt(0) lgkmcnt(0)
	v_fmac_f32_e32 v116, v119, v120
	s_andn2_b64 exec, exec, s[6:7]
	s_cbranch_execnz .LBB47_143
; %bb.144:
	s_or_b64 exec, exec, s[6:7]
.LBB47_145:
	s_or_b64 exec, exec, s[12:13]
	v_mov_b32_e32 v117, 0
	ds_read_b32 v117, v117 offset:128
	s_waitcnt lgkmcnt(0)
	v_mul_f32_e32 v116, v116, v117
	buffer_store_dword v116, off, s[0:3], 0 offset:128
.LBB47_146:
	s_or_b64 exec, exec, s[10:11]
	buffer_load_dword v116, off, s[0:3], 0 offset:124
	v_cmp_lt_u32_e64 s[6:7], 31, v0
	s_waitcnt vmcnt(0)
	ds_write_b32 v98, v116
	s_waitcnt lgkmcnt(0)
	; wave barrier
	s_waitcnt lgkmcnt(0)
	s_and_saveexec_b64 s[10:11], s[6:7]
	s_cbranch_execz .LBB47_156
; %bb.147:
	s_andn2_b64 vcc, exec, s[8:9]
	s_cbranch_vccnz .LBB47_149
; %bb.148:
	buffer_load_dword v116, v99, s[0:3], 0 offen
	ds_read_b32 v117, v98
	s_waitcnt vmcnt(0) lgkmcnt(0)
	v_mul_f32_e32 v116, v116, v117
	s_cbranch_execz .LBB47_150
	s_branch .LBB47_151
.LBB47_149:
                                        ; implicit-def: $vgpr116
.LBB47_150:
	ds_read_b32 v116, v98
.LBB47_151:
	s_and_saveexec_b64 s[12:13], s[4:5]
	s_cbranch_execz .LBB47_155
; %bb.152:
	v_subrev_u32_e32 v117, 32, v0
	s_movk_i32 s14, 0x140
	s_mov_b64 s[4:5], 0
.LBB47_153:                             ; =>This Inner Loop Header: Depth=1
	buffer_load_dword v118, v115, s[0:3], 0 offen
	v_mov_b32_e32 v119, s14
	ds_read_b32 v119, v119
	v_add_u32_e32 v117, -1, v117
	s_add_i32 s14, s14, 4
	v_cmp_eq_u32_e32 vcc, 0, v117
	v_add_u32_e32 v115, 4, v115
	s_or_b64 s[4:5], vcc, s[4:5]
	s_waitcnt vmcnt(0) lgkmcnt(0)
	v_fmac_f32_e32 v116, v118, v119
	s_andn2_b64 exec, exec, s[4:5]
	s_cbranch_execnz .LBB47_153
; %bb.154:
	s_or_b64 exec, exec, s[4:5]
.LBB47_155:
	s_or_b64 exec, exec, s[12:13]
	v_mov_b32_e32 v115, 0
	ds_read_b32 v115, v115 offset:124
	s_waitcnt lgkmcnt(0)
	v_mul_f32_e32 v115, v116, v115
	buffer_store_dword v115, off, s[0:3], 0 offset:124
.LBB47_156:
	s_or_b64 exec, exec, s[10:11]
	buffer_load_dword v115, off, s[0:3], 0 offset:120
	v_cmp_lt_u32_e64 s[4:5], 30, v0
	s_waitcnt vmcnt(0)
	ds_write_b32 v98, v115
	s_waitcnt lgkmcnt(0)
	; wave barrier
	s_waitcnt lgkmcnt(0)
	s_and_saveexec_b64 s[10:11], s[4:5]
	s_cbranch_execz .LBB47_166
; %bb.157:
	s_andn2_b64 vcc, exec, s[8:9]
	s_cbranch_vccnz .LBB47_159
; %bb.158:
	buffer_load_dword v115, v99, s[0:3], 0 offen
	ds_read_b32 v116, v98
	s_waitcnt vmcnt(0) lgkmcnt(0)
	v_mul_f32_e32 v115, v115, v116
	s_cbranch_execz .LBB47_160
	s_branch .LBB47_161
.LBB47_159:
                                        ; implicit-def: $vgpr115
.LBB47_160:
	ds_read_b32 v115, v98
.LBB47_161:
	s_and_saveexec_b64 s[12:13], s[6:7]
	s_cbranch_execz .LBB47_165
; %bb.162:
	v_mov_b32_e32 v116, 0
	v_add_u32_e32 v116, 0x7c, v116
	v_subrev_u32_e32 v117, 31, v0
	s_movk_i32 s14, 0x13c
	s_mov_b64 s[6:7], 0
.LBB47_163:                             ; =>This Inner Loop Header: Depth=1
	buffer_load_dword v118, v116, s[0:3], 0 offen
	v_mov_b32_e32 v119, s14
	ds_read_b32 v119, v119
	v_add_u32_e32 v117, -1, v117
	s_add_i32 s14, s14, 4
	v_cmp_eq_u32_e32 vcc, 0, v117
	v_add_u32_e32 v116, 4, v116
	s_or_b64 s[6:7], vcc, s[6:7]
	s_waitcnt vmcnt(0) lgkmcnt(0)
	v_fmac_f32_e32 v115, v118, v119
	s_andn2_b64 exec, exec, s[6:7]
	s_cbranch_execnz .LBB47_163
; %bb.164:
	s_or_b64 exec, exec, s[6:7]
.LBB47_165:
	s_or_b64 exec, exec, s[12:13]
	v_mov_b32_e32 v116, 0
	ds_read_b32 v116, v116 offset:120
	s_waitcnt lgkmcnt(0)
	v_mul_f32_e32 v115, v115, v116
	buffer_store_dword v115, off, s[0:3], 0 offset:120
.LBB47_166:
	s_or_b64 exec, exec, s[10:11]
	buffer_load_dword v115, off, s[0:3], 0 offset:116
	v_cmp_lt_u32_e64 s[6:7], 29, v0
	s_waitcnt vmcnt(0)
	ds_write_b32 v98, v115
	s_waitcnt lgkmcnt(0)
	; wave barrier
	s_waitcnt lgkmcnt(0)
	s_and_saveexec_b64 s[10:11], s[6:7]
	s_cbranch_execz .LBB47_176
; %bb.167:
	s_andn2_b64 vcc, exec, s[8:9]
	s_cbranch_vccnz .LBB47_169
; %bb.168:
	buffer_load_dword v115, v99, s[0:3], 0 offen
	ds_read_b32 v116, v98
	s_waitcnt vmcnt(0) lgkmcnt(0)
	v_mul_f32_e32 v115, v115, v116
	s_cbranch_execz .LBB47_170
	s_branch .LBB47_171
.LBB47_169:
                                        ; implicit-def: $vgpr115
.LBB47_170:
	ds_read_b32 v115, v98
.LBB47_171:
	s_and_saveexec_b64 s[12:13], s[4:5]
	s_cbranch_execz .LBB47_175
; %bb.172:
	v_subrev_u32_e32 v116, 30, v0
	s_movk_i32 s14, 0x138
	s_mov_b64 s[4:5], 0
.LBB47_173:                             ; =>This Inner Loop Header: Depth=1
	buffer_load_dword v117, v114, s[0:3], 0 offen
	v_mov_b32_e32 v118, s14
	ds_read_b32 v118, v118
	v_add_u32_e32 v116, -1, v116
	s_add_i32 s14, s14, 4
	v_cmp_eq_u32_e32 vcc, 0, v116
	v_add_u32_e32 v114, 4, v114
	s_or_b64 s[4:5], vcc, s[4:5]
	s_waitcnt vmcnt(0) lgkmcnt(0)
	v_fmac_f32_e32 v115, v117, v118
	s_andn2_b64 exec, exec, s[4:5]
	s_cbranch_execnz .LBB47_173
; %bb.174:
	s_or_b64 exec, exec, s[4:5]
.LBB47_175:
	s_or_b64 exec, exec, s[12:13]
	v_mov_b32_e32 v114, 0
	ds_read_b32 v114, v114 offset:116
	s_waitcnt lgkmcnt(0)
	v_mul_f32_e32 v114, v115, v114
	buffer_store_dword v114, off, s[0:3], 0 offset:116
.LBB47_176:
	s_or_b64 exec, exec, s[10:11]
	buffer_load_dword v114, off, s[0:3], 0 offset:112
	v_cmp_lt_u32_e64 s[4:5], 28, v0
	s_waitcnt vmcnt(0)
	ds_write_b32 v98, v114
	s_waitcnt lgkmcnt(0)
	; wave barrier
	s_waitcnt lgkmcnt(0)
	s_and_saveexec_b64 s[10:11], s[4:5]
	s_cbranch_execz .LBB47_186
; %bb.177:
	s_andn2_b64 vcc, exec, s[8:9]
	s_cbranch_vccnz .LBB47_179
; %bb.178:
	buffer_load_dword v114, v99, s[0:3], 0 offen
	ds_read_b32 v115, v98
	s_waitcnt vmcnt(0) lgkmcnt(0)
	v_mul_f32_e32 v114, v114, v115
	s_cbranch_execz .LBB47_180
	s_branch .LBB47_181
.LBB47_179:
                                        ; implicit-def: $vgpr114
.LBB47_180:
	ds_read_b32 v114, v98
.LBB47_181:
	s_and_saveexec_b64 s[12:13], s[6:7]
	s_cbranch_execz .LBB47_185
; %bb.182:
	v_mov_b32_e32 v115, 0
	v_add_u32_e32 v115, 0x74, v115
	v_subrev_u32_e32 v116, 29, v0
	s_movk_i32 s14, 0x134
	s_mov_b64 s[6:7], 0
.LBB47_183:                             ; =>This Inner Loop Header: Depth=1
	buffer_load_dword v117, v115, s[0:3], 0 offen
	v_mov_b32_e32 v118, s14
	ds_read_b32 v118, v118
	v_add_u32_e32 v116, -1, v116
	s_add_i32 s14, s14, 4
	v_cmp_eq_u32_e32 vcc, 0, v116
	v_add_u32_e32 v115, 4, v115
	s_or_b64 s[6:7], vcc, s[6:7]
	s_waitcnt vmcnt(0) lgkmcnt(0)
	v_fmac_f32_e32 v114, v117, v118
	s_andn2_b64 exec, exec, s[6:7]
	s_cbranch_execnz .LBB47_183
; %bb.184:
	s_or_b64 exec, exec, s[6:7]
.LBB47_185:
	s_or_b64 exec, exec, s[12:13]
	v_mov_b32_e32 v115, 0
	ds_read_b32 v115, v115 offset:112
	s_waitcnt lgkmcnt(0)
	v_mul_f32_e32 v114, v114, v115
	buffer_store_dword v114, off, s[0:3], 0 offset:112
.LBB47_186:
	s_or_b64 exec, exec, s[10:11]
	buffer_load_dword v114, off, s[0:3], 0 offset:108
	v_cmp_lt_u32_e64 s[6:7], 27, v0
	s_waitcnt vmcnt(0)
	ds_write_b32 v98, v114
	s_waitcnt lgkmcnt(0)
	; wave barrier
	s_waitcnt lgkmcnt(0)
	s_and_saveexec_b64 s[10:11], s[6:7]
	s_cbranch_execz .LBB47_196
; %bb.187:
	s_andn2_b64 vcc, exec, s[8:9]
	s_cbranch_vccnz .LBB47_189
; %bb.188:
	buffer_load_dword v114, v99, s[0:3], 0 offen
	ds_read_b32 v115, v98
	s_waitcnt vmcnt(0) lgkmcnt(0)
	v_mul_f32_e32 v114, v114, v115
	s_cbranch_execz .LBB47_190
	s_branch .LBB47_191
.LBB47_189:
                                        ; implicit-def: $vgpr114
.LBB47_190:
	ds_read_b32 v114, v98
.LBB47_191:
	s_and_saveexec_b64 s[12:13], s[4:5]
	s_cbranch_execz .LBB47_195
; %bb.192:
	v_subrev_u32_e32 v115, 28, v0
	s_movk_i32 s14, 0x130
	s_mov_b64 s[4:5], 0
.LBB47_193:                             ; =>This Inner Loop Header: Depth=1
	buffer_load_dword v116, v113, s[0:3], 0 offen
	v_mov_b32_e32 v117, s14
	ds_read_b32 v117, v117
	v_add_u32_e32 v115, -1, v115
	s_add_i32 s14, s14, 4
	v_cmp_eq_u32_e32 vcc, 0, v115
	v_add_u32_e32 v113, 4, v113
	s_or_b64 s[4:5], vcc, s[4:5]
	s_waitcnt vmcnt(0) lgkmcnt(0)
	v_fmac_f32_e32 v114, v116, v117
	s_andn2_b64 exec, exec, s[4:5]
	s_cbranch_execnz .LBB47_193
; %bb.194:
	s_or_b64 exec, exec, s[4:5]
.LBB47_195:
	s_or_b64 exec, exec, s[12:13]
	v_mov_b32_e32 v113, 0
	ds_read_b32 v113, v113 offset:108
	s_waitcnt lgkmcnt(0)
	v_mul_f32_e32 v113, v114, v113
	buffer_store_dword v113, off, s[0:3], 0 offset:108
.LBB47_196:
	s_or_b64 exec, exec, s[10:11]
	buffer_load_dword v113, off, s[0:3], 0 offset:104
	v_cmp_lt_u32_e64 s[4:5], 26, v0
	s_waitcnt vmcnt(0)
	ds_write_b32 v98, v113
	s_waitcnt lgkmcnt(0)
	; wave barrier
	s_waitcnt lgkmcnt(0)
	s_and_saveexec_b64 s[10:11], s[4:5]
	s_cbranch_execz .LBB47_206
; %bb.197:
	s_andn2_b64 vcc, exec, s[8:9]
	s_cbranch_vccnz .LBB47_199
; %bb.198:
	buffer_load_dword v113, v99, s[0:3], 0 offen
	ds_read_b32 v114, v98
	s_waitcnt vmcnt(0) lgkmcnt(0)
	v_mul_f32_e32 v113, v113, v114
	s_cbranch_execz .LBB47_200
	s_branch .LBB47_201
.LBB47_199:
                                        ; implicit-def: $vgpr113
.LBB47_200:
	ds_read_b32 v113, v98
.LBB47_201:
	s_and_saveexec_b64 s[12:13], s[6:7]
	s_cbranch_execz .LBB47_205
; %bb.202:
	v_mov_b32_e32 v114, 0
	v_add_u32_e32 v114, 0x6c, v114
	v_subrev_u32_e32 v115, 27, v0
	s_movk_i32 s14, 0x12c
	s_mov_b64 s[6:7], 0
.LBB47_203:                             ; =>This Inner Loop Header: Depth=1
	buffer_load_dword v116, v114, s[0:3], 0 offen
	v_mov_b32_e32 v117, s14
	ds_read_b32 v117, v117
	v_add_u32_e32 v115, -1, v115
	s_add_i32 s14, s14, 4
	v_cmp_eq_u32_e32 vcc, 0, v115
	v_add_u32_e32 v114, 4, v114
	s_or_b64 s[6:7], vcc, s[6:7]
	s_waitcnt vmcnt(0) lgkmcnt(0)
	v_fmac_f32_e32 v113, v116, v117
	s_andn2_b64 exec, exec, s[6:7]
	s_cbranch_execnz .LBB47_203
; %bb.204:
	s_or_b64 exec, exec, s[6:7]
.LBB47_205:
	s_or_b64 exec, exec, s[12:13]
	v_mov_b32_e32 v114, 0
	ds_read_b32 v114, v114 offset:104
	s_waitcnt lgkmcnt(0)
	v_mul_f32_e32 v113, v113, v114
	buffer_store_dword v113, off, s[0:3], 0 offset:104
.LBB47_206:
	s_or_b64 exec, exec, s[10:11]
	buffer_load_dword v113, off, s[0:3], 0 offset:100
	v_cmp_lt_u32_e64 s[6:7], 25, v0
	s_waitcnt vmcnt(0)
	ds_write_b32 v98, v113
	s_waitcnt lgkmcnt(0)
	; wave barrier
	s_waitcnt lgkmcnt(0)
	s_and_saveexec_b64 s[10:11], s[6:7]
	s_cbranch_execz .LBB47_216
; %bb.207:
	s_andn2_b64 vcc, exec, s[8:9]
	s_cbranch_vccnz .LBB47_209
; %bb.208:
	buffer_load_dword v113, v99, s[0:3], 0 offen
	ds_read_b32 v114, v98
	s_waitcnt vmcnt(0) lgkmcnt(0)
	v_mul_f32_e32 v113, v113, v114
	s_cbranch_execz .LBB47_210
	s_branch .LBB47_211
.LBB47_209:
                                        ; implicit-def: $vgpr113
.LBB47_210:
	ds_read_b32 v113, v98
.LBB47_211:
	s_and_saveexec_b64 s[12:13], s[4:5]
	s_cbranch_execz .LBB47_215
; %bb.212:
	v_subrev_u32_e32 v114, 26, v0
	s_movk_i32 s14, 0x128
	s_mov_b64 s[4:5], 0
.LBB47_213:                             ; =>This Inner Loop Header: Depth=1
	buffer_load_dword v115, v112, s[0:3], 0 offen
	v_mov_b32_e32 v116, s14
	ds_read_b32 v116, v116
	v_add_u32_e32 v114, -1, v114
	s_add_i32 s14, s14, 4
	v_cmp_eq_u32_e32 vcc, 0, v114
	v_add_u32_e32 v112, 4, v112
	s_or_b64 s[4:5], vcc, s[4:5]
	s_waitcnt vmcnt(0) lgkmcnt(0)
	v_fmac_f32_e32 v113, v115, v116
	s_andn2_b64 exec, exec, s[4:5]
	s_cbranch_execnz .LBB47_213
; %bb.214:
	s_or_b64 exec, exec, s[4:5]
.LBB47_215:
	s_or_b64 exec, exec, s[12:13]
	v_mov_b32_e32 v112, 0
	ds_read_b32 v112, v112 offset:100
	s_waitcnt lgkmcnt(0)
	v_mul_f32_e32 v112, v113, v112
	buffer_store_dword v112, off, s[0:3], 0 offset:100
.LBB47_216:
	s_or_b64 exec, exec, s[10:11]
	buffer_load_dword v112, off, s[0:3], 0 offset:96
	v_cmp_lt_u32_e64 s[4:5], 24, v0
	s_waitcnt vmcnt(0)
	ds_write_b32 v98, v112
	s_waitcnt lgkmcnt(0)
	; wave barrier
	s_waitcnt lgkmcnt(0)
	s_and_saveexec_b64 s[10:11], s[4:5]
	s_cbranch_execz .LBB47_226
; %bb.217:
	s_andn2_b64 vcc, exec, s[8:9]
	s_cbranch_vccnz .LBB47_219
; %bb.218:
	buffer_load_dword v112, v99, s[0:3], 0 offen
	ds_read_b32 v113, v98
	s_waitcnt vmcnt(0) lgkmcnt(0)
	v_mul_f32_e32 v112, v112, v113
	s_cbranch_execz .LBB47_220
	s_branch .LBB47_221
.LBB47_219:
                                        ; implicit-def: $vgpr112
.LBB47_220:
	ds_read_b32 v112, v98
.LBB47_221:
	s_and_saveexec_b64 s[12:13], s[6:7]
	s_cbranch_execz .LBB47_225
; %bb.222:
	v_mov_b32_e32 v113, 0
	v_add_u32_e32 v113, 0x64, v113
	v_subrev_u32_e32 v114, 25, v0
	s_movk_i32 s14, 0x124
	s_mov_b64 s[6:7], 0
.LBB47_223:                             ; =>This Inner Loop Header: Depth=1
	buffer_load_dword v115, v113, s[0:3], 0 offen
	v_mov_b32_e32 v116, s14
	ds_read_b32 v116, v116
	v_add_u32_e32 v114, -1, v114
	s_add_i32 s14, s14, 4
	v_cmp_eq_u32_e32 vcc, 0, v114
	v_add_u32_e32 v113, 4, v113
	s_or_b64 s[6:7], vcc, s[6:7]
	s_waitcnt vmcnt(0) lgkmcnt(0)
	v_fmac_f32_e32 v112, v115, v116
	s_andn2_b64 exec, exec, s[6:7]
	s_cbranch_execnz .LBB47_223
; %bb.224:
	s_or_b64 exec, exec, s[6:7]
.LBB47_225:
	s_or_b64 exec, exec, s[12:13]
	v_mov_b32_e32 v113, 0
	ds_read_b32 v113, v113 offset:96
	s_waitcnt lgkmcnt(0)
	v_mul_f32_e32 v112, v112, v113
	buffer_store_dword v112, off, s[0:3], 0 offset:96
.LBB47_226:
	s_or_b64 exec, exec, s[10:11]
	buffer_load_dword v112, off, s[0:3], 0 offset:92
	v_cmp_lt_u32_e64 s[6:7], 23, v0
	s_waitcnt vmcnt(0)
	ds_write_b32 v98, v112
	s_waitcnt lgkmcnt(0)
	; wave barrier
	s_waitcnt lgkmcnt(0)
	s_and_saveexec_b64 s[10:11], s[6:7]
	s_cbranch_execz .LBB47_236
; %bb.227:
	s_andn2_b64 vcc, exec, s[8:9]
	s_cbranch_vccnz .LBB47_229
; %bb.228:
	buffer_load_dword v112, v99, s[0:3], 0 offen
	ds_read_b32 v113, v98
	s_waitcnt vmcnt(0) lgkmcnt(0)
	v_mul_f32_e32 v112, v112, v113
	s_cbranch_execz .LBB47_230
	s_branch .LBB47_231
.LBB47_229:
                                        ; implicit-def: $vgpr112
.LBB47_230:
	ds_read_b32 v112, v98
.LBB47_231:
	s_and_saveexec_b64 s[12:13], s[4:5]
	s_cbranch_execz .LBB47_235
; %bb.232:
	v_subrev_u32_e32 v113, 24, v0
	s_movk_i32 s14, 0x120
	s_mov_b64 s[4:5], 0
.LBB47_233:                             ; =>This Inner Loop Header: Depth=1
	buffer_load_dword v114, v111, s[0:3], 0 offen
	v_mov_b32_e32 v115, s14
	ds_read_b32 v115, v115
	v_add_u32_e32 v113, -1, v113
	s_add_i32 s14, s14, 4
	v_cmp_eq_u32_e32 vcc, 0, v113
	v_add_u32_e32 v111, 4, v111
	s_or_b64 s[4:5], vcc, s[4:5]
	s_waitcnt vmcnt(0) lgkmcnt(0)
	v_fmac_f32_e32 v112, v114, v115
	s_andn2_b64 exec, exec, s[4:5]
	s_cbranch_execnz .LBB47_233
; %bb.234:
	s_or_b64 exec, exec, s[4:5]
.LBB47_235:
	s_or_b64 exec, exec, s[12:13]
	v_mov_b32_e32 v111, 0
	ds_read_b32 v111, v111 offset:92
	s_waitcnt lgkmcnt(0)
	v_mul_f32_e32 v111, v112, v111
	buffer_store_dword v111, off, s[0:3], 0 offset:92
.LBB47_236:
	s_or_b64 exec, exec, s[10:11]
	buffer_load_dword v111, off, s[0:3], 0 offset:88
	v_cmp_lt_u32_e64 s[4:5], 22, v0
	s_waitcnt vmcnt(0)
	ds_write_b32 v98, v111
	s_waitcnt lgkmcnt(0)
	; wave barrier
	s_waitcnt lgkmcnt(0)
	s_and_saveexec_b64 s[10:11], s[4:5]
	s_cbranch_execz .LBB47_246
; %bb.237:
	s_andn2_b64 vcc, exec, s[8:9]
	s_cbranch_vccnz .LBB47_239
; %bb.238:
	buffer_load_dword v111, v99, s[0:3], 0 offen
	ds_read_b32 v112, v98
	s_waitcnt vmcnt(0) lgkmcnt(0)
	v_mul_f32_e32 v111, v111, v112
	s_cbranch_execz .LBB47_240
	s_branch .LBB47_241
.LBB47_239:
                                        ; implicit-def: $vgpr111
.LBB47_240:
	ds_read_b32 v111, v98
.LBB47_241:
	s_and_saveexec_b64 s[12:13], s[6:7]
	s_cbranch_execz .LBB47_245
; %bb.242:
	v_mov_b32_e32 v112, 0
	v_add_u32_e32 v112, 0x5c, v112
	v_subrev_u32_e32 v113, 23, v0
	s_movk_i32 s14, 0x11c
	s_mov_b64 s[6:7], 0
.LBB47_243:                             ; =>This Inner Loop Header: Depth=1
	buffer_load_dword v114, v112, s[0:3], 0 offen
	v_mov_b32_e32 v115, s14
	ds_read_b32 v115, v115
	v_add_u32_e32 v113, -1, v113
	s_add_i32 s14, s14, 4
	v_cmp_eq_u32_e32 vcc, 0, v113
	v_add_u32_e32 v112, 4, v112
	s_or_b64 s[6:7], vcc, s[6:7]
	s_waitcnt vmcnt(0) lgkmcnt(0)
	v_fmac_f32_e32 v111, v114, v115
	s_andn2_b64 exec, exec, s[6:7]
	s_cbranch_execnz .LBB47_243
; %bb.244:
	s_or_b64 exec, exec, s[6:7]
.LBB47_245:
	s_or_b64 exec, exec, s[12:13]
	v_mov_b32_e32 v112, 0
	ds_read_b32 v112, v112 offset:88
	s_waitcnt lgkmcnt(0)
	v_mul_f32_e32 v111, v111, v112
	buffer_store_dword v111, off, s[0:3], 0 offset:88
.LBB47_246:
	s_or_b64 exec, exec, s[10:11]
	buffer_load_dword v111, off, s[0:3], 0 offset:84
	v_cmp_lt_u32_e64 s[6:7], 21, v0
	s_waitcnt vmcnt(0)
	ds_write_b32 v98, v111
	s_waitcnt lgkmcnt(0)
	; wave barrier
	s_waitcnt lgkmcnt(0)
	s_and_saveexec_b64 s[10:11], s[6:7]
	s_cbranch_execz .LBB47_256
; %bb.247:
	s_andn2_b64 vcc, exec, s[8:9]
	s_cbranch_vccnz .LBB47_249
; %bb.248:
	buffer_load_dword v111, v99, s[0:3], 0 offen
	ds_read_b32 v112, v98
	s_waitcnt vmcnt(0) lgkmcnt(0)
	v_mul_f32_e32 v111, v111, v112
	s_cbranch_execz .LBB47_250
	s_branch .LBB47_251
.LBB47_249:
                                        ; implicit-def: $vgpr111
.LBB47_250:
	ds_read_b32 v111, v98
.LBB47_251:
	s_and_saveexec_b64 s[12:13], s[4:5]
	s_cbranch_execz .LBB47_255
; %bb.252:
	v_subrev_u32_e32 v112, 22, v0
	s_movk_i32 s14, 0x118
	s_mov_b64 s[4:5], 0
.LBB47_253:                             ; =>This Inner Loop Header: Depth=1
	buffer_load_dword v113, v110, s[0:3], 0 offen
	v_mov_b32_e32 v114, s14
	ds_read_b32 v114, v114
	v_add_u32_e32 v112, -1, v112
	s_add_i32 s14, s14, 4
	v_cmp_eq_u32_e32 vcc, 0, v112
	v_add_u32_e32 v110, 4, v110
	s_or_b64 s[4:5], vcc, s[4:5]
	s_waitcnt vmcnt(0) lgkmcnt(0)
	v_fmac_f32_e32 v111, v113, v114
	s_andn2_b64 exec, exec, s[4:5]
	s_cbranch_execnz .LBB47_253
; %bb.254:
	s_or_b64 exec, exec, s[4:5]
.LBB47_255:
	s_or_b64 exec, exec, s[12:13]
	v_mov_b32_e32 v110, 0
	ds_read_b32 v110, v110 offset:84
	s_waitcnt lgkmcnt(0)
	v_mul_f32_e32 v110, v111, v110
	buffer_store_dword v110, off, s[0:3], 0 offset:84
.LBB47_256:
	s_or_b64 exec, exec, s[10:11]
	buffer_load_dword v110, off, s[0:3], 0 offset:80
	v_cmp_lt_u32_e64 s[4:5], 20, v0
	s_waitcnt vmcnt(0)
	ds_write_b32 v98, v110
	s_waitcnt lgkmcnt(0)
	; wave barrier
	s_waitcnt lgkmcnt(0)
	s_and_saveexec_b64 s[10:11], s[4:5]
	s_cbranch_execz .LBB47_266
; %bb.257:
	s_andn2_b64 vcc, exec, s[8:9]
	s_cbranch_vccnz .LBB47_259
; %bb.258:
	buffer_load_dword v110, v99, s[0:3], 0 offen
	ds_read_b32 v111, v98
	s_waitcnt vmcnt(0) lgkmcnt(0)
	v_mul_f32_e32 v110, v110, v111
	s_cbranch_execz .LBB47_260
	s_branch .LBB47_261
.LBB47_259:
                                        ; implicit-def: $vgpr110
.LBB47_260:
	ds_read_b32 v110, v98
.LBB47_261:
	s_and_saveexec_b64 s[12:13], s[6:7]
	s_cbranch_execz .LBB47_265
; %bb.262:
	v_mov_b32_e32 v111, 0
	v_add_u32_e32 v111, 0x54, v111
	v_subrev_u32_e32 v112, 21, v0
	s_movk_i32 s14, 0x114
	s_mov_b64 s[6:7], 0
.LBB47_263:                             ; =>This Inner Loop Header: Depth=1
	buffer_load_dword v113, v111, s[0:3], 0 offen
	v_mov_b32_e32 v114, s14
	ds_read_b32 v114, v114
	v_add_u32_e32 v112, -1, v112
	s_add_i32 s14, s14, 4
	v_cmp_eq_u32_e32 vcc, 0, v112
	v_add_u32_e32 v111, 4, v111
	s_or_b64 s[6:7], vcc, s[6:7]
	s_waitcnt vmcnt(0) lgkmcnt(0)
	v_fmac_f32_e32 v110, v113, v114
	s_andn2_b64 exec, exec, s[6:7]
	s_cbranch_execnz .LBB47_263
; %bb.264:
	s_or_b64 exec, exec, s[6:7]
.LBB47_265:
	s_or_b64 exec, exec, s[12:13]
	v_mov_b32_e32 v111, 0
	ds_read_b32 v111, v111 offset:80
	s_waitcnt lgkmcnt(0)
	v_mul_f32_e32 v110, v110, v111
	buffer_store_dword v110, off, s[0:3], 0 offset:80
.LBB47_266:
	s_or_b64 exec, exec, s[10:11]
	buffer_load_dword v110, off, s[0:3], 0 offset:76
	v_cmp_lt_u32_e64 s[6:7], 19, v0
	s_waitcnt vmcnt(0)
	ds_write_b32 v98, v110
	s_waitcnt lgkmcnt(0)
	; wave barrier
	s_waitcnt lgkmcnt(0)
	s_and_saveexec_b64 s[10:11], s[6:7]
	s_cbranch_execz .LBB47_276
; %bb.267:
	s_andn2_b64 vcc, exec, s[8:9]
	s_cbranch_vccnz .LBB47_269
; %bb.268:
	buffer_load_dword v110, v99, s[0:3], 0 offen
	ds_read_b32 v111, v98
	s_waitcnt vmcnt(0) lgkmcnt(0)
	v_mul_f32_e32 v110, v110, v111
	s_cbranch_execz .LBB47_270
	s_branch .LBB47_271
.LBB47_269:
                                        ; implicit-def: $vgpr110
.LBB47_270:
	ds_read_b32 v110, v98
.LBB47_271:
	s_and_saveexec_b64 s[12:13], s[4:5]
	s_cbranch_execz .LBB47_275
; %bb.272:
	v_subrev_u32_e32 v111, 20, v0
	s_movk_i32 s14, 0x110
	s_mov_b64 s[4:5], 0
.LBB47_273:                             ; =>This Inner Loop Header: Depth=1
	buffer_load_dword v112, v109, s[0:3], 0 offen
	v_mov_b32_e32 v113, s14
	ds_read_b32 v113, v113
	v_add_u32_e32 v111, -1, v111
	s_add_i32 s14, s14, 4
	v_cmp_eq_u32_e32 vcc, 0, v111
	v_add_u32_e32 v109, 4, v109
	s_or_b64 s[4:5], vcc, s[4:5]
	s_waitcnt vmcnt(0) lgkmcnt(0)
	v_fmac_f32_e32 v110, v112, v113
	s_andn2_b64 exec, exec, s[4:5]
	s_cbranch_execnz .LBB47_273
; %bb.274:
	s_or_b64 exec, exec, s[4:5]
.LBB47_275:
	s_or_b64 exec, exec, s[12:13]
	v_mov_b32_e32 v109, 0
	ds_read_b32 v109, v109 offset:76
	s_waitcnt lgkmcnt(0)
	v_mul_f32_e32 v109, v110, v109
	buffer_store_dword v109, off, s[0:3], 0 offset:76
.LBB47_276:
	s_or_b64 exec, exec, s[10:11]
	buffer_load_dword v109, off, s[0:3], 0 offset:72
	v_cmp_lt_u32_e64 s[4:5], 18, v0
	s_waitcnt vmcnt(0)
	ds_write_b32 v98, v109
	s_waitcnt lgkmcnt(0)
	; wave barrier
	s_waitcnt lgkmcnt(0)
	s_and_saveexec_b64 s[10:11], s[4:5]
	s_cbranch_execz .LBB47_286
; %bb.277:
	s_andn2_b64 vcc, exec, s[8:9]
	s_cbranch_vccnz .LBB47_279
; %bb.278:
	buffer_load_dword v109, v99, s[0:3], 0 offen
	ds_read_b32 v110, v98
	s_waitcnt vmcnt(0) lgkmcnt(0)
	v_mul_f32_e32 v109, v109, v110
	s_cbranch_execz .LBB47_280
	s_branch .LBB47_281
.LBB47_279:
                                        ; implicit-def: $vgpr109
.LBB47_280:
	ds_read_b32 v109, v98
.LBB47_281:
	s_and_saveexec_b64 s[12:13], s[6:7]
	s_cbranch_execz .LBB47_285
; %bb.282:
	v_mov_b32_e32 v110, 0
	v_add_u32_e32 v110, 0x4c, v110
	v_subrev_u32_e32 v111, 19, v0
	s_movk_i32 s14, 0x10c
	s_mov_b64 s[6:7], 0
.LBB47_283:                             ; =>This Inner Loop Header: Depth=1
	buffer_load_dword v112, v110, s[0:3], 0 offen
	v_mov_b32_e32 v113, s14
	ds_read_b32 v113, v113
	v_add_u32_e32 v111, -1, v111
	s_add_i32 s14, s14, 4
	v_cmp_eq_u32_e32 vcc, 0, v111
	v_add_u32_e32 v110, 4, v110
	s_or_b64 s[6:7], vcc, s[6:7]
	s_waitcnt vmcnt(0) lgkmcnt(0)
	v_fmac_f32_e32 v109, v112, v113
	s_andn2_b64 exec, exec, s[6:7]
	s_cbranch_execnz .LBB47_283
; %bb.284:
	s_or_b64 exec, exec, s[6:7]
.LBB47_285:
	s_or_b64 exec, exec, s[12:13]
	v_mov_b32_e32 v110, 0
	ds_read_b32 v110, v110 offset:72
	s_waitcnt lgkmcnt(0)
	v_mul_f32_e32 v109, v109, v110
	buffer_store_dword v109, off, s[0:3], 0 offset:72
.LBB47_286:
	s_or_b64 exec, exec, s[10:11]
	buffer_load_dword v109, off, s[0:3], 0 offset:68
	v_cmp_lt_u32_e64 s[6:7], 17, v0
	s_waitcnt vmcnt(0)
	ds_write_b32 v98, v109
	s_waitcnt lgkmcnt(0)
	; wave barrier
	s_waitcnt lgkmcnt(0)
	s_and_saveexec_b64 s[10:11], s[6:7]
	s_cbranch_execz .LBB47_296
; %bb.287:
	s_andn2_b64 vcc, exec, s[8:9]
	s_cbranch_vccnz .LBB47_289
; %bb.288:
	buffer_load_dword v109, v99, s[0:3], 0 offen
	ds_read_b32 v110, v98
	s_waitcnt vmcnt(0) lgkmcnt(0)
	v_mul_f32_e32 v109, v109, v110
	s_cbranch_execz .LBB47_290
	s_branch .LBB47_291
.LBB47_289:
                                        ; implicit-def: $vgpr109
.LBB47_290:
	ds_read_b32 v109, v98
.LBB47_291:
	s_and_saveexec_b64 s[12:13], s[4:5]
	s_cbranch_execz .LBB47_295
; %bb.292:
	v_subrev_u32_e32 v110, 18, v0
	s_movk_i32 s14, 0x108
	s_mov_b64 s[4:5], 0
.LBB47_293:                             ; =>This Inner Loop Header: Depth=1
	buffer_load_dword v111, v108, s[0:3], 0 offen
	v_mov_b32_e32 v112, s14
	ds_read_b32 v112, v112
	v_add_u32_e32 v110, -1, v110
	s_add_i32 s14, s14, 4
	v_cmp_eq_u32_e32 vcc, 0, v110
	v_add_u32_e32 v108, 4, v108
	s_or_b64 s[4:5], vcc, s[4:5]
	s_waitcnt vmcnt(0) lgkmcnt(0)
	v_fmac_f32_e32 v109, v111, v112
	s_andn2_b64 exec, exec, s[4:5]
	s_cbranch_execnz .LBB47_293
; %bb.294:
	s_or_b64 exec, exec, s[4:5]
.LBB47_295:
	s_or_b64 exec, exec, s[12:13]
	v_mov_b32_e32 v108, 0
	ds_read_b32 v108, v108 offset:68
	s_waitcnt lgkmcnt(0)
	v_mul_f32_e32 v108, v109, v108
	buffer_store_dword v108, off, s[0:3], 0 offset:68
.LBB47_296:
	s_or_b64 exec, exec, s[10:11]
	buffer_load_dword v108, off, s[0:3], 0 offset:64
	v_cmp_lt_u32_e64 s[4:5], 16, v0
	s_waitcnt vmcnt(0)
	ds_write_b32 v98, v108
	s_waitcnt lgkmcnt(0)
	; wave barrier
	s_waitcnt lgkmcnt(0)
	s_and_saveexec_b64 s[10:11], s[4:5]
	s_cbranch_execz .LBB47_306
; %bb.297:
	s_andn2_b64 vcc, exec, s[8:9]
	s_cbranch_vccnz .LBB47_299
; %bb.298:
	buffer_load_dword v108, v99, s[0:3], 0 offen
	ds_read_b32 v109, v98
	s_waitcnt vmcnt(0) lgkmcnt(0)
	v_mul_f32_e32 v108, v108, v109
	s_cbranch_execz .LBB47_300
	s_branch .LBB47_301
.LBB47_299:
                                        ; implicit-def: $vgpr108
.LBB47_300:
	ds_read_b32 v108, v98
.LBB47_301:
	s_and_saveexec_b64 s[12:13], s[6:7]
	s_cbranch_execz .LBB47_305
; %bb.302:
	v_mov_b32_e32 v109, 0
	v_add_u32_e32 v109, 0x44, v109
	v_subrev_u32_e32 v110, 17, v0
	s_movk_i32 s14, 0x104
	s_mov_b64 s[6:7], 0
.LBB47_303:                             ; =>This Inner Loop Header: Depth=1
	buffer_load_dword v111, v109, s[0:3], 0 offen
	v_mov_b32_e32 v112, s14
	ds_read_b32 v112, v112
	v_add_u32_e32 v110, -1, v110
	s_add_i32 s14, s14, 4
	v_cmp_eq_u32_e32 vcc, 0, v110
	v_add_u32_e32 v109, 4, v109
	s_or_b64 s[6:7], vcc, s[6:7]
	s_waitcnt vmcnt(0) lgkmcnt(0)
	v_fmac_f32_e32 v108, v111, v112
	s_andn2_b64 exec, exec, s[6:7]
	s_cbranch_execnz .LBB47_303
; %bb.304:
	s_or_b64 exec, exec, s[6:7]
.LBB47_305:
	s_or_b64 exec, exec, s[12:13]
	v_mov_b32_e32 v109, 0
	ds_read_b32 v109, v109 offset:64
	s_waitcnt lgkmcnt(0)
	v_mul_f32_e32 v108, v108, v109
	buffer_store_dword v108, off, s[0:3], 0 offset:64
.LBB47_306:
	s_or_b64 exec, exec, s[10:11]
	buffer_load_dword v108, off, s[0:3], 0 offset:60
	v_cmp_lt_u32_e64 s[6:7], 15, v0
	s_waitcnt vmcnt(0)
	ds_write_b32 v98, v108
	s_waitcnt lgkmcnt(0)
	; wave barrier
	s_waitcnt lgkmcnt(0)
	s_and_saveexec_b64 s[10:11], s[6:7]
	s_cbranch_execz .LBB47_316
; %bb.307:
	s_andn2_b64 vcc, exec, s[8:9]
	s_cbranch_vccnz .LBB47_309
; %bb.308:
	buffer_load_dword v108, v99, s[0:3], 0 offen
	ds_read_b32 v109, v98
	s_waitcnt vmcnt(0) lgkmcnt(0)
	v_mul_f32_e32 v108, v108, v109
	s_cbranch_execz .LBB47_310
	s_branch .LBB47_311
.LBB47_309:
                                        ; implicit-def: $vgpr108
.LBB47_310:
	ds_read_b32 v108, v98
.LBB47_311:
	s_and_saveexec_b64 s[12:13], s[4:5]
	s_cbranch_execz .LBB47_315
; %bb.312:
	v_add_u32_e32 v109, -16, v0
	s_movk_i32 s14, 0x100
	s_mov_b64 s[4:5], 0
.LBB47_313:                             ; =>This Inner Loop Header: Depth=1
	buffer_load_dword v110, v107, s[0:3], 0 offen
	v_mov_b32_e32 v111, s14
	ds_read_b32 v111, v111
	v_add_u32_e32 v109, -1, v109
	s_add_i32 s14, s14, 4
	v_cmp_eq_u32_e32 vcc, 0, v109
	v_add_u32_e32 v107, 4, v107
	s_or_b64 s[4:5], vcc, s[4:5]
	s_waitcnt vmcnt(0) lgkmcnt(0)
	v_fmac_f32_e32 v108, v110, v111
	s_andn2_b64 exec, exec, s[4:5]
	s_cbranch_execnz .LBB47_313
; %bb.314:
	s_or_b64 exec, exec, s[4:5]
.LBB47_315:
	s_or_b64 exec, exec, s[12:13]
	v_mov_b32_e32 v107, 0
	ds_read_b32 v107, v107 offset:60
	s_waitcnt lgkmcnt(0)
	v_mul_f32_e32 v107, v108, v107
	buffer_store_dword v107, off, s[0:3], 0 offset:60
.LBB47_316:
	s_or_b64 exec, exec, s[10:11]
	buffer_load_dword v107, off, s[0:3], 0 offset:56
	v_cmp_lt_u32_e64 s[4:5], 14, v0
	s_waitcnt vmcnt(0)
	ds_write_b32 v98, v107
	s_waitcnt lgkmcnt(0)
	; wave barrier
	s_waitcnt lgkmcnt(0)
	s_and_saveexec_b64 s[10:11], s[4:5]
	s_cbranch_execz .LBB47_326
; %bb.317:
	s_andn2_b64 vcc, exec, s[8:9]
	s_cbranch_vccnz .LBB47_319
; %bb.318:
	buffer_load_dword v107, v99, s[0:3], 0 offen
	ds_read_b32 v108, v98
	s_waitcnt vmcnt(0) lgkmcnt(0)
	v_mul_f32_e32 v107, v107, v108
	s_cbranch_execz .LBB47_320
	s_branch .LBB47_321
.LBB47_319:
                                        ; implicit-def: $vgpr107
.LBB47_320:
	ds_read_b32 v107, v98
.LBB47_321:
	s_and_saveexec_b64 s[12:13], s[6:7]
	s_cbranch_execz .LBB47_325
; %bb.322:
	v_mov_b32_e32 v108, 0
	v_add_u32_e32 v108, 60, v108
	v_add_u32_e32 v109, -15, v0
	s_movk_i32 s14, 0xfc
	s_mov_b64 s[6:7], 0
.LBB47_323:                             ; =>This Inner Loop Header: Depth=1
	buffer_load_dword v110, v108, s[0:3], 0 offen
	v_mov_b32_e32 v111, s14
	ds_read_b32 v111, v111
	v_add_u32_e32 v109, -1, v109
	s_add_i32 s14, s14, 4
	v_cmp_eq_u32_e32 vcc, 0, v109
	v_add_u32_e32 v108, 4, v108
	s_or_b64 s[6:7], vcc, s[6:7]
	s_waitcnt vmcnt(0) lgkmcnt(0)
	v_fmac_f32_e32 v107, v110, v111
	s_andn2_b64 exec, exec, s[6:7]
	s_cbranch_execnz .LBB47_323
; %bb.324:
	s_or_b64 exec, exec, s[6:7]
.LBB47_325:
	s_or_b64 exec, exec, s[12:13]
	v_mov_b32_e32 v108, 0
	ds_read_b32 v108, v108 offset:56
	s_waitcnt lgkmcnt(0)
	v_mul_f32_e32 v107, v107, v108
	buffer_store_dword v107, off, s[0:3], 0 offset:56
.LBB47_326:
	s_or_b64 exec, exec, s[10:11]
	buffer_load_dword v107, off, s[0:3], 0 offset:52
	v_cmp_lt_u32_e64 s[6:7], 13, v0
	s_waitcnt vmcnt(0)
	ds_write_b32 v98, v107
	s_waitcnt lgkmcnt(0)
	; wave barrier
	s_waitcnt lgkmcnt(0)
	s_and_saveexec_b64 s[10:11], s[6:7]
	s_cbranch_execz .LBB47_336
; %bb.327:
	s_andn2_b64 vcc, exec, s[8:9]
	s_cbranch_vccnz .LBB47_329
; %bb.328:
	buffer_load_dword v107, v99, s[0:3], 0 offen
	ds_read_b32 v108, v98
	s_waitcnt vmcnt(0) lgkmcnt(0)
	v_mul_f32_e32 v107, v107, v108
	s_cbranch_execz .LBB47_330
	s_branch .LBB47_331
.LBB47_329:
                                        ; implicit-def: $vgpr107
.LBB47_330:
	ds_read_b32 v107, v98
.LBB47_331:
	s_and_saveexec_b64 s[12:13], s[4:5]
	s_cbranch_execz .LBB47_335
; %bb.332:
	v_add_u32_e32 v108, -14, v0
	s_movk_i32 s14, 0xf8
	s_mov_b64 s[4:5], 0
.LBB47_333:                             ; =>This Inner Loop Header: Depth=1
	buffer_load_dword v109, v106, s[0:3], 0 offen
	v_mov_b32_e32 v110, s14
	ds_read_b32 v110, v110
	v_add_u32_e32 v108, -1, v108
	s_add_i32 s14, s14, 4
	v_cmp_eq_u32_e32 vcc, 0, v108
	v_add_u32_e32 v106, 4, v106
	s_or_b64 s[4:5], vcc, s[4:5]
	s_waitcnt vmcnt(0) lgkmcnt(0)
	v_fmac_f32_e32 v107, v109, v110
	s_andn2_b64 exec, exec, s[4:5]
	s_cbranch_execnz .LBB47_333
; %bb.334:
	s_or_b64 exec, exec, s[4:5]
.LBB47_335:
	s_or_b64 exec, exec, s[12:13]
	v_mov_b32_e32 v106, 0
	ds_read_b32 v106, v106 offset:52
	s_waitcnt lgkmcnt(0)
	v_mul_f32_e32 v106, v107, v106
	buffer_store_dword v106, off, s[0:3], 0 offset:52
.LBB47_336:
	s_or_b64 exec, exec, s[10:11]
	buffer_load_dword v106, off, s[0:3], 0 offset:48
	v_cmp_lt_u32_e64 s[4:5], 12, v0
	s_waitcnt vmcnt(0)
	ds_write_b32 v98, v106
	s_waitcnt lgkmcnt(0)
	; wave barrier
	s_waitcnt lgkmcnt(0)
	s_and_saveexec_b64 s[10:11], s[4:5]
	s_cbranch_execz .LBB47_346
; %bb.337:
	s_andn2_b64 vcc, exec, s[8:9]
	s_cbranch_vccnz .LBB47_339
; %bb.338:
	buffer_load_dword v106, v99, s[0:3], 0 offen
	ds_read_b32 v107, v98
	s_waitcnt vmcnt(0) lgkmcnt(0)
	v_mul_f32_e32 v106, v106, v107
	s_cbranch_execz .LBB47_340
	s_branch .LBB47_341
.LBB47_339:
                                        ; implicit-def: $vgpr106
.LBB47_340:
	ds_read_b32 v106, v98
.LBB47_341:
	s_and_saveexec_b64 s[12:13], s[6:7]
	s_cbranch_execz .LBB47_345
; %bb.342:
	v_mov_b32_e32 v107, 0
	v_add_u32_e32 v107, 52, v107
	v_add_u32_e32 v108, -13, v0
	s_movk_i32 s14, 0xf4
	s_mov_b64 s[6:7], 0
.LBB47_343:                             ; =>This Inner Loop Header: Depth=1
	buffer_load_dword v109, v107, s[0:3], 0 offen
	v_mov_b32_e32 v110, s14
	ds_read_b32 v110, v110
	v_add_u32_e32 v108, -1, v108
	s_add_i32 s14, s14, 4
	v_cmp_eq_u32_e32 vcc, 0, v108
	v_add_u32_e32 v107, 4, v107
	s_or_b64 s[6:7], vcc, s[6:7]
	s_waitcnt vmcnt(0) lgkmcnt(0)
	v_fmac_f32_e32 v106, v109, v110
	s_andn2_b64 exec, exec, s[6:7]
	s_cbranch_execnz .LBB47_343
; %bb.344:
	s_or_b64 exec, exec, s[6:7]
.LBB47_345:
	s_or_b64 exec, exec, s[12:13]
	v_mov_b32_e32 v107, 0
	ds_read_b32 v107, v107 offset:48
	s_waitcnt lgkmcnt(0)
	v_mul_f32_e32 v106, v106, v107
	buffer_store_dword v106, off, s[0:3], 0 offset:48
.LBB47_346:
	s_or_b64 exec, exec, s[10:11]
	buffer_load_dword v106, off, s[0:3], 0 offset:44
	v_cmp_lt_u32_e64 s[6:7], 11, v0
	s_waitcnt vmcnt(0)
	ds_write_b32 v98, v106
	s_waitcnt lgkmcnt(0)
	; wave barrier
	s_waitcnt lgkmcnt(0)
	s_and_saveexec_b64 s[10:11], s[6:7]
	s_cbranch_execz .LBB47_356
; %bb.347:
	s_andn2_b64 vcc, exec, s[8:9]
	s_cbranch_vccnz .LBB47_349
; %bb.348:
	buffer_load_dword v106, v99, s[0:3], 0 offen
	ds_read_b32 v107, v98
	s_waitcnt vmcnt(0) lgkmcnt(0)
	v_mul_f32_e32 v106, v106, v107
	s_cbranch_execz .LBB47_350
	s_branch .LBB47_351
.LBB47_349:
                                        ; implicit-def: $vgpr106
.LBB47_350:
	ds_read_b32 v106, v98
.LBB47_351:
	s_and_saveexec_b64 s[12:13], s[4:5]
	s_cbranch_execz .LBB47_355
; %bb.352:
	v_add_u32_e32 v107, -12, v0
	s_movk_i32 s14, 0xf0
	s_mov_b64 s[4:5], 0
.LBB47_353:                             ; =>This Inner Loop Header: Depth=1
	buffer_load_dword v108, v105, s[0:3], 0 offen
	v_mov_b32_e32 v109, s14
	ds_read_b32 v109, v109
	v_add_u32_e32 v107, -1, v107
	s_add_i32 s14, s14, 4
	v_cmp_eq_u32_e32 vcc, 0, v107
	v_add_u32_e32 v105, 4, v105
	s_or_b64 s[4:5], vcc, s[4:5]
	s_waitcnt vmcnt(0) lgkmcnt(0)
	v_fmac_f32_e32 v106, v108, v109
	s_andn2_b64 exec, exec, s[4:5]
	s_cbranch_execnz .LBB47_353
; %bb.354:
	s_or_b64 exec, exec, s[4:5]
.LBB47_355:
	s_or_b64 exec, exec, s[12:13]
	v_mov_b32_e32 v105, 0
	ds_read_b32 v105, v105 offset:44
	s_waitcnt lgkmcnt(0)
	v_mul_f32_e32 v105, v106, v105
	buffer_store_dword v105, off, s[0:3], 0 offset:44
.LBB47_356:
	s_or_b64 exec, exec, s[10:11]
	buffer_load_dword v105, off, s[0:3], 0 offset:40
	v_cmp_lt_u32_e64 s[4:5], 10, v0
	s_waitcnt vmcnt(0)
	ds_write_b32 v98, v105
	s_waitcnt lgkmcnt(0)
	; wave barrier
	s_waitcnt lgkmcnt(0)
	s_and_saveexec_b64 s[10:11], s[4:5]
	s_cbranch_execz .LBB47_366
; %bb.357:
	s_andn2_b64 vcc, exec, s[8:9]
	s_cbranch_vccnz .LBB47_359
; %bb.358:
	buffer_load_dword v105, v99, s[0:3], 0 offen
	ds_read_b32 v106, v98
	s_waitcnt vmcnt(0) lgkmcnt(0)
	v_mul_f32_e32 v105, v105, v106
	s_cbranch_execz .LBB47_360
	s_branch .LBB47_361
.LBB47_359:
                                        ; implicit-def: $vgpr105
.LBB47_360:
	ds_read_b32 v105, v98
.LBB47_361:
	s_and_saveexec_b64 s[12:13], s[6:7]
	s_cbranch_execz .LBB47_365
; %bb.362:
	v_mov_b32_e32 v106, 0
	v_add_u32_e32 v106, 44, v106
	v_add_u32_e32 v107, -11, v0
	s_movk_i32 s14, 0xec
	s_mov_b64 s[6:7], 0
.LBB47_363:                             ; =>This Inner Loop Header: Depth=1
	buffer_load_dword v108, v106, s[0:3], 0 offen
	v_mov_b32_e32 v109, s14
	ds_read_b32 v109, v109
	v_add_u32_e32 v107, -1, v107
	s_add_i32 s14, s14, 4
	v_cmp_eq_u32_e32 vcc, 0, v107
	v_add_u32_e32 v106, 4, v106
	s_or_b64 s[6:7], vcc, s[6:7]
	s_waitcnt vmcnt(0) lgkmcnt(0)
	v_fmac_f32_e32 v105, v108, v109
	s_andn2_b64 exec, exec, s[6:7]
	s_cbranch_execnz .LBB47_363
; %bb.364:
	s_or_b64 exec, exec, s[6:7]
.LBB47_365:
	s_or_b64 exec, exec, s[12:13]
	v_mov_b32_e32 v106, 0
	ds_read_b32 v106, v106 offset:40
	s_waitcnt lgkmcnt(0)
	v_mul_f32_e32 v105, v105, v106
	buffer_store_dword v105, off, s[0:3], 0 offset:40
.LBB47_366:
	s_or_b64 exec, exec, s[10:11]
	buffer_load_dword v105, off, s[0:3], 0 offset:36
	v_cmp_lt_u32_e64 s[6:7], 9, v0
	s_waitcnt vmcnt(0)
	ds_write_b32 v98, v105
	s_waitcnt lgkmcnt(0)
	; wave barrier
	s_waitcnt lgkmcnt(0)
	s_and_saveexec_b64 s[10:11], s[6:7]
	s_cbranch_execz .LBB47_376
; %bb.367:
	s_andn2_b64 vcc, exec, s[8:9]
	s_cbranch_vccnz .LBB47_369
; %bb.368:
	buffer_load_dword v105, v99, s[0:3], 0 offen
	ds_read_b32 v106, v98
	s_waitcnt vmcnt(0) lgkmcnt(0)
	v_mul_f32_e32 v105, v105, v106
	s_cbranch_execz .LBB47_370
	s_branch .LBB47_371
.LBB47_369:
                                        ; implicit-def: $vgpr105
.LBB47_370:
	ds_read_b32 v105, v98
.LBB47_371:
	s_and_saveexec_b64 s[12:13], s[4:5]
	s_cbranch_execz .LBB47_375
; %bb.372:
	v_add_u32_e32 v106, -10, v0
	s_movk_i32 s14, 0xe8
	s_mov_b64 s[4:5], 0
.LBB47_373:                             ; =>This Inner Loop Header: Depth=1
	buffer_load_dword v107, v104, s[0:3], 0 offen
	v_mov_b32_e32 v108, s14
	ds_read_b32 v108, v108
	v_add_u32_e32 v106, -1, v106
	s_add_i32 s14, s14, 4
	v_cmp_eq_u32_e32 vcc, 0, v106
	v_add_u32_e32 v104, 4, v104
	s_or_b64 s[4:5], vcc, s[4:5]
	s_waitcnt vmcnt(0) lgkmcnt(0)
	v_fmac_f32_e32 v105, v107, v108
	s_andn2_b64 exec, exec, s[4:5]
	s_cbranch_execnz .LBB47_373
; %bb.374:
	s_or_b64 exec, exec, s[4:5]
.LBB47_375:
	s_or_b64 exec, exec, s[12:13]
	v_mov_b32_e32 v104, 0
	ds_read_b32 v104, v104 offset:36
	s_waitcnt lgkmcnt(0)
	v_mul_f32_e32 v104, v105, v104
	buffer_store_dword v104, off, s[0:3], 0 offset:36
.LBB47_376:
	s_or_b64 exec, exec, s[10:11]
	buffer_load_dword v104, off, s[0:3], 0 offset:32
	v_cmp_lt_u32_e64 s[4:5], 8, v0
	s_waitcnt vmcnt(0)
	ds_write_b32 v98, v104
	s_waitcnt lgkmcnt(0)
	; wave barrier
	s_waitcnt lgkmcnt(0)
	s_and_saveexec_b64 s[10:11], s[4:5]
	s_cbranch_execz .LBB47_386
; %bb.377:
	s_andn2_b64 vcc, exec, s[8:9]
	s_cbranch_vccnz .LBB47_379
; %bb.378:
	buffer_load_dword v104, v99, s[0:3], 0 offen
	ds_read_b32 v105, v98
	s_waitcnt vmcnt(0) lgkmcnt(0)
	v_mul_f32_e32 v104, v104, v105
	s_cbranch_execz .LBB47_380
	s_branch .LBB47_381
.LBB47_379:
                                        ; implicit-def: $vgpr104
.LBB47_380:
	ds_read_b32 v104, v98
.LBB47_381:
	s_and_saveexec_b64 s[12:13], s[6:7]
	s_cbranch_execz .LBB47_385
; %bb.382:
	v_mov_b32_e32 v105, 0
	v_add_u32_e32 v105, 36, v105
	v_add_u32_e32 v106, -9, v0
	s_movk_i32 s14, 0xe4
	s_mov_b64 s[6:7], 0
.LBB47_383:                             ; =>This Inner Loop Header: Depth=1
	buffer_load_dword v107, v105, s[0:3], 0 offen
	v_mov_b32_e32 v108, s14
	ds_read_b32 v108, v108
	v_add_u32_e32 v106, -1, v106
	s_add_i32 s14, s14, 4
	v_cmp_eq_u32_e32 vcc, 0, v106
	v_add_u32_e32 v105, 4, v105
	s_or_b64 s[6:7], vcc, s[6:7]
	s_waitcnt vmcnt(0) lgkmcnt(0)
	v_fmac_f32_e32 v104, v107, v108
	s_andn2_b64 exec, exec, s[6:7]
	s_cbranch_execnz .LBB47_383
; %bb.384:
	s_or_b64 exec, exec, s[6:7]
.LBB47_385:
	s_or_b64 exec, exec, s[12:13]
	v_mov_b32_e32 v105, 0
	ds_read_b32 v105, v105 offset:32
	s_waitcnt lgkmcnt(0)
	v_mul_f32_e32 v104, v104, v105
	buffer_store_dword v104, off, s[0:3], 0 offset:32
.LBB47_386:
	s_or_b64 exec, exec, s[10:11]
	buffer_load_dword v104, off, s[0:3], 0 offset:28
	v_cmp_lt_u32_e64 s[6:7], 7, v0
	s_waitcnt vmcnt(0)
	ds_write_b32 v98, v104
	s_waitcnt lgkmcnt(0)
	; wave barrier
	s_waitcnt lgkmcnt(0)
	s_and_saveexec_b64 s[10:11], s[6:7]
	s_cbranch_execz .LBB47_396
; %bb.387:
	s_andn2_b64 vcc, exec, s[8:9]
	s_cbranch_vccnz .LBB47_389
; %bb.388:
	buffer_load_dword v104, v99, s[0:3], 0 offen
	ds_read_b32 v105, v98
	s_waitcnt vmcnt(0) lgkmcnt(0)
	v_mul_f32_e32 v104, v104, v105
	s_cbranch_execz .LBB47_390
	s_branch .LBB47_391
.LBB47_389:
                                        ; implicit-def: $vgpr104
.LBB47_390:
	ds_read_b32 v104, v98
.LBB47_391:
	s_and_saveexec_b64 s[12:13], s[4:5]
	s_cbranch_execz .LBB47_395
; %bb.392:
	v_add_u32_e32 v105, -8, v0
	s_movk_i32 s14, 0xe0
	s_mov_b64 s[4:5], 0
.LBB47_393:                             ; =>This Inner Loop Header: Depth=1
	buffer_load_dword v106, v103, s[0:3], 0 offen
	v_mov_b32_e32 v107, s14
	ds_read_b32 v107, v107
	v_add_u32_e32 v105, -1, v105
	s_add_i32 s14, s14, 4
	v_cmp_eq_u32_e32 vcc, 0, v105
	v_add_u32_e32 v103, 4, v103
	s_or_b64 s[4:5], vcc, s[4:5]
	s_waitcnt vmcnt(0) lgkmcnt(0)
	v_fmac_f32_e32 v104, v106, v107
	s_andn2_b64 exec, exec, s[4:5]
	s_cbranch_execnz .LBB47_393
; %bb.394:
	s_or_b64 exec, exec, s[4:5]
.LBB47_395:
	s_or_b64 exec, exec, s[12:13]
	v_mov_b32_e32 v103, 0
	ds_read_b32 v103, v103 offset:28
	s_waitcnt lgkmcnt(0)
	v_mul_f32_e32 v103, v104, v103
	buffer_store_dword v103, off, s[0:3], 0 offset:28
.LBB47_396:
	s_or_b64 exec, exec, s[10:11]
	buffer_load_dword v103, off, s[0:3], 0 offset:24
	v_cmp_lt_u32_e64 s[4:5], 6, v0
	s_waitcnt vmcnt(0)
	ds_write_b32 v98, v103
	s_waitcnt lgkmcnt(0)
	; wave barrier
	s_waitcnt lgkmcnt(0)
	s_and_saveexec_b64 s[10:11], s[4:5]
	s_cbranch_execz .LBB47_406
; %bb.397:
	s_andn2_b64 vcc, exec, s[8:9]
	s_cbranch_vccnz .LBB47_399
; %bb.398:
	buffer_load_dword v103, v99, s[0:3], 0 offen
	ds_read_b32 v104, v98
	s_waitcnt vmcnt(0) lgkmcnt(0)
	v_mul_f32_e32 v103, v103, v104
	s_cbranch_execz .LBB47_400
	s_branch .LBB47_401
.LBB47_399:
                                        ; implicit-def: $vgpr103
.LBB47_400:
	ds_read_b32 v103, v98
.LBB47_401:
	s_and_saveexec_b64 s[12:13], s[6:7]
	s_cbranch_execz .LBB47_405
; %bb.402:
	v_mov_b32_e32 v104, 0
	v_add_u32_e32 v104, 28, v104
	v_add_u32_e32 v105, -7, v0
	s_movk_i32 s14, 0xdc
	s_mov_b64 s[6:7], 0
.LBB47_403:                             ; =>This Inner Loop Header: Depth=1
	buffer_load_dword v106, v104, s[0:3], 0 offen
	v_mov_b32_e32 v107, s14
	ds_read_b32 v107, v107
	v_add_u32_e32 v105, -1, v105
	s_add_i32 s14, s14, 4
	v_cmp_eq_u32_e32 vcc, 0, v105
	v_add_u32_e32 v104, 4, v104
	s_or_b64 s[6:7], vcc, s[6:7]
	s_waitcnt vmcnt(0) lgkmcnt(0)
	v_fmac_f32_e32 v103, v106, v107
	s_andn2_b64 exec, exec, s[6:7]
	s_cbranch_execnz .LBB47_403
; %bb.404:
	s_or_b64 exec, exec, s[6:7]
.LBB47_405:
	s_or_b64 exec, exec, s[12:13]
	v_mov_b32_e32 v104, 0
	ds_read_b32 v104, v104 offset:24
	s_waitcnt lgkmcnt(0)
	v_mul_f32_e32 v103, v103, v104
	buffer_store_dword v103, off, s[0:3], 0 offset:24
.LBB47_406:
	s_or_b64 exec, exec, s[10:11]
	buffer_load_dword v103, off, s[0:3], 0 offset:20
	v_cmp_lt_u32_e64 s[6:7], 5, v0
	s_waitcnt vmcnt(0)
	ds_write_b32 v98, v103
	s_waitcnt lgkmcnt(0)
	; wave barrier
	s_waitcnt lgkmcnt(0)
	s_and_saveexec_b64 s[10:11], s[6:7]
	s_cbranch_execz .LBB47_416
; %bb.407:
	s_andn2_b64 vcc, exec, s[8:9]
	s_cbranch_vccnz .LBB47_409
; %bb.408:
	buffer_load_dword v103, v99, s[0:3], 0 offen
	ds_read_b32 v104, v98
	s_waitcnt vmcnt(0) lgkmcnt(0)
	v_mul_f32_e32 v103, v103, v104
	s_cbranch_execz .LBB47_410
	s_branch .LBB47_411
.LBB47_409:
                                        ; implicit-def: $vgpr103
.LBB47_410:
	ds_read_b32 v103, v98
.LBB47_411:
	s_and_saveexec_b64 s[12:13], s[4:5]
	s_cbranch_execz .LBB47_415
; %bb.412:
	v_add_u32_e32 v104, -6, v0
	s_movk_i32 s14, 0xd8
	s_mov_b64 s[4:5], 0
.LBB47_413:                             ; =>This Inner Loop Header: Depth=1
	buffer_load_dword v105, v102, s[0:3], 0 offen
	v_mov_b32_e32 v106, s14
	ds_read_b32 v106, v106
	v_add_u32_e32 v104, -1, v104
	s_add_i32 s14, s14, 4
	v_cmp_eq_u32_e32 vcc, 0, v104
	v_add_u32_e32 v102, 4, v102
	s_or_b64 s[4:5], vcc, s[4:5]
	s_waitcnt vmcnt(0) lgkmcnt(0)
	v_fmac_f32_e32 v103, v105, v106
	s_andn2_b64 exec, exec, s[4:5]
	s_cbranch_execnz .LBB47_413
; %bb.414:
	s_or_b64 exec, exec, s[4:5]
.LBB47_415:
	s_or_b64 exec, exec, s[12:13]
	v_mov_b32_e32 v102, 0
	ds_read_b32 v102, v102 offset:20
	s_waitcnt lgkmcnt(0)
	v_mul_f32_e32 v102, v103, v102
	buffer_store_dword v102, off, s[0:3], 0 offset:20
.LBB47_416:
	s_or_b64 exec, exec, s[10:11]
	buffer_load_dword v102, off, s[0:3], 0 offset:16
	v_cmp_lt_u32_e64 s[4:5], 4, v0
	s_waitcnt vmcnt(0)
	ds_write_b32 v98, v102
	s_waitcnt lgkmcnt(0)
	; wave barrier
	s_waitcnt lgkmcnt(0)
	s_and_saveexec_b64 s[10:11], s[4:5]
	s_cbranch_execz .LBB47_426
; %bb.417:
	s_andn2_b64 vcc, exec, s[8:9]
	s_cbranch_vccnz .LBB47_419
; %bb.418:
	buffer_load_dword v102, v99, s[0:3], 0 offen
	ds_read_b32 v103, v98
	s_waitcnt vmcnt(0) lgkmcnt(0)
	v_mul_f32_e32 v102, v102, v103
	s_cbranch_execz .LBB47_420
	s_branch .LBB47_421
.LBB47_419:
                                        ; implicit-def: $vgpr102
.LBB47_420:
	ds_read_b32 v102, v98
.LBB47_421:
	s_and_saveexec_b64 s[12:13], s[6:7]
	s_cbranch_execz .LBB47_425
; %bb.422:
	v_mov_b32_e32 v103, 0
	v_add_u32_e32 v103, 20, v103
	v_add_u32_e32 v104, -5, v0
	s_movk_i32 s14, 0xd4
	s_mov_b64 s[6:7], 0
.LBB47_423:                             ; =>This Inner Loop Header: Depth=1
	buffer_load_dword v105, v103, s[0:3], 0 offen
	v_mov_b32_e32 v106, s14
	ds_read_b32 v106, v106
	v_add_u32_e32 v104, -1, v104
	s_add_i32 s14, s14, 4
	v_cmp_eq_u32_e32 vcc, 0, v104
	v_add_u32_e32 v103, 4, v103
	s_or_b64 s[6:7], vcc, s[6:7]
	s_waitcnt vmcnt(0) lgkmcnt(0)
	v_fmac_f32_e32 v102, v105, v106
	s_andn2_b64 exec, exec, s[6:7]
	s_cbranch_execnz .LBB47_423
; %bb.424:
	s_or_b64 exec, exec, s[6:7]
.LBB47_425:
	s_or_b64 exec, exec, s[12:13]
	v_mov_b32_e32 v103, 0
	ds_read_b32 v103, v103 offset:16
	s_waitcnt lgkmcnt(0)
	v_mul_f32_e32 v102, v102, v103
	buffer_store_dword v102, off, s[0:3], 0 offset:16
.LBB47_426:
	s_or_b64 exec, exec, s[10:11]
	buffer_load_dword v102, off, s[0:3], 0 offset:12
	v_cmp_lt_u32_e64 s[6:7], 3, v0
	s_waitcnt vmcnt(0)
	ds_write_b32 v98, v102
	s_waitcnt lgkmcnt(0)
	; wave barrier
	s_waitcnt lgkmcnt(0)
	s_and_saveexec_b64 s[10:11], s[6:7]
	s_cbranch_execz .LBB47_436
; %bb.427:
	s_andn2_b64 vcc, exec, s[8:9]
	s_cbranch_vccnz .LBB47_429
; %bb.428:
	buffer_load_dword v102, v99, s[0:3], 0 offen
	ds_read_b32 v103, v98
	s_waitcnt vmcnt(0) lgkmcnt(0)
	v_mul_f32_e32 v102, v102, v103
	s_cbranch_execz .LBB47_430
	s_branch .LBB47_431
.LBB47_429:
                                        ; implicit-def: $vgpr102
.LBB47_430:
	ds_read_b32 v102, v98
.LBB47_431:
	s_and_saveexec_b64 s[12:13], s[4:5]
	s_cbranch_execz .LBB47_435
; %bb.432:
	v_add_u32_e32 v103, -4, v0
	s_movk_i32 s14, 0xd0
	s_mov_b64 s[4:5], 0
.LBB47_433:                             ; =>This Inner Loop Header: Depth=1
	buffer_load_dword v104, v101, s[0:3], 0 offen
	v_mov_b32_e32 v105, s14
	ds_read_b32 v105, v105
	v_add_u32_e32 v103, -1, v103
	s_add_i32 s14, s14, 4
	v_cmp_eq_u32_e32 vcc, 0, v103
	v_add_u32_e32 v101, 4, v101
	s_or_b64 s[4:5], vcc, s[4:5]
	s_waitcnt vmcnt(0) lgkmcnt(0)
	v_fmac_f32_e32 v102, v104, v105
	s_andn2_b64 exec, exec, s[4:5]
	s_cbranch_execnz .LBB47_433
; %bb.434:
	s_or_b64 exec, exec, s[4:5]
.LBB47_435:
	s_or_b64 exec, exec, s[12:13]
	v_mov_b32_e32 v101, 0
	ds_read_b32 v101, v101 offset:12
	s_waitcnt lgkmcnt(0)
	v_mul_f32_e32 v101, v102, v101
	buffer_store_dword v101, off, s[0:3], 0 offset:12
.LBB47_436:
	s_or_b64 exec, exec, s[10:11]
	buffer_load_dword v101, off, s[0:3], 0 offset:8
	v_cmp_lt_u32_e64 s[4:5], 2, v0
	s_waitcnt vmcnt(0)
	ds_write_b32 v98, v101
	s_waitcnt lgkmcnt(0)
	; wave barrier
	s_waitcnt lgkmcnt(0)
	s_and_saveexec_b64 s[10:11], s[4:5]
	s_cbranch_execz .LBB47_446
; %bb.437:
	s_andn2_b64 vcc, exec, s[8:9]
	s_cbranch_vccnz .LBB47_439
; %bb.438:
	buffer_load_dword v101, v99, s[0:3], 0 offen
	ds_read_b32 v102, v98
	s_waitcnt vmcnt(0) lgkmcnt(0)
	v_mul_f32_e32 v101, v101, v102
	s_cbranch_execz .LBB47_440
	s_branch .LBB47_441
.LBB47_439:
                                        ; implicit-def: $vgpr101
.LBB47_440:
	ds_read_b32 v101, v98
.LBB47_441:
	s_and_saveexec_b64 s[12:13], s[6:7]
	s_cbranch_execz .LBB47_445
; %bb.442:
	v_mov_b32_e32 v102, 0
	v_or_b32_e32 v102, 12, v102
	v_add_u32_e32 v103, -3, v0
	s_movk_i32 s14, 0xcc
	s_mov_b64 s[6:7], 0
.LBB47_443:                             ; =>This Inner Loop Header: Depth=1
	buffer_load_dword v104, v102, s[0:3], 0 offen
	v_mov_b32_e32 v105, s14
	ds_read_b32 v105, v105
	v_add_u32_e32 v103, -1, v103
	s_add_i32 s14, s14, 4
	v_cmp_eq_u32_e32 vcc, 0, v103
	v_add_u32_e32 v102, 4, v102
	s_or_b64 s[6:7], vcc, s[6:7]
	s_waitcnt vmcnt(0) lgkmcnt(0)
	v_fmac_f32_e32 v101, v104, v105
	s_andn2_b64 exec, exec, s[6:7]
	s_cbranch_execnz .LBB47_443
; %bb.444:
	s_or_b64 exec, exec, s[6:7]
.LBB47_445:
	s_or_b64 exec, exec, s[12:13]
	v_mov_b32_e32 v102, 0
	ds_read_b32 v102, v102 offset:8
	s_waitcnt lgkmcnt(0)
	v_mul_f32_e32 v101, v101, v102
	buffer_store_dword v101, off, s[0:3], 0 offset:8
.LBB47_446:
	s_or_b64 exec, exec, s[10:11]
	buffer_load_dword v101, off, s[0:3], 0 offset:4
	v_cmp_lt_u32_e64 s[6:7], 1, v0
	s_waitcnt vmcnt(0)
	ds_write_b32 v98, v101
	s_waitcnt lgkmcnt(0)
	; wave barrier
	s_waitcnt lgkmcnt(0)
	s_and_saveexec_b64 s[10:11], s[6:7]
	s_cbranch_execz .LBB47_456
; %bb.447:
	s_andn2_b64 vcc, exec, s[8:9]
	s_cbranch_vccnz .LBB47_449
; %bb.448:
	buffer_load_dword v101, v99, s[0:3], 0 offen
	ds_read_b32 v102, v98
	s_waitcnt vmcnt(0) lgkmcnt(0)
	v_mul_f32_e32 v101, v101, v102
	s_cbranch_execz .LBB47_450
	s_branch .LBB47_451
.LBB47_449:
                                        ; implicit-def: $vgpr101
.LBB47_450:
	ds_read_b32 v101, v98
.LBB47_451:
	s_and_saveexec_b64 s[12:13], s[4:5]
	s_cbranch_execz .LBB47_455
; %bb.452:
	v_add_u32_e32 v102, -2, v0
	s_movk_i32 s14, 0xc8
	s_mov_b64 s[4:5], 0
.LBB47_453:                             ; =>This Inner Loop Header: Depth=1
	buffer_load_dword v103, v100, s[0:3], 0 offen
	v_mov_b32_e32 v104, s14
	ds_read_b32 v104, v104
	v_add_u32_e32 v102, -1, v102
	s_add_i32 s14, s14, 4
	v_cmp_eq_u32_e32 vcc, 0, v102
	v_add_u32_e32 v100, 4, v100
	s_or_b64 s[4:5], vcc, s[4:5]
	s_waitcnt vmcnt(0) lgkmcnt(0)
	v_fmac_f32_e32 v101, v103, v104
	s_andn2_b64 exec, exec, s[4:5]
	s_cbranch_execnz .LBB47_453
; %bb.454:
	s_or_b64 exec, exec, s[4:5]
.LBB47_455:
	s_or_b64 exec, exec, s[12:13]
	v_mov_b32_e32 v100, 0
	ds_read_b32 v100, v100 offset:4
	s_waitcnt lgkmcnt(0)
	v_mul_f32_e32 v100, v101, v100
	buffer_store_dword v100, off, s[0:3], 0 offset:4
.LBB47_456:
	s_or_b64 exec, exec, s[10:11]
	buffer_load_dword v100, off, s[0:3], 0
	v_cmp_ne_u32_e32 vcc, 0, v0
	s_waitcnt vmcnt(0)
	ds_write_b32 v98, v100
	s_waitcnt lgkmcnt(0)
	; wave barrier
	s_waitcnt lgkmcnt(0)
	s_and_saveexec_b64 s[4:5], vcc
	s_cbranch_execz .LBB47_466
; %bb.457:
	s_andn2_b64 vcc, exec, s[8:9]
	s_cbranch_vccnz .LBB47_459
; %bb.458:
	buffer_load_dword v100, v99, s[0:3], 0 offen
	ds_read_b32 v101, v98
	s_waitcnt vmcnt(0) lgkmcnt(0)
	v_mul_f32_e32 v100, v100, v101
	s_cbranch_execz .LBB47_460
	s_branch .LBB47_461
.LBB47_459:
                                        ; implicit-def: $vgpr100
.LBB47_460:
	ds_read_b32 v100, v98
.LBB47_461:
	s_and_saveexec_b64 s[10:11], s[6:7]
	s_cbranch_execz .LBB47_465
; %bb.462:
	v_mov_b32_e32 v101, 0
	v_or_b32_e32 v101, 4, v101
	v_add_u32_e32 v102, -1, v0
	s_movk_i32 s12, 0xc4
	s_mov_b64 s[6:7], 0
.LBB47_463:                             ; =>This Inner Loop Header: Depth=1
	buffer_load_dword v103, v101, s[0:3], 0 offen
	v_mov_b32_e32 v104, s12
	ds_read_b32 v104, v104
	v_add_u32_e32 v102, -1, v102
	s_add_i32 s12, s12, 4
	v_cmp_eq_u32_e32 vcc, 0, v102
	v_add_u32_e32 v101, 4, v101
	s_or_b64 s[6:7], vcc, s[6:7]
	s_waitcnt vmcnt(0) lgkmcnt(0)
	v_fmac_f32_e32 v100, v103, v104
	s_andn2_b64 exec, exec, s[6:7]
	s_cbranch_execnz .LBB47_463
; %bb.464:
	s_or_b64 exec, exec, s[6:7]
.LBB47_465:
	s_or_b64 exec, exec, s[10:11]
	v_mov_b32_e32 v101, 0
	ds_read_b32 v101, v101
	s_waitcnt lgkmcnt(0)
	v_mul_f32_e32 v100, v100, v101
	buffer_store_dword v100, off, s[0:3], 0
.LBB47_466:
	s_or_b64 exec, exec, s[4:5]
	s_mov_b64 s[4:5], 0
.LBB47_467:
	s_and_b64 vcc, exec, s[4:5]
	s_cbranch_vccz .LBB47_931
; %bb.468:
	buffer_load_dword v100, off, s[0:3], 0 offset:4
	v_cmp_eq_u32_e64 s[6:7], 0, v0
	s_waitcnt vmcnt(0)
	ds_write_b32 v98, v100
	s_waitcnt lgkmcnt(0)
	; wave barrier
	s_waitcnt lgkmcnt(0)
	s_and_saveexec_b64 s[4:5], s[6:7]
	s_cbranch_execz .LBB47_474
; %bb.469:
	s_and_b64 vcc, exec, s[8:9]
	s_cbranch_vccz .LBB47_471
; %bb.470:
	buffer_load_dword v100, v99, s[0:3], 0 offen
	ds_read_b32 v101, v98
	s_waitcnt vmcnt(0) lgkmcnt(0)
	v_mul_f32_e32 v100, v100, v101
	s_cbranch_execz .LBB47_472
	s_branch .LBB47_473
.LBB47_471:
                                        ; implicit-def: $vgpr100
.LBB47_472:
	ds_read_b32 v100, v98
.LBB47_473:
	v_mov_b32_e32 v101, 0
	ds_read_b32 v101, v101 offset:4
	s_waitcnt lgkmcnt(0)
	v_mul_f32_e32 v100, v100, v101
	buffer_store_dword v100, off, s[0:3], 0 offset:4
.LBB47_474:
	s_or_b64 exec, exec, s[4:5]
	buffer_load_dword v100, off, s[0:3], 0 offset:8
	v_cndmask_b32_e64 v101, 0, 1, s[8:9]
	v_cmp_gt_u32_e32 vcc, 2, v0
	v_cmp_ne_u32_e64 s[4:5], 1, v101
	s_waitcnt vmcnt(0)
	ds_write_b32 v98, v100
	s_waitcnt lgkmcnt(0)
	; wave barrier
	s_waitcnt lgkmcnt(0)
	s_and_saveexec_b64 s[8:9], vcc
	s_cbranch_execz .LBB47_482
; %bb.475:
	s_and_b64 vcc, exec, s[4:5]
	s_cbranch_vccnz .LBB47_477
; %bb.476:
	buffer_load_dword v100, v99, s[0:3], 0 offen
	ds_read_b32 v101, v98
	s_waitcnt vmcnt(0) lgkmcnt(0)
	v_mul_f32_e32 v100, v100, v101
	s_cbranch_execz .LBB47_478
	s_branch .LBB47_479
.LBB47_477:
                                        ; implicit-def: $vgpr100
.LBB47_478:
	ds_read_b32 v100, v98
.LBB47_479:
	s_and_saveexec_b64 s[10:11], s[6:7]
	s_cbranch_execz .LBB47_481
; %bb.480:
	buffer_load_dword v101, v99, s[0:3], 0 offen offset:4
	ds_read_b32 v102, v98 offset:4
	s_waitcnt vmcnt(0) lgkmcnt(0)
	v_fmac_f32_e32 v100, v101, v102
.LBB47_481:
	s_or_b64 exec, exec, s[10:11]
	v_mov_b32_e32 v101, 0
	ds_read_b32 v101, v101 offset:8
	s_waitcnt lgkmcnt(0)
	v_mul_f32_e32 v100, v100, v101
	buffer_store_dword v100, off, s[0:3], 0 offset:8
.LBB47_482:
	s_or_b64 exec, exec, s[8:9]
	buffer_load_dword v100, off, s[0:3], 0 offset:12
	v_cmp_gt_u32_e32 vcc, 3, v0
	s_waitcnt vmcnt(0)
	ds_write_b32 v98, v100
	s_waitcnt lgkmcnt(0)
	; wave barrier
	s_waitcnt lgkmcnt(0)
	s_and_saveexec_b64 s[8:9], vcc
	s_cbranch_execz .LBB47_490
; %bb.483:
	s_and_b64 vcc, exec, s[4:5]
	s_cbranch_vccnz .LBB47_485
; %bb.484:
	buffer_load_dword v100, v99, s[0:3], 0 offen
	ds_read_b32 v101, v98
	s_waitcnt vmcnt(0) lgkmcnt(0)
	v_mul_f32_e32 v100, v100, v101
	s_cbranch_execz .LBB47_486
	s_branch .LBB47_487
.LBB47_485:
                                        ; implicit-def: $vgpr100
.LBB47_486:
	ds_read_b32 v100, v98
.LBB47_487:
	v_cmp_ne_u32_e32 vcc, 2, v0
	s_and_saveexec_b64 s[10:11], vcc
	s_cbranch_execz .LBB47_489
; %bb.488:
	buffer_load_dword v101, v99, s[0:3], 0 offen offset:4
	buffer_load_dword v102, off, s[0:3], 0 offset:8
	v_mov_b32_e32 v103, 0
	ds_read_b32 v104, v98 offset:4
	ds_read_b32 v103, v103 offset:200
	s_waitcnt vmcnt(1) lgkmcnt(1)
	v_fmac_f32_e32 v100, v101, v104
	s_waitcnt vmcnt(0) lgkmcnt(0)
	v_fma_f32 v101, v102, v103, v100
	v_cndmask_b32_e64 v100, v100, v101, s[6:7]
.LBB47_489:
	s_or_b64 exec, exec, s[10:11]
	v_mov_b32_e32 v101, 0
	ds_read_b32 v101, v101 offset:12
	s_waitcnt lgkmcnt(0)
	v_mul_f32_e32 v100, v100, v101
	buffer_store_dword v100, off, s[0:3], 0 offset:12
.LBB47_490:
	s_or_b64 exec, exec, s[8:9]
	buffer_load_dword v100, off, s[0:3], 0 offset:16
	v_cmp_gt_u32_e32 vcc, 4, v0
	s_waitcnt vmcnt(0)
	ds_write_b32 v98, v100
	s_waitcnt lgkmcnt(0)
	; wave barrier
	s_waitcnt lgkmcnt(0)
	s_and_saveexec_b64 s[6:7], vcc
	s_cbranch_execz .LBB47_500
; %bb.491:
	s_and_b64 vcc, exec, s[4:5]
	s_cbranch_vccnz .LBB47_493
; %bb.492:
	buffer_load_dword v100, v99, s[0:3], 0 offen
	ds_read_b32 v101, v98
	s_waitcnt vmcnt(0) lgkmcnt(0)
	v_mul_f32_e32 v100, v100, v101
	s_cbranch_execz .LBB47_494
	s_branch .LBB47_495
.LBB47_493:
                                        ; implicit-def: $vgpr100
.LBB47_494:
	ds_read_b32 v100, v98
.LBB47_495:
	v_cmp_ne_u32_e32 vcc, 3, v0
	s_and_saveexec_b64 s[8:9], vcc
	s_cbranch_execz .LBB47_499
; %bb.496:
	v_mov_b32_e32 v102, 0
	v_add_u32_e32 v101, 0xc4, v1
	v_add3_u32 v102, v1, v102, 4
	s_mov_b64 s[10:11], 0
	v_mov_b32_e32 v103, v0
.LBB47_497:                             ; =>This Inner Loop Header: Depth=1
	buffer_load_dword v104, v102, s[0:3], 0 offen
	ds_read_b32 v105, v101
	v_add_u32_e32 v103, 1, v103
	v_cmp_lt_u32_e32 vcc, 2, v103
	v_add_u32_e32 v101, 4, v101
	v_add_u32_e32 v102, 4, v102
	s_or_b64 s[10:11], vcc, s[10:11]
	s_waitcnt vmcnt(0) lgkmcnt(0)
	v_fmac_f32_e32 v100, v104, v105
	s_andn2_b64 exec, exec, s[10:11]
	s_cbranch_execnz .LBB47_497
; %bb.498:
	s_or_b64 exec, exec, s[10:11]
.LBB47_499:
	s_or_b64 exec, exec, s[8:9]
	v_mov_b32_e32 v101, 0
	ds_read_b32 v101, v101 offset:16
	s_waitcnt lgkmcnt(0)
	v_mul_f32_e32 v100, v100, v101
	buffer_store_dword v100, off, s[0:3], 0 offset:16
.LBB47_500:
	s_or_b64 exec, exec, s[6:7]
	buffer_load_dword v100, off, s[0:3], 0 offset:20
	v_cmp_gt_u32_e32 vcc, 5, v0
	s_waitcnt vmcnt(0)
	ds_write_b32 v98, v100
	s_waitcnt lgkmcnt(0)
	; wave barrier
	s_waitcnt lgkmcnt(0)
	s_and_saveexec_b64 s[6:7], vcc
	s_cbranch_execz .LBB47_510
; %bb.501:
	s_and_b64 vcc, exec, s[4:5]
	s_cbranch_vccnz .LBB47_503
; %bb.502:
	buffer_load_dword v100, v99, s[0:3], 0 offen
	ds_read_b32 v101, v98
	s_waitcnt vmcnt(0) lgkmcnt(0)
	v_mul_f32_e32 v100, v100, v101
	s_cbranch_execz .LBB47_504
	s_branch .LBB47_505
.LBB47_503:
                                        ; implicit-def: $vgpr100
.LBB47_504:
	ds_read_b32 v100, v98
.LBB47_505:
	v_cmp_ne_u32_e32 vcc, 4, v0
	s_and_saveexec_b64 s[8:9], vcc
	s_cbranch_execz .LBB47_509
; %bb.506:
	v_mov_b32_e32 v102, 0
	v_add_u32_e32 v101, 0xc4, v1
	v_add3_u32 v102, v1, v102, 4
	s_mov_b64 s[10:11], 0
	v_mov_b32_e32 v103, v0
.LBB47_507:                             ; =>This Inner Loop Header: Depth=1
	buffer_load_dword v104, v102, s[0:3], 0 offen
	ds_read_b32 v105, v101
	v_add_u32_e32 v103, 1, v103
	v_cmp_lt_u32_e32 vcc, 3, v103
	v_add_u32_e32 v101, 4, v101
	v_add_u32_e32 v102, 4, v102
	s_or_b64 s[10:11], vcc, s[10:11]
	s_waitcnt vmcnt(0) lgkmcnt(0)
	v_fmac_f32_e32 v100, v104, v105
	s_andn2_b64 exec, exec, s[10:11]
	s_cbranch_execnz .LBB47_507
; %bb.508:
	s_or_b64 exec, exec, s[10:11]
.LBB47_509:
	s_or_b64 exec, exec, s[8:9]
	v_mov_b32_e32 v101, 0
	ds_read_b32 v101, v101 offset:20
	s_waitcnt lgkmcnt(0)
	v_mul_f32_e32 v100, v100, v101
	buffer_store_dword v100, off, s[0:3], 0 offset:20
.LBB47_510:
	;; [unrolled: 56-line block ×42, first 2 shown]
	s_or_b64 exec, exec, s[6:7]
	buffer_load_dword v100, off, s[0:3], 0 offset:184
	v_cmp_gt_u32_e64 s[6:7], 46, v0
	s_waitcnt vmcnt(0)
	ds_write_b32 v98, v100
	s_waitcnt lgkmcnt(0)
	; wave barrier
	s_waitcnt lgkmcnt(0)
	s_and_saveexec_b64 s[8:9], s[6:7]
	s_cbranch_execz .LBB47_920
; %bb.911:
	s_and_b64 vcc, exec, s[4:5]
	s_cbranch_vccnz .LBB47_913
; %bb.912:
	buffer_load_dword v100, v99, s[0:3], 0 offen
	ds_read_b32 v101, v98
	s_waitcnt vmcnt(0) lgkmcnt(0)
	v_mul_f32_e32 v100, v100, v101
	s_cbranch_execz .LBB47_914
	s_branch .LBB47_915
.LBB47_913:
                                        ; implicit-def: $vgpr100
.LBB47_914:
	ds_read_b32 v100, v98
.LBB47_915:
	v_cmp_ne_u32_e32 vcc, 45, v0
	s_and_saveexec_b64 s[10:11], vcc
	s_cbranch_execz .LBB47_919
; %bb.916:
	v_mov_b32_e32 v102, 0
	v_add_u32_e32 v101, 0xc4, v1
	v_add3_u32 v102, v1, v102, 4
	s_mov_b64 s[12:13], 0
	v_mov_b32_e32 v103, v0
.LBB47_917:                             ; =>This Inner Loop Header: Depth=1
	buffer_load_dword v104, v102, s[0:3], 0 offen
	ds_read_b32 v105, v101
	v_add_u32_e32 v103, 1, v103
	v_cmp_lt_u32_e32 vcc, 44, v103
	v_add_u32_e32 v101, 4, v101
	v_add_u32_e32 v102, 4, v102
	s_or_b64 s[12:13], vcc, s[12:13]
	s_waitcnt vmcnt(0) lgkmcnt(0)
	v_fmac_f32_e32 v100, v104, v105
	s_andn2_b64 exec, exec, s[12:13]
	s_cbranch_execnz .LBB47_917
; %bb.918:
	s_or_b64 exec, exec, s[12:13]
.LBB47_919:
	s_or_b64 exec, exec, s[10:11]
	v_mov_b32_e32 v101, 0
	ds_read_b32 v101, v101 offset:184
	s_waitcnt lgkmcnt(0)
	v_mul_f32_e32 v100, v100, v101
	buffer_store_dword v100, off, s[0:3], 0 offset:184
.LBB47_920:
	s_or_b64 exec, exec, s[8:9]
	buffer_load_dword v100, off, s[0:3], 0 offset:188
	v_cmp_ne_u32_e32 vcc, 47, v0
	s_waitcnt vmcnt(0)
	ds_write_b32 v98, v100
	s_waitcnt lgkmcnt(0)
	; wave barrier
	s_waitcnt lgkmcnt(0)
	s_and_saveexec_b64 s[8:9], vcc
	s_cbranch_execz .LBB47_930
; %bb.921:
	s_and_b64 vcc, exec, s[4:5]
	s_cbranch_vccnz .LBB47_923
; %bb.922:
	buffer_load_dword v99, v99, s[0:3], 0 offen
	ds_read_b32 v100, v98
	s_waitcnt vmcnt(0) lgkmcnt(0)
	v_mul_f32_e32 v99, v99, v100
	s_cbranch_execz .LBB47_924
	s_branch .LBB47_925
.LBB47_923:
                                        ; implicit-def: $vgpr99
.LBB47_924:
	ds_read_b32 v99, v98
.LBB47_925:
	s_and_saveexec_b64 s[4:5], s[6:7]
	s_cbranch_execz .LBB47_929
; %bb.926:
	v_mov_b32_e32 v100, 0
	v_add_u32_e32 v98, 0xc4, v1
	v_add3_u32 v1, v1, v100, 4
	s_mov_b64 s[6:7], 0
.LBB47_927:                             ; =>This Inner Loop Header: Depth=1
	buffer_load_dword v100, v1, s[0:3], 0 offen
	ds_read_b32 v101, v98
	v_add_u32_e32 v0, 1, v0
	v_cmp_lt_u32_e32 vcc, 45, v0
	v_add_u32_e32 v98, 4, v98
	v_add_u32_e32 v1, 4, v1
	s_or_b64 s[6:7], vcc, s[6:7]
	s_waitcnt vmcnt(0) lgkmcnt(0)
	v_fmac_f32_e32 v99, v100, v101
	s_andn2_b64 exec, exec, s[6:7]
	s_cbranch_execnz .LBB47_927
; %bb.928:
	s_or_b64 exec, exec, s[6:7]
.LBB47_929:
	s_or_b64 exec, exec, s[4:5]
	v_mov_b32_e32 v0, 0
	ds_read_b32 v0, v0 offset:188
	s_waitcnt lgkmcnt(0)
	v_mul_f32_e32 v0, v99, v0
	buffer_store_dword v0, off, s[0:3], 0 offset:188
.LBB47_930:
	s_or_b64 exec, exec, s[8:9]
.LBB47_931:
	buffer_load_dword v0, off, s[0:3], 0
	buffer_load_dword v1, off, s[0:3], 0 offset:4
	buffer_load_dword v98, off, s[0:3], 0 offset:8
	;; [unrolled: 1-line block ×23, first 2 shown]
	s_waitcnt vmcnt(23)
	global_store_dword v[94:95], v0, off
	s_waitcnt vmcnt(23)
	global_store_dword v[96:97], v1, off
	buffer_load_dword v0, off, s[0:3], 0 offset:96
	s_nop 0
	buffer_load_dword v1, off, s[0:3], 0 offset:100
	buffer_load_dword v94, off, s[0:3], 0 offset:104
	;; [unrolled: 1-line block ×7, first 2 shown]
	s_waitcnt vmcnt(31)
	global_store_dword v[2:3], v98, off
	s_waitcnt vmcnt(31)
	global_store_dword v[6:7], v99, off
	buffer_load_dword v2, off, s[0:3], 0 offset:128
	buffer_load_dword v3, off, s[0:3], 0 offset:132
	s_nop 0
	buffer_load_dword v6, off, s[0:3], 0 offset:136
	buffer_load_dword v7, off, s[0:3], 0 offset:140
	buffer_load_dword v98, off, s[0:3], 0 offset:144
	buffer_load_dword v99, off, s[0:3], 0 offset:148
	buffer_load_dword v122, off, s[0:3], 0 offset:152
	buffer_load_dword v123, off, s[0:3], 0 offset:156
	s_waitcnt vmcnt(39)
	global_store_dword v[4:5], v100, off
	s_waitcnt vmcnt(39)
	global_store_dword v[8:9], v101, off
	;; [unrolled: 2-line block ×3, first 2 shown]
	buffer_load_dword v4, off, s[0:3], 0 offset:160
	buffer_load_dword v5, off, s[0:3], 0 offset:164
	;; [unrolled: 1-line block ×4, first 2 shown]
	s_nop 0
	buffer_load_dword v12, off, s[0:3], 0 offset:176
	buffer_load_dword v13, off, s[0:3], 0 offset:180
	buffer_load_dword v100, off, s[0:3], 0 offset:184
	buffer_load_dword v101, off, s[0:3], 0 offset:188
	s_waitcnt vmcnt(47)
	global_store_dword v[10:11], v103, off
	s_waitcnt vmcnt(47)
	global_store_dword v[14:15], v104, off
	;; [unrolled: 2-line block ×41, first 2 shown]
.LBB47_932:
	s_endpgm
	.section	.rodata,"a",@progbits
	.p2align	6, 0x0
	.amdhsa_kernel _ZN9rocsolver6v33100L18trti2_kernel_smallILi48EfPfEEv13rocblas_fill_17rocblas_diagonal_T1_iil
		.amdhsa_group_segment_fixed_size 384
		.amdhsa_private_segment_fixed_size 208
		.amdhsa_kernarg_size 32
		.amdhsa_user_sgpr_count 8
		.amdhsa_user_sgpr_private_segment_buffer 1
		.amdhsa_user_sgpr_dispatch_ptr 0
		.amdhsa_user_sgpr_queue_ptr 0
		.amdhsa_user_sgpr_kernarg_segment_ptr 1
		.amdhsa_user_sgpr_dispatch_id 0
		.amdhsa_user_sgpr_flat_scratch_init 1
		.amdhsa_user_sgpr_kernarg_preload_length 0
		.amdhsa_user_sgpr_kernarg_preload_offset 0
		.amdhsa_user_sgpr_private_segment_size 0
		.amdhsa_uses_dynamic_stack 0
		.amdhsa_system_sgpr_private_segment_wavefront_offset 1
		.amdhsa_system_sgpr_workgroup_id_x 1
		.amdhsa_system_sgpr_workgroup_id_y 0
		.amdhsa_system_sgpr_workgroup_id_z 0
		.amdhsa_system_sgpr_workgroup_info 0
		.amdhsa_system_vgpr_workitem_id 0
		.amdhsa_next_free_vgpr 127
		.amdhsa_next_free_sgpr 20
		.amdhsa_accum_offset 128
		.amdhsa_reserve_vcc 1
		.amdhsa_reserve_flat_scratch 0
		.amdhsa_float_round_mode_32 0
		.amdhsa_float_round_mode_16_64 0
		.amdhsa_float_denorm_mode_32 3
		.amdhsa_float_denorm_mode_16_64 3
		.amdhsa_dx10_clamp 1
		.amdhsa_ieee_mode 1
		.amdhsa_fp16_overflow 0
		.amdhsa_tg_split 0
		.amdhsa_exception_fp_ieee_invalid_op 0
		.amdhsa_exception_fp_denorm_src 0
		.amdhsa_exception_fp_ieee_div_zero 0
		.amdhsa_exception_fp_ieee_overflow 0
		.amdhsa_exception_fp_ieee_underflow 0
		.amdhsa_exception_fp_ieee_inexact 0
		.amdhsa_exception_int_div_zero 0
	.end_amdhsa_kernel
	.section	.text._ZN9rocsolver6v33100L18trti2_kernel_smallILi48EfPfEEv13rocblas_fill_17rocblas_diagonal_T1_iil,"axG",@progbits,_ZN9rocsolver6v33100L18trti2_kernel_smallILi48EfPfEEv13rocblas_fill_17rocblas_diagonal_T1_iil,comdat
.Lfunc_end47:
	.size	_ZN9rocsolver6v33100L18trti2_kernel_smallILi48EfPfEEv13rocblas_fill_17rocblas_diagonal_T1_iil, .Lfunc_end47-_ZN9rocsolver6v33100L18trti2_kernel_smallILi48EfPfEEv13rocblas_fill_17rocblas_diagonal_T1_iil
                                        ; -- End function
	.section	.AMDGPU.csdata,"",@progbits
; Kernel info:
; codeLenInByte = 23452
; NumSgprs: 24
; NumVgprs: 127
; NumAgprs: 0
; TotalNumVgprs: 127
; ScratchSize: 208
; MemoryBound: 0
; FloatMode: 240
; IeeeMode: 1
; LDSByteSize: 384 bytes/workgroup (compile time only)
; SGPRBlocks: 2
; VGPRBlocks: 15
; NumSGPRsForWavesPerEU: 24
; NumVGPRsForWavesPerEU: 127
; AccumOffset: 128
; Occupancy: 4
; WaveLimiterHint : 0
; COMPUTE_PGM_RSRC2:SCRATCH_EN: 1
; COMPUTE_PGM_RSRC2:USER_SGPR: 8
; COMPUTE_PGM_RSRC2:TRAP_HANDLER: 0
; COMPUTE_PGM_RSRC2:TGID_X_EN: 1
; COMPUTE_PGM_RSRC2:TGID_Y_EN: 0
; COMPUTE_PGM_RSRC2:TGID_Z_EN: 0
; COMPUTE_PGM_RSRC2:TIDIG_COMP_CNT: 0
; COMPUTE_PGM_RSRC3_GFX90A:ACCUM_OFFSET: 31
; COMPUTE_PGM_RSRC3_GFX90A:TG_SPLIT: 0
	.section	.text._ZN9rocsolver6v33100L18trti2_kernel_smallILi49EfPfEEv13rocblas_fill_17rocblas_diagonal_T1_iil,"axG",@progbits,_ZN9rocsolver6v33100L18trti2_kernel_smallILi49EfPfEEv13rocblas_fill_17rocblas_diagonal_T1_iil,comdat
	.globl	_ZN9rocsolver6v33100L18trti2_kernel_smallILi49EfPfEEv13rocblas_fill_17rocblas_diagonal_T1_iil ; -- Begin function _ZN9rocsolver6v33100L18trti2_kernel_smallILi49EfPfEEv13rocblas_fill_17rocblas_diagonal_T1_iil
	.p2align	8
	.type	_ZN9rocsolver6v33100L18trti2_kernel_smallILi49EfPfEEv13rocblas_fill_17rocblas_diagonal_T1_iil,@function
_ZN9rocsolver6v33100L18trti2_kernel_smallILi49EfPfEEv13rocblas_fill_17rocblas_diagonal_T1_iil: ; @_ZN9rocsolver6v33100L18trti2_kernel_smallILi49EfPfEEv13rocblas_fill_17rocblas_diagonal_T1_iil
; %bb.0:
	s_add_u32 s0, s0, s9
	s_addc_u32 s1, s1, 0
	v_cmp_gt_u32_e32 vcc, 49, v0
	s_and_saveexec_b64 s[6:7], vcc
	s_cbranch_execz .LBB48_952
; %bb.1:
	s_load_dwordx8 s[12:19], s[4:5], 0x0
	s_ashr_i32 s6, s8, 31
	s_waitcnt lgkmcnt(0)
	s_mul_i32 s7, s8, s19
	s_mul_hi_u32 s9, s8, s18
	s_add_i32 s7, s9, s7
	s_mul_i32 s6, s6, s18
	s_add_i32 s7, s7, s6
	s_mul_i32 s6, s8, s18
	s_ashr_i32 s5, s16, 31
	s_lshl_b64 s[6:7], s[6:7], 2
	s_mov_b32 s4, s16
	s_add_u32 s6, s14, s6
	s_addc_u32 s7, s15, s7
	s_lshl_b64 s[4:5], s[4:5], 2
	s_add_u32 s4, s6, s4
	s_addc_u32 s5, s7, s5
	s_add_i32 s6, s17, s17
	v_add_u32_e32 v4, s6, v0
	v_ashrrev_i32_e32 v5, 31, v4
	v_lshlrev_b64 v[2:3], 2, v[4:5]
	v_add_u32_e32 v6, s17, v4
	v_mov_b32_e32 v1, s5
	v_add_co_u32_e32 v2, vcc, s4, v2
	v_ashrrev_i32_e32 v7, 31, v6
	v_addc_co_u32_e32 v3, vcc, v1, v3, vcc
	v_lshlrev_b64 v[4:5], 2, v[6:7]
	v_add_u32_e32 v8, s17, v6
	v_add_co_u32_e32 v4, vcc, s4, v4
	v_ashrrev_i32_e32 v9, 31, v8
	v_addc_co_u32_e32 v5, vcc, v1, v5, vcc
	v_lshlrev_b64 v[6:7], 2, v[8:9]
	v_add_u32_e32 v10, s17, v8
	;; [unrolled: 5-line block ×41, first 2 shown]
	v_add_co_u32_e32 v84, vcc, s4, v84
	v_ashrrev_i32_e32 v89, 31, v88
	v_add_u32_e32 v90, s17, v88
	v_addc_co_u32_e32 v85, vcc, v1, v85, vcc
	v_lshlrev_b64 v[86:87], 2, v[88:89]
	v_add_u32_e32 v92, s17, v90
	v_add_co_u32_e32 v86, vcc, s4, v86
	v_ashrrev_i32_e32 v91, 31, v90
	v_ashrrev_i32_e32 v93, 31, v92
	v_addc_co_u32_e32 v87, vcc, v1, v87, vcc
	v_lshlrev_b64 v[88:89], 2, v[90:91]
	v_lshlrev_b64 v[90:91], 2, v[92:93]
	v_add_u32_e32 v92, s17, v92
	v_add_co_u32_e32 v88, vcc, s4, v88
	v_ashrrev_i32_e32 v93, 31, v92
	v_addc_co_u32_e32 v89, vcc, v1, v89, vcc
	v_lshlrev_b64 v[98:99], 2, v[92:93]
	v_add_u32_e32 v92, s17, v92
	v_add_co_u32_e32 v90, vcc, s4, v90
	v_ashrrev_i32_e32 v93, 31, v92
	v_addc_co_u32_e32 v91, vcc, v1, v91, vcc
	v_lshlrev_b64 v[92:93], 2, v[92:93]
	v_add_co_u32_e32 v92, vcc, s4, v92
	v_addc_co_u32_e32 v93, vcc, v1, v93, vcc
	v_lshlrev_b32_e32 v1, 2, v0
	v_mov_b32_e32 v95, s5
	v_add_co_u32_e32 v94, vcc, s4, v1
	s_ashr_i32 s7, s17, 31
	s_mov_b32 s6, s17
	v_addc_co_u32_e32 v95, vcc, 0, v95, vcc
	s_lshl_b64 s[6:7], s[6:7], 2
	v_mov_b32_e32 v97, s7
	v_add_co_u32_e32 v96, vcc, s6, v94
	v_addc_co_u32_e32 v97, vcc, v95, v97, vcc
	global_load_dword v101, v1, s[4:5]
	global_load_dword v102, v[96:97], off
	global_load_dword v103, v[6:7], off
	;; [unrolled: 1-line block ×14, first 2 shown]
                                        ; kill: killed $sgpr5
	global_load_dword v116, v[20:21], off
	global_load_dword v117, v[18:19], off
	;; [unrolled: 1-line block ×33, first 2 shown]
	v_mov_b32_e32 v100, s5
	v_add_co_u32_e32 v98, vcc, s4, v98
	v_addc_co_u32_e32 v99, vcc, v100, v99, vcc
	global_load_dword v100, v[98:99], off
	s_cmpk_lg_i32 s13, 0x84
	s_waitcnt vmcnt(48)
	buffer_store_dword v101, off, s[0:3], 0
	s_waitcnt vmcnt(48)
	buffer_store_dword v102, off, s[0:3], 0 offset:4
	s_waitcnt vmcnt(43)
	buffer_store_dword v108, off, s[0:3], 0 offset:12
	;; [unrolled: 2-line block ×3, first 2 shown]
	buffer_store_dword v103, off, s[0:3], 0 offset:16
	buffer_store_dword v104, off, s[0:3], 0 offset:20
	;; [unrolled: 1-line block ×5, first 2 shown]
	s_waitcnt vmcnt(48)
	buffer_store_dword v110, off, s[0:3], 0 offset:36
	s_waitcnt vmcnt(43)
	buffer_store_dword v116, off, s[0:3], 0 offset:44
	;; [unrolled: 2-line block ×3, first 2 shown]
	buffer_store_dword v111, off, s[0:3], 0 offset:48
	buffer_store_dword v112, off, s[0:3], 0 offset:52
	;; [unrolled: 1-line block ×5, first 2 shown]
	s_waitcnt vmcnt(48)
	buffer_store_dword v118, off, s[0:3], 0 offset:68
	s_waitcnt vmcnt(48)
	buffer_store_dword v119, off, s[0:3], 0 offset:72
	;; [unrolled: 2-line block ×5, first 2 shown]
	buffer_store_dword v122, off, s[0:3], 0 offset:92
	buffer_store_dword v123, off, s[0:3], 0 offset:88
	s_waitcnt vmcnt(47)
	buffer_store_dword v126, off, s[0:3], 0 offset:100
	buffer_store_dword v121, off, s[0:3], 0 offset:96
	s_waitcnt vmcnt(43)
	buffer_store_dword v132, off, s[0:3], 0 offset:108
	s_waitcnt vmcnt(43)
	buffer_store_dword v133, off, s[0:3], 0 offset:104
	buffer_store_dword v130, off, s[0:3], 0 offset:116
	buffer_store_dword v131, off, s[0:3], 0 offset:112
	buffer_store_dword v128, off, s[0:3], 0 offset:124
	buffer_store_dword v129, off, s[0:3], 0 offset:120
	s_waitcnt vmcnt(47)
	buffer_store_dword v134, off, s[0:3], 0 offset:132
	buffer_store_dword v127, off, s[0:3], 0 offset:128
	s_waitcnt vmcnt(43)
	buffer_store_dword v140, off, s[0:3], 0 offset:140
	s_waitcnt vmcnt(43)
	buffer_store_dword v141, off, s[0:3], 0 offset:136
	buffer_store_dword v138, off, s[0:3], 0 offset:148
	buffer_store_dword v139, off, s[0:3], 0 offset:144
	;; [unrolled: 11-line block ×3, first 2 shown]
	s_waitcnt vmcnt(46)
	buffer_store_dword v100, off, s[0:3], 0 offset:188
	buffer_store_dword v144, off, s[0:3], 0 offset:184
	;; [unrolled: 1-line block ×3, first 2 shown]
	s_cselect_b64 s[10:11], -1, 0
	s_cmpk_eq_i32 s13, 0x84
	v_mov_b32_e32 v124, 0
	v_mov_b32_e32 v100, -1.0
	s_cbranch_scc1 .LBB48_3
; %bb.2:
	v_lshl_add_u32 v100, v0, 2, v124
	buffer_load_dword v101, v100, s[0:3], 0 offen
	s_waitcnt vmcnt(0)
	v_div_scale_f32 v102, s[4:5], v101, v101, 1.0
	v_rcp_f32_e32 v103, v102
	v_div_scale_f32 v104, vcc, 1.0, v101, 1.0
	v_fma_f32 v105, -v102, v103, 1.0
	v_fmac_f32_e32 v103, v105, v103
	v_mul_f32_e32 v105, v104, v103
	v_fma_f32 v106, -v102, v105, v104
	v_fmac_f32_e32 v105, v106, v103
	v_fma_f32 v102, -v102, v105, v104
	v_div_fmas_f32 v102, v102, v103, v105
	v_div_fixup_f32 v101, v102, v101, 1.0
	buffer_store_dword v101, v100, s[0:3], 0 offen
	v_xor_b32_e32 v100, 0x80000000, v101
.LBB48_3:
	ds_write_b32 v1, v100
	s_cmpk_eq_i32 s12, 0x79
	v_add_u32_e32 v100, 0xd0, v1
	v_add_u32_e32 v101, 0, v1
	s_mov_b64 s[4:5], -1
	s_cbranch_scc1 .LBB48_477
; %bb.4:
	buffer_load_dword v102, off, s[0:3], 0 offset:188
	v_cmp_eq_u32_e64 s[4:5], 48, v0
	s_waitcnt vmcnt(0)
	ds_write_b32 v100, v102
	s_waitcnt lgkmcnt(0)
	; wave barrier
	s_waitcnt lgkmcnt(0)
	s_and_saveexec_b64 s[6:7], s[4:5]
	s_cbranch_execz .LBB48_10
; %bb.5:
	s_and_b64 vcc, exec, s[10:11]
	s_cbranch_vccz .LBB48_7
; %bb.6:
	buffer_load_dword v102, v101, s[0:3], 0 offen
	ds_read_b32 v103, v100
	s_waitcnt vmcnt(0) lgkmcnt(0)
	v_mul_f32_e32 v102, v102, v103
	s_cbranch_execz .LBB48_8
	s_branch .LBB48_9
.LBB48_7:
                                        ; implicit-def: $vgpr102
.LBB48_8:
	ds_read_b32 v102, v100
.LBB48_9:
	v_mov_b32_e32 v103, 0
	ds_read_b32 v103, v103 offset:188
	s_waitcnt lgkmcnt(0)
	v_mul_f32_e32 v102, v102, v103
	buffer_store_dword v102, off, s[0:3], 0 offset:188
.LBB48_10:
	s_or_b64 exec, exec, s[6:7]
	buffer_load_dword v125, off, s[0:3], 0 offset:184
	v_or_b32_e32 v102, 8, v124
	v_add_u32_e32 v103, 16, v124
	v_add_u32_e32 v104, 24, v124
	;; [unrolled: 1-line block ×22, first 2 shown]
	v_cmp_lt_u32_e64 s[8:9], 46, v0
	s_waitcnt vmcnt(0)
	ds_write_b32 v100, v125
	s_waitcnt lgkmcnt(0)
	; wave barrier
	s_waitcnt lgkmcnt(0)
	s_and_saveexec_b64 s[6:7], s[8:9]
	s_cbranch_execz .LBB48_16
; %bb.11:
	s_andn2_b64 vcc, exec, s[10:11]
	s_cbranch_vccnz .LBB48_13
; %bb.12:
	buffer_load_dword v125, v101, s[0:3], 0 offen
	ds_read_b32 v126, v100
	s_waitcnt vmcnt(0) lgkmcnt(0)
	v_mul_f32_e32 v125, v125, v126
	s_cbranch_execz .LBB48_14
	s_branch .LBB48_15
.LBB48_13:
                                        ; implicit-def: $vgpr125
.LBB48_14:
	ds_read_b32 v125, v100
.LBB48_15:
	buffer_load_dword v128, off, s[0:3], 0 offset:188
	v_mov_b32_e32 v126, 0
	ds_read2_b32 v[126:127], v126 offset0:46 offset1:99
	s_waitcnt vmcnt(0) lgkmcnt(0)
	v_fma_f32 v127, v128, v127, v125
	v_cndmask_b32_e64 v125, v125, v127, s[4:5]
	v_mul_f32_e32 v125, v125, v126
	buffer_store_dword v125, off, s[0:3], 0 offset:184
.LBB48_16:
	s_or_b64 exec, exec, s[6:7]
	buffer_load_dword v125, off, s[0:3], 0 offset:180
	v_cmp_lt_u32_e64 s[6:7], 45, v0
	s_waitcnt vmcnt(0)
	ds_write_b32 v100, v125
	s_waitcnt lgkmcnt(0)
	; wave barrier
	s_waitcnt lgkmcnt(0)
	s_and_saveexec_b64 s[4:5], s[6:7]
	s_cbranch_execz .LBB48_26
; %bb.17:
	s_andn2_b64 vcc, exec, s[10:11]
	s_cbranch_vccnz .LBB48_19
; %bb.18:
	buffer_load_dword v125, v101, s[0:3], 0 offen
	ds_read_b32 v126, v100
	s_waitcnt vmcnt(0) lgkmcnt(0)
	v_mul_f32_e32 v125, v125, v126
	s_cbranch_execz .LBB48_20
	s_branch .LBB48_21
.LBB48_19:
                                        ; implicit-def: $vgpr125
.LBB48_20:
	ds_read_b32 v125, v100
.LBB48_21:
	s_and_saveexec_b64 s[12:13], s[8:9]
	s_cbranch_execz .LBB48_25
; %bb.22:
	v_subrev_u32_e32 v126, 46, v0
	s_movk_i32 s14, 0x188
	s_mov_b64 s[8:9], 0
.LBB48_23:                              ; =>This Inner Loop Header: Depth=1
	buffer_load_dword v127, v124, s[0:3], 0 offen
	v_mov_b32_e32 v128, s14
	ds_read_b32 v128, v128
	v_add_u32_e32 v126, -1, v126
	s_add_i32 s14, s14, 4
	v_cmp_eq_u32_e32 vcc, 0, v126
	v_add_u32_e32 v124, 4, v124
	s_or_b64 s[8:9], vcc, s[8:9]
	s_waitcnt vmcnt(0) lgkmcnt(0)
	v_fmac_f32_e32 v125, v127, v128
	s_andn2_b64 exec, exec, s[8:9]
	s_cbranch_execnz .LBB48_23
; %bb.24:
	s_or_b64 exec, exec, s[8:9]
.LBB48_25:
	s_or_b64 exec, exec, s[12:13]
	v_mov_b32_e32 v124, 0
	ds_read_b32 v124, v124 offset:180
	s_waitcnt lgkmcnt(0)
	v_mul_f32_e32 v124, v125, v124
	buffer_store_dword v124, off, s[0:3], 0 offset:180
.LBB48_26:
	s_or_b64 exec, exec, s[4:5]
	buffer_load_dword v124, off, s[0:3], 0 offset:176
	v_cmp_lt_u32_e64 s[4:5], 44, v0
	s_waitcnt vmcnt(0)
	ds_write_b32 v100, v124
	s_waitcnt lgkmcnt(0)
	; wave barrier
	s_waitcnt lgkmcnt(0)
	s_and_saveexec_b64 s[8:9], s[4:5]
	s_cbranch_execz .LBB48_36
; %bb.27:
	s_andn2_b64 vcc, exec, s[10:11]
	s_cbranch_vccnz .LBB48_29
; %bb.28:
	buffer_load_dword v124, v101, s[0:3], 0 offen
	ds_read_b32 v125, v100
	s_waitcnt vmcnt(0) lgkmcnt(0)
	v_mul_f32_e32 v124, v124, v125
	s_cbranch_execz .LBB48_30
	s_branch .LBB48_31
.LBB48_29:
                                        ; implicit-def: $vgpr124
.LBB48_30:
	ds_read_b32 v124, v100
.LBB48_31:
	s_and_saveexec_b64 s[12:13], s[6:7]
	s_cbranch_execz .LBB48_35
; %bb.32:
	v_mov_b32_e32 v125, 0
	v_add_u32_e32 v125, 0xb4, v125
	v_subrev_u32_e32 v126, 45, v0
	s_movk_i32 s14, 0x184
	s_mov_b64 s[6:7], 0
.LBB48_33:                              ; =>This Inner Loop Header: Depth=1
	buffer_load_dword v127, v125, s[0:3], 0 offen
	v_mov_b32_e32 v128, s14
	ds_read_b32 v128, v128
	v_add_u32_e32 v126, -1, v126
	s_add_i32 s14, s14, 4
	v_cmp_eq_u32_e32 vcc, 0, v126
	v_add_u32_e32 v125, 4, v125
	s_or_b64 s[6:7], vcc, s[6:7]
	s_waitcnt vmcnt(0) lgkmcnt(0)
	v_fmac_f32_e32 v124, v127, v128
	s_andn2_b64 exec, exec, s[6:7]
	s_cbranch_execnz .LBB48_33
; %bb.34:
	s_or_b64 exec, exec, s[6:7]
.LBB48_35:
	s_or_b64 exec, exec, s[12:13]
	v_mov_b32_e32 v125, 0
	ds_read_b32 v125, v125 offset:176
	s_waitcnt lgkmcnt(0)
	v_mul_f32_e32 v124, v124, v125
	buffer_store_dword v124, off, s[0:3], 0 offset:176
.LBB48_36:
	s_or_b64 exec, exec, s[8:9]
	buffer_load_dword v124, off, s[0:3], 0 offset:172
	v_cmp_lt_u32_e64 s[6:7], 43, v0
	s_waitcnt vmcnt(0)
	ds_write_b32 v100, v124
	s_waitcnt lgkmcnt(0)
	; wave barrier
	s_waitcnt lgkmcnt(0)
	s_and_saveexec_b64 s[8:9], s[6:7]
	s_cbranch_execz .LBB48_46
; %bb.37:
	s_andn2_b64 vcc, exec, s[10:11]
	s_cbranch_vccnz .LBB48_39
; %bb.38:
	buffer_load_dword v124, v101, s[0:3], 0 offen
	ds_read_b32 v125, v100
	s_waitcnt vmcnt(0) lgkmcnt(0)
	v_mul_f32_e32 v124, v124, v125
	s_cbranch_execz .LBB48_40
	s_branch .LBB48_41
.LBB48_39:
                                        ; implicit-def: $vgpr124
.LBB48_40:
	ds_read_b32 v124, v100
.LBB48_41:
	s_and_saveexec_b64 s[12:13], s[4:5]
	s_cbranch_execz .LBB48_45
; %bb.42:
	v_subrev_u32_e32 v125, 44, v0
	s_movk_i32 s14, 0x180
	s_mov_b64 s[4:5], 0
.LBB48_43:                              ; =>This Inner Loop Header: Depth=1
	buffer_load_dword v126, v123, s[0:3], 0 offen
	v_mov_b32_e32 v127, s14
	ds_read_b32 v127, v127
	v_add_u32_e32 v125, -1, v125
	s_add_i32 s14, s14, 4
	v_cmp_eq_u32_e32 vcc, 0, v125
	v_add_u32_e32 v123, 4, v123
	s_or_b64 s[4:5], vcc, s[4:5]
	s_waitcnt vmcnt(0) lgkmcnt(0)
	v_fmac_f32_e32 v124, v126, v127
	s_andn2_b64 exec, exec, s[4:5]
	s_cbranch_execnz .LBB48_43
; %bb.44:
	s_or_b64 exec, exec, s[4:5]
.LBB48_45:
	s_or_b64 exec, exec, s[12:13]
	v_mov_b32_e32 v123, 0
	ds_read_b32 v123, v123 offset:172
	s_waitcnt lgkmcnt(0)
	v_mul_f32_e32 v123, v124, v123
	buffer_store_dword v123, off, s[0:3], 0 offset:172
.LBB48_46:
	s_or_b64 exec, exec, s[8:9]
	buffer_load_dword v123, off, s[0:3], 0 offset:168
	v_cmp_lt_u32_e64 s[4:5], 42, v0
	s_waitcnt vmcnt(0)
	ds_write_b32 v100, v123
	s_waitcnt lgkmcnt(0)
	; wave barrier
	s_waitcnt lgkmcnt(0)
	s_and_saveexec_b64 s[8:9], s[4:5]
	s_cbranch_execz .LBB48_56
; %bb.47:
	s_andn2_b64 vcc, exec, s[10:11]
	s_cbranch_vccnz .LBB48_49
; %bb.48:
	buffer_load_dword v123, v101, s[0:3], 0 offen
	ds_read_b32 v124, v100
	s_waitcnt vmcnt(0) lgkmcnt(0)
	v_mul_f32_e32 v123, v123, v124
	s_cbranch_execz .LBB48_50
	s_branch .LBB48_51
.LBB48_49:
                                        ; implicit-def: $vgpr123
.LBB48_50:
	ds_read_b32 v123, v100
.LBB48_51:
	s_and_saveexec_b64 s[12:13], s[6:7]
	s_cbranch_execz .LBB48_55
; %bb.52:
	v_mov_b32_e32 v124, 0
	v_add_u32_e32 v124, 0xac, v124
	v_subrev_u32_e32 v125, 43, v0
	s_movk_i32 s14, 0x17c
	s_mov_b64 s[6:7], 0
.LBB48_53:                              ; =>This Inner Loop Header: Depth=1
	buffer_load_dword v126, v124, s[0:3], 0 offen
	v_mov_b32_e32 v127, s14
	ds_read_b32 v127, v127
	v_add_u32_e32 v125, -1, v125
	s_add_i32 s14, s14, 4
	v_cmp_eq_u32_e32 vcc, 0, v125
	v_add_u32_e32 v124, 4, v124
	s_or_b64 s[6:7], vcc, s[6:7]
	s_waitcnt vmcnt(0) lgkmcnt(0)
	v_fmac_f32_e32 v123, v126, v127
	s_andn2_b64 exec, exec, s[6:7]
	s_cbranch_execnz .LBB48_53
; %bb.54:
	s_or_b64 exec, exec, s[6:7]
.LBB48_55:
	s_or_b64 exec, exec, s[12:13]
	v_mov_b32_e32 v124, 0
	ds_read_b32 v124, v124 offset:168
	s_waitcnt lgkmcnt(0)
	v_mul_f32_e32 v123, v123, v124
	buffer_store_dword v123, off, s[0:3], 0 offset:168
.LBB48_56:
	s_or_b64 exec, exec, s[8:9]
	buffer_load_dword v123, off, s[0:3], 0 offset:164
	v_cmp_lt_u32_e64 s[6:7], 41, v0
	s_waitcnt vmcnt(0)
	ds_write_b32 v100, v123
	s_waitcnt lgkmcnt(0)
	; wave barrier
	s_waitcnt lgkmcnt(0)
	s_and_saveexec_b64 s[8:9], s[6:7]
	s_cbranch_execz .LBB48_66
; %bb.57:
	s_andn2_b64 vcc, exec, s[10:11]
	s_cbranch_vccnz .LBB48_59
; %bb.58:
	buffer_load_dword v123, v101, s[0:3], 0 offen
	ds_read_b32 v124, v100
	s_waitcnt vmcnt(0) lgkmcnt(0)
	v_mul_f32_e32 v123, v123, v124
	s_cbranch_execz .LBB48_60
	s_branch .LBB48_61
.LBB48_59:
                                        ; implicit-def: $vgpr123
.LBB48_60:
	ds_read_b32 v123, v100
.LBB48_61:
	s_and_saveexec_b64 s[12:13], s[4:5]
	s_cbranch_execz .LBB48_65
; %bb.62:
	v_subrev_u32_e32 v124, 42, v0
	s_movk_i32 s14, 0x178
	s_mov_b64 s[4:5], 0
.LBB48_63:                              ; =>This Inner Loop Header: Depth=1
	buffer_load_dword v125, v122, s[0:3], 0 offen
	v_mov_b32_e32 v126, s14
	ds_read_b32 v126, v126
	v_add_u32_e32 v124, -1, v124
	s_add_i32 s14, s14, 4
	v_cmp_eq_u32_e32 vcc, 0, v124
	v_add_u32_e32 v122, 4, v122
	s_or_b64 s[4:5], vcc, s[4:5]
	s_waitcnt vmcnt(0) lgkmcnt(0)
	v_fmac_f32_e32 v123, v125, v126
	s_andn2_b64 exec, exec, s[4:5]
	s_cbranch_execnz .LBB48_63
; %bb.64:
	s_or_b64 exec, exec, s[4:5]
.LBB48_65:
	s_or_b64 exec, exec, s[12:13]
	v_mov_b32_e32 v122, 0
	ds_read_b32 v122, v122 offset:164
	s_waitcnt lgkmcnt(0)
	v_mul_f32_e32 v122, v123, v122
	buffer_store_dword v122, off, s[0:3], 0 offset:164
.LBB48_66:
	s_or_b64 exec, exec, s[8:9]
	buffer_load_dword v122, off, s[0:3], 0 offset:160
	v_cmp_lt_u32_e64 s[4:5], 40, v0
	s_waitcnt vmcnt(0)
	ds_write_b32 v100, v122
	s_waitcnt lgkmcnt(0)
	; wave barrier
	s_waitcnt lgkmcnt(0)
	s_and_saveexec_b64 s[8:9], s[4:5]
	s_cbranch_execz .LBB48_76
; %bb.67:
	s_andn2_b64 vcc, exec, s[10:11]
	s_cbranch_vccnz .LBB48_69
; %bb.68:
	buffer_load_dword v122, v101, s[0:3], 0 offen
	ds_read_b32 v123, v100
	s_waitcnt vmcnt(0) lgkmcnt(0)
	v_mul_f32_e32 v122, v122, v123
	s_cbranch_execz .LBB48_70
	s_branch .LBB48_71
.LBB48_69:
                                        ; implicit-def: $vgpr122
.LBB48_70:
	ds_read_b32 v122, v100
.LBB48_71:
	s_and_saveexec_b64 s[12:13], s[6:7]
	s_cbranch_execz .LBB48_75
; %bb.72:
	v_mov_b32_e32 v123, 0
	v_add_u32_e32 v123, 0xa4, v123
	v_subrev_u32_e32 v124, 41, v0
	s_movk_i32 s14, 0x174
	s_mov_b64 s[6:7], 0
.LBB48_73:                              ; =>This Inner Loop Header: Depth=1
	buffer_load_dword v125, v123, s[0:3], 0 offen
	v_mov_b32_e32 v126, s14
	ds_read_b32 v126, v126
	v_add_u32_e32 v124, -1, v124
	s_add_i32 s14, s14, 4
	v_cmp_eq_u32_e32 vcc, 0, v124
	v_add_u32_e32 v123, 4, v123
	s_or_b64 s[6:7], vcc, s[6:7]
	s_waitcnt vmcnt(0) lgkmcnt(0)
	v_fmac_f32_e32 v122, v125, v126
	s_andn2_b64 exec, exec, s[6:7]
	s_cbranch_execnz .LBB48_73
; %bb.74:
	s_or_b64 exec, exec, s[6:7]
.LBB48_75:
	s_or_b64 exec, exec, s[12:13]
	v_mov_b32_e32 v123, 0
	ds_read_b32 v123, v123 offset:160
	s_waitcnt lgkmcnt(0)
	v_mul_f32_e32 v122, v122, v123
	buffer_store_dword v122, off, s[0:3], 0 offset:160
.LBB48_76:
	s_or_b64 exec, exec, s[8:9]
	buffer_load_dword v122, off, s[0:3], 0 offset:156
	v_cmp_lt_u32_e64 s[6:7], 39, v0
	s_waitcnt vmcnt(0)
	ds_write_b32 v100, v122
	s_waitcnt lgkmcnt(0)
	; wave barrier
	s_waitcnt lgkmcnt(0)
	s_and_saveexec_b64 s[8:9], s[6:7]
	s_cbranch_execz .LBB48_86
; %bb.77:
	s_andn2_b64 vcc, exec, s[10:11]
	s_cbranch_vccnz .LBB48_79
; %bb.78:
	buffer_load_dword v122, v101, s[0:3], 0 offen
	ds_read_b32 v123, v100
	s_waitcnt vmcnt(0) lgkmcnt(0)
	v_mul_f32_e32 v122, v122, v123
	s_cbranch_execz .LBB48_80
	s_branch .LBB48_81
.LBB48_79:
                                        ; implicit-def: $vgpr122
.LBB48_80:
	ds_read_b32 v122, v100
.LBB48_81:
	s_and_saveexec_b64 s[12:13], s[4:5]
	s_cbranch_execz .LBB48_85
; %bb.82:
	v_subrev_u32_e32 v123, 40, v0
	s_movk_i32 s14, 0x170
	s_mov_b64 s[4:5], 0
.LBB48_83:                              ; =>This Inner Loop Header: Depth=1
	buffer_load_dword v124, v121, s[0:3], 0 offen
	v_mov_b32_e32 v125, s14
	ds_read_b32 v125, v125
	v_add_u32_e32 v123, -1, v123
	s_add_i32 s14, s14, 4
	v_cmp_eq_u32_e32 vcc, 0, v123
	v_add_u32_e32 v121, 4, v121
	s_or_b64 s[4:5], vcc, s[4:5]
	s_waitcnt vmcnt(0) lgkmcnt(0)
	v_fmac_f32_e32 v122, v124, v125
	s_andn2_b64 exec, exec, s[4:5]
	s_cbranch_execnz .LBB48_83
; %bb.84:
	s_or_b64 exec, exec, s[4:5]
.LBB48_85:
	s_or_b64 exec, exec, s[12:13]
	v_mov_b32_e32 v121, 0
	ds_read_b32 v121, v121 offset:156
	s_waitcnt lgkmcnt(0)
	v_mul_f32_e32 v121, v122, v121
	buffer_store_dword v121, off, s[0:3], 0 offset:156
.LBB48_86:
	s_or_b64 exec, exec, s[8:9]
	buffer_load_dword v121, off, s[0:3], 0 offset:152
	v_cmp_lt_u32_e64 s[4:5], 38, v0
	s_waitcnt vmcnt(0)
	ds_write_b32 v100, v121
	s_waitcnt lgkmcnt(0)
	; wave barrier
	s_waitcnt lgkmcnt(0)
	s_and_saveexec_b64 s[8:9], s[4:5]
	s_cbranch_execz .LBB48_96
; %bb.87:
	s_andn2_b64 vcc, exec, s[10:11]
	s_cbranch_vccnz .LBB48_89
; %bb.88:
	buffer_load_dword v121, v101, s[0:3], 0 offen
	ds_read_b32 v122, v100
	s_waitcnt vmcnt(0) lgkmcnt(0)
	v_mul_f32_e32 v121, v121, v122
	s_cbranch_execz .LBB48_90
	s_branch .LBB48_91
.LBB48_89:
                                        ; implicit-def: $vgpr121
.LBB48_90:
	ds_read_b32 v121, v100
.LBB48_91:
	s_and_saveexec_b64 s[12:13], s[6:7]
	s_cbranch_execz .LBB48_95
; %bb.92:
	v_mov_b32_e32 v122, 0
	v_add_u32_e32 v122, 0x9c, v122
	v_subrev_u32_e32 v123, 39, v0
	s_movk_i32 s14, 0x16c
	s_mov_b64 s[6:7], 0
.LBB48_93:                              ; =>This Inner Loop Header: Depth=1
	buffer_load_dword v124, v122, s[0:3], 0 offen
	v_mov_b32_e32 v125, s14
	ds_read_b32 v125, v125
	v_add_u32_e32 v123, -1, v123
	s_add_i32 s14, s14, 4
	v_cmp_eq_u32_e32 vcc, 0, v123
	v_add_u32_e32 v122, 4, v122
	s_or_b64 s[6:7], vcc, s[6:7]
	s_waitcnt vmcnt(0) lgkmcnt(0)
	v_fmac_f32_e32 v121, v124, v125
	s_andn2_b64 exec, exec, s[6:7]
	s_cbranch_execnz .LBB48_93
; %bb.94:
	s_or_b64 exec, exec, s[6:7]
.LBB48_95:
	s_or_b64 exec, exec, s[12:13]
	v_mov_b32_e32 v122, 0
	ds_read_b32 v122, v122 offset:152
	s_waitcnt lgkmcnt(0)
	v_mul_f32_e32 v121, v121, v122
	buffer_store_dword v121, off, s[0:3], 0 offset:152
.LBB48_96:
	s_or_b64 exec, exec, s[8:9]
	buffer_load_dword v121, off, s[0:3], 0 offset:148
	v_cmp_lt_u32_e64 s[6:7], 37, v0
	s_waitcnt vmcnt(0)
	ds_write_b32 v100, v121
	s_waitcnt lgkmcnt(0)
	; wave barrier
	s_waitcnt lgkmcnt(0)
	s_and_saveexec_b64 s[8:9], s[6:7]
	s_cbranch_execz .LBB48_106
; %bb.97:
	s_andn2_b64 vcc, exec, s[10:11]
	s_cbranch_vccnz .LBB48_99
; %bb.98:
	buffer_load_dword v121, v101, s[0:3], 0 offen
	ds_read_b32 v122, v100
	s_waitcnt vmcnt(0) lgkmcnt(0)
	v_mul_f32_e32 v121, v121, v122
	s_cbranch_execz .LBB48_100
	s_branch .LBB48_101
.LBB48_99:
                                        ; implicit-def: $vgpr121
.LBB48_100:
	ds_read_b32 v121, v100
.LBB48_101:
	s_and_saveexec_b64 s[12:13], s[4:5]
	s_cbranch_execz .LBB48_105
; %bb.102:
	v_subrev_u32_e32 v122, 38, v0
	s_movk_i32 s14, 0x168
	s_mov_b64 s[4:5], 0
.LBB48_103:                             ; =>This Inner Loop Header: Depth=1
	buffer_load_dword v123, v120, s[0:3], 0 offen
	v_mov_b32_e32 v124, s14
	ds_read_b32 v124, v124
	v_add_u32_e32 v122, -1, v122
	s_add_i32 s14, s14, 4
	v_cmp_eq_u32_e32 vcc, 0, v122
	v_add_u32_e32 v120, 4, v120
	s_or_b64 s[4:5], vcc, s[4:5]
	s_waitcnt vmcnt(0) lgkmcnt(0)
	v_fmac_f32_e32 v121, v123, v124
	s_andn2_b64 exec, exec, s[4:5]
	s_cbranch_execnz .LBB48_103
; %bb.104:
	s_or_b64 exec, exec, s[4:5]
.LBB48_105:
	s_or_b64 exec, exec, s[12:13]
	v_mov_b32_e32 v120, 0
	ds_read_b32 v120, v120 offset:148
	s_waitcnt lgkmcnt(0)
	v_mul_f32_e32 v120, v121, v120
	buffer_store_dword v120, off, s[0:3], 0 offset:148
.LBB48_106:
	s_or_b64 exec, exec, s[8:9]
	buffer_load_dword v120, off, s[0:3], 0 offset:144
	v_cmp_lt_u32_e64 s[4:5], 36, v0
	s_waitcnt vmcnt(0)
	ds_write_b32 v100, v120
	s_waitcnt lgkmcnt(0)
	; wave barrier
	s_waitcnt lgkmcnt(0)
	s_and_saveexec_b64 s[8:9], s[4:5]
	s_cbranch_execz .LBB48_116
; %bb.107:
	s_andn2_b64 vcc, exec, s[10:11]
	s_cbranch_vccnz .LBB48_109
; %bb.108:
	buffer_load_dword v120, v101, s[0:3], 0 offen
	ds_read_b32 v121, v100
	s_waitcnt vmcnt(0) lgkmcnt(0)
	v_mul_f32_e32 v120, v120, v121
	s_cbranch_execz .LBB48_110
	s_branch .LBB48_111
.LBB48_109:
                                        ; implicit-def: $vgpr120
.LBB48_110:
	ds_read_b32 v120, v100
.LBB48_111:
	s_and_saveexec_b64 s[12:13], s[6:7]
	s_cbranch_execz .LBB48_115
; %bb.112:
	v_mov_b32_e32 v121, 0
	v_add_u32_e32 v121, 0x94, v121
	v_subrev_u32_e32 v122, 37, v0
	s_movk_i32 s14, 0x164
	s_mov_b64 s[6:7], 0
.LBB48_113:                             ; =>This Inner Loop Header: Depth=1
	buffer_load_dword v123, v121, s[0:3], 0 offen
	v_mov_b32_e32 v124, s14
	ds_read_b32 v124, v124
	v_add_u32_e32 v122, -1, v122
	s_add_i32 s14, s14, 4
	v_cmp_eq_u32_e32 vcc, 0, v122
	v_add_u32_e32 v121, 4, v121
	s_or_b64 s[6:7], vcc, s[6:7]
	s_waitcnt vmcnt(0) lgkmcnt(0)
	v_fmac_f32_e32 v120, v123, v124
	s_andn2_b64 exec, exec, s[6:7]
	s_cbranch_execnz .LBB48_113
; %bb.114:
	s_or_b64 exec, exec, s[6:7]
.LBB48_115:
	s_or_b64 exec, exec, s[12:13]
	v_mov_b32_e32 v121, 0
	ds_read_b32 v121, v121 offset:144
	s_waitcnt lgkmcnt(0)
	v_mul_f32_e32 v120, v120, v121
	buffer_store_dword v120, off, s[0:3], 0 offset:144
.LBB48_116:
	s_or_b64 exec, exec, s[8:9]
	buffer_load_dword v120, off, s[0:3], 0 offset:140
	v_cmp_lt_u32_e64 s[6:7], 35, v0
	s_waitcnt vmcnt(0)
	ds_write_b32 v100, v120
	s_waitcnt lgkmcnt(0)
	; wave barrier
	s_waitcnt lgkmcnt(0)
	s_and_saveexec_b64 s[8:9], s[6:7]
	s_cbranch_execz .LBB48_126
; %bb.117:
	s_andn2_b64 vcc, exec, s[10:11]
	s_cbranch_vccnz .LBB48_119
; %bb.118:
	buffer_load_dword v120, v101, s[0:3], 0 offen
	ds_read_b32 v121, v100
	s_waitcnt vmcnt(0) lgkmcnt(0)
	v_mul_f32_e32 v120, v120, v121
	s_cbranch_execz .LBB48_120
	s_branch .LBB48_121
.LBB48_119:
                                        ; implicit-def: $vgpr120
.LBB48_120:
	ds_read_b32 v120, v100
.LBB48_121:
	s_and_saveexec_b64 s[12:13], s[4:5]
	s_cbranch_execz .LBB48_125
; %bb.122:
	v_subrev_u32_e32 v121, 36, v0
	s_movk_i32 s14, 0x160
	s_mov_b64 s[4:5], 0
.LBB48_123:                             ; =>This Inner Loop Header: Depth=1
	buffer_load_dword v122, v119, s[0:3], 0 offen
	v_mov_b32_e32 v123, s14
	ds_read_b32 v123, v123
	v_add_u32_e32 v121, -1, v121
	s_add_i32 s14, s14, 4
	v_cmp_eq_u32_e32 vcc, 0, v121
	v_add_u32_e32 v119, 4, v119
	s_or_b64 s[4:5], vcc, s[4:5]
	s_waitcnt vmcnt(0) lgkmcnt(0)
	v_fmac_f32_e32 v120, v122, v123
	s_andn2_b64 exec, exec, s[4:5]
	s_cbranch_execnz .LBB48_123
; %bb.124:
	s_or_b64 exec, exec, s[4:5]
.LBB48_125:
	s_or_b64 exec, exec, s[12:13]
	v_mov_b32_e32 v119, 0
	ds_read_b32 v119, v119 offset:140
	s_waitcnt lgkmcnt(0)
	v_mul_f32_e32 v119, v120, v119
	buffer_store_dword v119, off, s[0:3], 0 offset:140
.LBB48_126:
	s_or_b64 exec, exec, s[8:9]
	buffer_load_dword v119, off, s[0:3], 0 offset:136
	v_cmp_lt_u32_e64 s[4:5], 34, v0
	s_waitcnt vmcnt(0)
	ds_write_b32 v100, v119
	s_waitcnt lgkmcnt(0)
	; wave barrier
	s_waitcnt lgkmcnt(0)
	s_and_saveexec_b64 s[8:9], s[4:5]
	s_cbranch_execz .LBB48_136
; %bb.127:
	s_andn2_b64 vcc, exec, s[10:11]
	s_cbranch_vccnz .LBB48_129
; %bb.128:
	buffer_load_dword v119, v101, s[0:3], 0 offen
	ds_read_b32 v120, v100
	s_waitcnt vmcnt(0) lgkmcnt(0)
	v_mul_f32_e32 v119, v119, v120
	s_cbranch_execz .LBB48_130
	s_branch .LBB48_131
.LBB48_129:
                                        ; implicit-def: $vgpr119
.LBB48_130:
	ds_read_b32 v119, v100
.LBB48_131:
	s_and_saveexec_b64 s[12:13], s[6:7]
	s_cbranch_execz .LBB48_135
; %bb.132:
	v_mov_b32_e32 v120, 0
	v_add_u32_e32 v120, 0x8c, v120
	v_subrev_u32_e32 v121, 35, v0
	s_movk_i32 s14, 0x15c
	s_mov_b64 s[6:7], 0
.LBB48_133:                             ; =>This Inner Loop Header: Depth=1
	buffer_load_dword v122, v120, s[0:3], 0 offen
	v_mov_b32_e32 v123, s14
	ds_read_b32 v123, v123
	v_add_u32_e32 v121, -1, v121
	s_add_i32 s14, s14, 4
	v_cmp_eq_u32_e32 vcc, 0, v121
	v_add_u32_e32 v120, 4, v120
	s_or_b64 s[6:7], vcc, s[6:7]
	s_waitcnt vmcnt(0) lgkmcnt(0)
	v_fmac_f32_e32 v119, v122, v123
	s_andn2_b64 exec, exec, s[6:7]
	s_cbranch_execnz .LBB48_133
; %bb.134:
	s_or_b64 exec, exec, s[6:7]
.LBB48_135:
	s_or_b64 exec, exec, s[12:13]
	v_mov_b32_e32 v120, 0
	ds_read_b32 v120, v120 offset:136
	s_waitcnt lgkmcnt(0)
	v_mul_f32_e32 v119, v119, v120
	buffer_store_dword v119, off, s[0:3], 0 offset:136
.LBB48_136:
	s_or_b64 exec, exec, s[8:9]
	buffer_load_dword v119, off, s[0:3], 0 offset:132
	v_cmp_lt_u32_e64 s[6:7], 33, v0
	s_waitcnt vmcnt(0)
	ds_write_b32 v100, v119
	s_waitcnt lgkmcnt(0)
	; wave barrier
	s_waitcnt lgkmcnt(0)
	s_and_saveexec_b64 s[8:9], s[6:7]
	s_cbranch_execz .LBB48_146
; %bb.137:
	s_andn2_b64 vcc, exec, s[10:11]
	s_cbranch_vccnz .LBB48_139
; %bb.138:
	buffer_load_dword v119, v101, s[0:3], 0 offen
	ds_read_b32 v120, v100
	s_waitcnt vmcnt(0) lgkmcnt(0)
	v_mul_f32_e32 v119, v119, v120
	s_cbranch_execz .LBB48_140
	s_branch .LBB48_141
.LBB48_139:
                                        ; implicit-def: $vgpr119
.LBB48_140:
	ds_read_b32 v119, v100
.LBB48_141:
	s_and_saveexec_b64 s[12:13], s[4:5]
	s_cbranch_execz .LBB48_145
; %bb.142:
	v_subrev_u32_e32 v120, 34, v0
	s_movk_i32 s14, 0x158
	s_mov_b64 s[4:5], 0
.LBB48_143:                             ; =>This Inner Loop Header: Depth=1
	buffer_load_dword v121, v118, s[0:3], 0 offen
	v_mov_b32_e32 v122, s14
	ds_read_b32 v122, v122
	v_add_u32_e32 v120, -1, v120
	s_add_i32 s14, s14, 4
	v_cmp_eq_u32_e32 vcc, 0, v120
	v_add_u32_e32 v118, 4, v118
	s_or_b64 s[4:5], vcc, s[4:5]
	s_waitcnt vmcnt(0) lgkmcnt(0)
	v_fmac_f32_e32 v119, v121, v122
	s_andn2_b64 exec, exec, s[4:5]
	s_cbranch_execnz .LBB48_143
; %bb.144:
	s_or_b64 exec, exec, s[4:5]
.LBB48_145:
	s_or_b64 exec, exec, s[12:13]
	v_mov_b32_e32 v118, 0
	ds_read_b32 v118, v118 offset:132
	s_waitcnt lgkmcnt(0)
	v_mul_f32_e32 v118, v119, v118
	buffer_store_dword v118, off, s[0:3], 0 offset:132
.LBB48_146:
	s_or_b64 exec, exec, s[8:9]
	buffer_load_dword v118, off, s[0:3], 0 offset:128
	v_cmp_lt_u32_e64 s[4:5], 32, v0
	s_waitcnt vmcnt(0)
	ds_write_b32 v100, v118
	s_waitcnt lgkmcnt(0)
	; wave barrier
	s_waitcnt lgkmcnt(0)
	s_and_saveexec_b64 s[8:9], s[4:5]
	s_cbranch_execz .LBB48_156
; %bb.147:
	s_andn2_b64 vcc, exec, s[10:11]
	s_cbranch_vccnz .LBB48_149
; %bb.148:
	buffer_load_dword v118, v101, s[0:3], 0 offen
	ds_read_b32 v119, v100
	s_waitcnt vmcnt(0) lgkmcnt(0)
	v_mul_f32_e32 v118, v118, v119
	s_cbranch_execz .LBB48_150
	s_branch .LBB48_151
.LBB48_149:
                                        ; implicit-def: $vgpr118
.LBB48_150:
	ds_read_b32 v118, v100
.LBB48_151:
	s_and_saveexec_b64 s[12:13], s[6:7]
	s_cbranch_execz .LBB48_155
; %bb.152:
	v_mov_b32_e32 v119, 0
	v_add_u32_e32 v119, 0x84, v119
	v_subrev_u32_e32 v120, 33, v0
	s_movk_i32 s14, 0x154
	s_mov_b64 s[6:7], 0
.LBB48_153:                             ; =>This Inner Loop Header: Depth=1
	buffer_load_dword v121, v119, s[0:3], 0 offen
	v_mov_b32_e32 v122, s14
	ds_read_b32 v122, v122
	v_add_u32_e32 v120, -1, v120
	s_add_i32 s14, s14, 4
	v_cmp_eq_u32_e32 vcc, 0, v120
	v_add_u32_e32 v119, 4, v119
	s_or_b64 s[6:7], vcc, s[6:7]
	s_waitcnt vmcnt(0) lgkmcnt(0)
	v_fmac_f32_e32 v118, v121, v122
	s_andn2_b64 exec, exec, s[6:7]
	s_cbranch_execnz .LBB48_153
; %bb.154:
	s_or_b64 exec, exec, s[6:7]
.LBB48_155:
	s_or_b64 exec, exec, s[12:13]
	v_mov_b32_e32 v119, 0
	ds_read_b32 v119, v119 offset:128
	s_waitcnt lgkmcnt(0)
	v_mul_f32_e32 v118, v118, v119
	buffer_store_dword v118, off, s[0:3], 0 offset:128
.LBB48_156:
	s_or_b64 exec, exec, s[8:9]
	buffer_load_dword v118, off, s[0:3], 0 offset:124
	v_cmp_lt_u32_e64 s[6:7], 31, v0
	s_waitcnt vmcnt(0)
	ds_write_b32 v100, v118
	s_waitcnt lgkmcnt(0)
	; wave barrier
	s_waitcnt lgkmcnt(0)
	s_and_saveexec_b64 s[8:9], s[6:7]
	s_cbranch_execz .LBB48_166
; %bb.157:
	s_andn2_b64 vcc, exec, s[10:11]
	s_cbranch_vccnz .LBB48_159
; %bb.158:
	buffer_load_dword v118, v101, s[0:3], 0 offen
	ds_read_b32 v119, v100
	s_waitcnt vmcnt(0) lgkmcnt(0)
	v_mul_f32_e32 v118, v118, v119
	s_cbranch_execz .LBB48_160
	s_branch .LBB48_161
.LBB48_159:
                                        ; implicit-def: $vgpr118
.LBB48_160:
	ds_read_b32 v118, v100
.LBB48_161:
	s_and_saveexec_b64 s[12:13], s[4:5]
	s_cbranch_execz .LBB48_165
; %bb.162:
	v_subrev_u32_e32 v119, 32, v0
	s_movk_i32 s14, 0x150
	s_mov_b64 s[4:5], 0
.LBB48_163:                             ; =>This Inner Loop Header: Depth=1
	buffer_load_dword v120, v117, s[0:3], 0 offen
	v_mov_b32_e32 v121, s14
	ds_read_b32 v121, v121
	v_add_u32_e32 v119, -1, v119
	s_add_i32 s14, s14, 4
	v_cmp_eq_u32_e32 vcc, 0, v119
	v_add_u32_e32 v117, 4, v117
	s_or_b64 s[4:5], vcc, s[4:5]
	s_waitcnt vmcnt(0) lgkmcnt(0)
	v_fmac_f32_e32 v118, v120, v121
	s_andn2_b64 exec, exec, s[4:5]
	s_cbranch_execnz .LBB48_163
; %bb.164:
	s_or_b64 exec, exec, s[4:5]
.LBB48_165:
	s_or_b64 exec, exec, s[12:13]
	v_mov_b32_e32 v117, 0
	ds_read_b32 v117, v117 offset:124
	s_waitcnt lgkmcnt(0)
	v_mul_f32_e32 v117, v118, v117
	buffer_store_dword v117, off, s[0:3], 0 offset:124
.LBB48_166:
	s_or_b64 exec, exec, s[8:9]
	buffer_load_dword v117, off, s[0:3], 0 offset:120
	v_cmp_lt_u32_e64 s[4:5], 30, v0
	s_waitcnt vmcnt(0)
	ds_write_b32 v100, v117
	s_waitcnt lgkmcnt(0)
	; wave barrier
	s_waitcnt lgkmcnt(0)
	s_and_saveexec_b64 s[8:9], s[4:5]
	s_cbranch_execz .LBB48_176
; %bb.167:
	s_andn2_b64 vcc, exec, s[10:11]
	s_cbranch_vccnz .LBB48_169
; %bb.168:
	buffer_load_dword v117, v101, s[0:3], 0 offen
	ds_read_b32 v118, v100
	s_waitcnt vmcnt(0) lgkmcnt(0)
	v_mul_f32_e32 v117, v117, v118
	s_cbranch_execz .LBB48_170
	s_branch .LBB48_171
.LBB48_169:
                                        ; implicit-def: $vgpr117
.LBB48_170:
	ds_read_b32 v117, v100
.LBB48_171:
	s_and_saveexec_b64 s[12:13], s[6:7]
	s_cbranch_execz .LBB48_175
; %bb.172:
	v_mov_b32_e32 v118, 0
	v_add_u32_e32 v118, 0x7c, v118
	v_subrev_u32_e32 v119, 31, v0
	s_movk_i32 s14, 0x14c
	s_mov_b64 s[6:7], 0
.LBB48_173:                             ; =>This Inner Loop Header: Depth=1
	buffer_load_dword v120, v118, s[0:3], 0 offen
	v_mov_b32_e32 v121, s14
	ds_read_b32 v121, v121
	v_add_u32_e32 v119, -1, v119
	s_add_i32 s14, s14, 4
	v_cmp_eq_u32_e32 vcc, 0, v119
	v_add_u32_e32 v118, 4, v118
	s_or_b64 s[6:7], vcc, s[6:7]
	s_waitcnt vmcnt(0) lgkmcnt(0)
	v_fmac_f32_e32 v117, v120, v121
	s_andn2_b64 exec, exec, s[6:7]
	s_cbranch_execnz .LBB48_173
; %bb.174:
	s_or_b64 exec, exec, s[6:7]
.LBB48_175:
	s_or_b64 exec, exec, s[12:13]
	v_mov_b32_e32 v118, 0
	ds_read_b32 v118, v118 offset:120
	s_waitcnt lgkmcnt(0)
	v_mul_f32_e32 v117, v117, v118
	buffer_store_dword v117, off, s[0:3], 0 offset:120
.LBB48_176:
	s_or_b64 exec, exec, s[8:9]
	buffer_load_dword v117, off, s[0:3], 0 offset:116
	v_cmp_lt_u32_e64 s[6:7], 29, v0
	s_waitcnt vmcnt(0)
	ds_write_b32 v100, v117
	s_waitcnt lgkmcnt(0)
	; wave barrier
	s_waitcnt lgkmcnt(0)
	s_and_saveexec_b64 s[8:9], s[6:7]
	s_cbranch_execz .LBB48_186
; %bb.177:
	s_andn2_b64 vcc, exec, s[10:11]
	s_cbranch_vccnz .LBB48_179
; %bb.178:
	buffer_load_dword v117, v101, s[0:3], 0 offen
	ds_read_b32 v118, v100
	s_waitcnt vmcnt(0) lgkmcnt(0)
	v_mul_f32_e32 v117, v117, v118
	s_cbranch_execz .LBB48_180
	s_branch .LBB48_181
.LBB48_179:
                                        ; implicit-def: $vgpr117
.LBB48_180:
	ds_read_b32 v117, v100
.LBB48_181:
	s_and_saveexec_b64 s[12:13], s[4:5]
	s_cbranch_execz .LBB48_185
; %bb.182:
	v_subrev_u32_e32 v118, 30, v0
	s_movk_i32 s14, 0x148
	s_mov_b64 s[4:5], 0
.LBB48_183:                             ; =>This Inner Loop Header: Depth=1
	buffer_load_dword v119, v116, s[0:3], 0 offen
	v_mov_b32_e32 v120, s14
	ds_read_b32 v120, v120
	v_add_u32_e32 v118, -1, v118
	s_add_i32 s14, s14, 4
	v_cmp_eq_u32_e32 vcc, 0, v118
	v_add_u32_e32 v116, 4, v116
	s_or_b64 s[4:5], vcc, s[4:5]
	s_waitcnt vmcnt(0) lgkmcnt(0)
	v_fmac_f32_e32 v117, v119, v120
	s_andn2_b64 exec, exec, s[4:5]
	s_cbranch_execnz .LBB48_183
; %bb.184:
	s_or_b64 exec, exec, s[4:5]
.LBB48_185:
	s_or_b64 exec, exec, s[12:13]
	v_mov_b32_e32 v116, 0
	ds_read_b32 v116, v116 offset:116
	s_waitcnt lgkmcnt(0)
	v_mul_f32_e32 v116, v117, v116
	buffer_store_dword v116, off, s[0:3], 0 offset:116
.LBB48_186:
	s_or_b64 exec, exec, s[8:9]
	buffer_load_dword v116, off, s[0:3], 0 offset:112
	v_cmp_lt_u32_e64 s[4:5], 28, v0
	s_waitcnt vmcnt(0)
	ds_write_b32 v100, v116
	s_waitcnt lgkmcnt(0)
	; wave barrier
	s_waitcnt lgkmcnt(0)
	s_and_saveexec_b64 s[8:9], s[4:5]
	s_cbranch_execz .LBB48_196
; %bb.187:
	s_andn2_b64 vcc, exec, s[10:11]
	s_cbranch_vccnz .LBB48_189
; %bb.188:
	buffer_load_dword v116, v101, s[0:3], 0 offen
	ds_read_b32 v117, v100
	s_waitcnt vmcnt(0) lgkmcnt(0)
	v_mul_f32_e32 v116, v116, v117
	s_cbranch_execz .LBB48_190
	s_branch .LBB48_191
.LBB48_189:
                                        ; implicit-def: $vgpr116
.LBB48_190:
	ds_read_b32 v116, v100
.LBB48_191:
	s_and_saveexec_b64 s[12:13], s[6:7]
	s_cbranch_execz .LBB48_195
; %bb.192:
	v_mov_b32_e32 v117, 0
	v_add_u32_e32 v117, 0x74, v117
	v_subrev_u32_e32 v118, 29, v0
	s_movk_i32 s14, 0x144
	s_mov_b64 s[6:7], 0
.LBB48_193:                             ; =>This Inner Loop Header: Depth=1
	buffer_load_dword v119, v117, s[0:3], 0 offen
	v_mov_b32_e32 v120, s14
	ds_read_b32 v120, v120
	v_add_u32_e32 v118, -1, v118
	s_add_i32 s14, s14, 4
	v_cmp_eq_u32_e32 vcc, 0, v118
	v_add_u32_e32 v117, 4, v117
	s_or_b64 s[6:7], vcc, s[6:7]
	s_waitcnt vmcnt(0) lgkmcnt(0)
	v_fmac_f32_e32 v116, v119, v120
	s_andn2_b64 exec, exec, s[6:7]
	s_cbranch_execnz .LBB48_193
; %bb.194:
	s_or_b64 exec, exec, s[6:7]
.LBB48_195:
	s_or_b64 exec, exec, s[12:13]
	v_mov_b32_e32 v117, 0
	ds_read_b32 v117, v117 offset:112
	s_waitcnt lgkmcnt(0)
	v_mul_f32_e32 v116, v116, v117
	buffer_store_dword v116, off, s[0:3], 0 offset:112
.LBB48_196:
	s_or_b64 exec, exec, s[8:9]
	buffer_load_dword v116, off, s[0:3], 0 offset:108
	v_cmp_lt_u32_e64 s[6:7], 27, v0
	s_waitcnt vmcnt(0)
	ds_write_b32 v100, v116
	s_waitcnt lgkmcnt(0)
	; wave barrier
	s_waitcnt lgkmcnt(0)
	s_and_saveexec_b64 s[8:9], s[6:7]
	s_cbranch_execz .LBB48_206
; %bb.197:
	s_andn2_b64 vcc, exec, s[10:11]
	s_cbranch_vccnz .LBB48_199
; %bb.198:
	buffer_load_dword v116, v101, s[0:3], 0 offen
	ds_read_b32 v117, v100
	s_waitcnt vmcnt(0) lgkmcnt(0)
	v_mul_f32_e32 v116, v116, v117
	s_cbranch_execz .LBB48_200
	s_branch .LBB48_201
.LBB48_199:
                                        ; implicit-def: $vgpr116
.LBB48_200:
	ds_read_b32 v116, v100
.LBB48_201:
	s_and_saveexec_b64 s[12:13], s[4:5]
	s_cbranch_execz .LBB48_205
; %bb.202:
	v_subrev_u32_e32 v117, 28, v0
	s_movk_i32 s14, 0x140
	s_mov_b64 s[4:5], 0
.LBB48_203:                             ; =>This Inner Loop Header: Depth=1
	buffer_load_dword v118, v115, s[0:3], 0 offen
	v_mov_b32_e32 v119, s14
	ds_read_b32 v119, v119
	v_add_u32_e32 v117, -1, v117
	s_add_i32 s14, s14, 4
	v_cmp_eq_u32_e32 vcc, 0, v117
	v_add_u32_e32 v115, 4, v115
	s_or_b64 s[4:5], vcc, s[4:5]
	s_waitcnt vmcnt(0) lgkmcnt(0)
	v_fmac_f32_e32 v116, v118, v119
	s_andn2_b64 exec, exec, s[4:5]
	s_cbranch_execnz .LBB48_203
; %bb.204:
	s_or_b64 exec, exec, s[4:5]
.LBB48_205:
	s_or_b64 exec, exec, s[12:13]
	v_mov_b32_e32 v115, 0
	ds_read_b32 v115, v115 offset:108
	s_waitcnt lgkmcnt(0)
	v_mul_f32_e32 v115, v116, v115
	buffer_store_dword v115, off, s[0:3], 0 offset:108
.LBB48_206:
	s_or_b64 exec, exec, s[8:9]
	buffer_load_dword v115, off, s[0:3], 0 offset:104
	v_cmp_lt_u32_e64 s[4:5], 26, v0
	s_waitcnt vmcnt(0)
	ds_write_b32 v100, v115
	s_waitcnt lgkmcnt(0)
	; wave barrier
	s_waitcnt lgkmcnt(0)
	s_and_saveexec_b64 s[8:9], s[4:5]
	s_cbranch_execz .LBB48_216
; %bb.207:
	s_andn2_b64 vcc, exec, s[10:11]
	s_cbranch_vccnz .LBB48_209
; %bb.208:
	buffer_load_dword v115, v101, s[0:3], 0 offen
	ds_read_b32 v116, v100
	s_waitcnt vmcnt(0) lgkmcnt(0)
	v_mul_f32_e32 v115, v115, v116
	s_cbranch_execz .LBB48_210
	s_branch .LBB48_211
.LBB48_209:
                                        ; implicit-def: $vgpr115
.LBB48_210:
	ds_read_b32 v115, v100
.LBB48_211:
	s_and_saveexec_b64 s[12:13], s[6:7]
	s_cbranch_execz .LBB48_215
; %bb.212:
	v_mov_b32_e32 v116, 0
	v_add_u32_e32 v116, 0x6c, v116
	v_subrev_u32_e32 v117, 27, v0
	s_movk_i32 s14, 0x13c
	s_mov_b64 s[6:7], 0
.LBB48_213:                             ; =>This Inner Loop Header: Depth=1
	buffer_load_dword v118, v116, s[0:3], 0 offen
	v_mov_b32_e32 v119, s14
	ds_read_b32 v119, v119
	v_add_u32_e32 v117, -1, v117
	s_add_i32 s14, s14, 4
	v_cmp_eq_u32_e32 vcc, 0, v117
	v_add_u32_e32 v116, 4, v116
	s_or_b64 s[6:7], vcc, s[6:7]
	s_waitcnt vmcnt(0) lgkmcnt(0)
	v_fmac_f32_e32 v115, v118, v119
	s_andn2_b64 exec, exec, s[6:7]
	s_cbranch_execnz .LBB48_213
; %bb.214:
	s_or_b64 exec, exec, s[6:7]
.LBB48_215:
	s_or_b64 exec, exec, s[12:13]
	v_mov_b32_e32 v116, 0
	ds_read_b32 v116, v116 offset:104
	s_waitcnt lgkmcnt(0)
	v_mul_f32_e32 v115, v115, v116
	buffer_store_dword v115, off, s[0:3], 0 offset:104
.LBB48_216:
	s_or_b64 exec, exec, s[8:9]
	buffer_load_dword v115, off, s[0:3], 0 offset:100
	v_cmp_lt_u32_e64 s[6:7], 25, v0
	s_waitcnt vmcnt(0)
	ds_write_b32 v100, v115
	s_waitcnt lgkmcnt(0)
	; wave barrier
	s_waitcnt lgkmcnt(0)
	s_and_saveexec_b64 s[8:9], s[6:7]
	s_cbranch_execz .LBB48_226
; %bb.217:
	s_andn2_b64 vcc, exec, s[10:11]
	s_cbranch_vccnz .LBB48_219
; %bb.218:
	buffer_load_dword v115, v101, s[0:3], 0 offen
	ds_read_b32 v116, v100
	s_waitcnt vmcnt(0) lgkmcnt(0)
	v_mul_f32_e32 v115, v115, v116
	s_cbranch_execz .LBB48_220
	s_branch .LBB48_221
.LBB48_219:
                                        ; implicit-def: $vgpr115
.LBB48_220:
	ds_read_b32 v115, v100
.LBB48_221:
	s_and_saveexec_b64 s[12:13], s[4:5]
	s_cbranch_execz .LBB48_225
; %bb.222:
	v_subrev_u32_e32 v116, 26, v0
	s_movk_i32 s14, 0x138
	s_mov_b64 s[4:5], 0
.LBB48_223:                             ; =>This Inner Loop Header: Depth=1
	buffer_load_dword v117, v114, s[0:3], 0 offen
	v_mov_b32_e32 v118, s14
	ds_read_b32 v118, v118
	v_add_u32_e32 v116, -1, v116
	s_add_i32 s14, s14, 4
	v_cmp_eq_u32_e32 vcc, 0, v116
	v_add_u32_e32 v114, 4, v114
	s_or_b64 s[4:5], vcc, s[4:5]
	s_waitcnt vmcnt(0) lgkmcnt(0)
	v_fmac_f32_e32 v115, v117, v118
	s_andn2_b64 exec, exec, s[4:5]
	s_cbranch_execnz .LBB48_223
; %bb.224:
	s_or_b64 exec, exec, s[4:5]
.LBB48_225:
	s_or_b64 exec, exec, s[12:13]
	v_mov_b32_e32 v114, 0
	ds_read_b32 v114, v114 offset:100
	s_waitcnt lgkmcnt(0)
	v_mul_f32_e32 v114, v115, v114
	buffer_store_dword v114, off, s[0:3], 0 offset:100
.LBB48_226:
	s_or_b64 exec, exec, s[8:9]
	buffer_load_dword v114, off, s[0:3], 0 offset:96
	v_cmp_lt_u32_e64 s[4:5], 24, v0
	s_waitcnt vmcnt(0)
	ds_write_b32 v100, v114
	s_waitcnt lgkmcnt(0)
	; wave barrier
	s_waitcnt lgkmcnt(0)
	s_and_saveexec_b64 s[8:9], s[4:5]
	s_cbranch_execz .LBB48_236
; %bb.227:
	s_andn2_b64 vcc, exec, s[10:11]
	s_cbranch_vccnz .LBB48_229
; %bb.228:
	buffer_load_dword v114, v101, s[0:3], 0 offen
	ds_read_b32 v115, v100
	s_waitcnt vmcnt(0) lgkmcnt(0)
	v_mul_f32_e32 v114, v114, v115
	s_cbranch_execz .LBB48_230
	s_branch .LBB48_231
.LBB48_229:
                                        ; implicit-def: $vgpr114
.LBB48_230:
	ds_read_b32 v114, v100
.LBB48_231:
	s_and_saveexec_b64 s[12:13], s[6:7]
	s_cbranch_execz .LBB48_235
; %bb.232:
	v_mov_b32_e32 v115, 0
	v_add_u32_e32 v115, 0x64, v115
	v_subrev_u32_e32 v116, 25, v0
	s_movk_i32 s14, 0x134
	s_mov_b64 s[6:7], 0
.LBB48_233:                             ; =>This Inner Loop Header: Depth=1
	buffer_load_dword v117, v115, s[0:3], 0 offen
	v_mov_b32_e32 v118, s14
	ds_read_b32 v118, v118
	v_add_u32_e32 v116, -1, v116
	s_add_i32 s14, s14, 4
	v_cmp_eq_u32_e32 vcc, 0, v116
	v_add_u32_e32 v115, 4, v115
	s_or_b64 s[6:7], vcc, s[6:7]
	s_waitcnt vmcnt(0) lgkmcnt(0)
	v_fmac_f32_e32 v114, v117, v118
	s_andn2_b64 exec, exec, s[6:7]
	s_cbranch_execnz .LBB48_233
; %bb.234:
	s_or_b64 exec, exec, s[6:7]
.LBB48_235:
	s_or_b64 exec, exec, s[12:13]
	v_mov_b32_e32 v115, 0
	ds_read_b32 v115, v115 offset:96
	s_waitcnt lgkmcnt(0)
	v_mul_f32_e32 v114, v114, v115
	buffer_store_dword v114, off, s[0:3], 0 offset:96
.LBB48_236:
	s_or_b64 exec, exec, s[8:9]
	buffer_load_dword v114, off, s[0:3], 0 offset:92
	v_cmp_lt_u32_e64 s[6:7], 23, v0
	s_waitcnt vmcnt(0)
	ds_write_b32 v100, v114
	s_waitcnt lgkmcnt(0)
	; wave barrier
	s_waitcnt lgkmcnt(0)
	s_and_saveexec_b64 s[8:9], s[6:7]
	s_cbranch_execz .LBB48_246
; %bb.237:
	s_andn2_b64 vcc, exec, s[10:11]
	s_cbranch_vccnz .LBB48_239
; %bb.238:
	buffer_load_dword v114, v101, s[0:3], 0 offen
	ds_read_b32 v115, v100
	s_waitcnt vmcnt(0) lgkmcnt(0)
	v_mul_f32_e32 v114, v114, v115
	s_cbranch_execz .LBB48_240
	s_branch .LBB48_241
.LBB48_239:
                                        ; implicit-def: $vgpr114
.LBB48_240:
	ds_read_b32 v114, v100
.LBB48_241:
	s_and_saveexec_b64 s[12:13], s[4:5]
	s_cbranch_execz .LBB48_245
; %bb.242:
	v_subrev_u32_e32 v115, 24, v0
	s_movk_i32 s14, 0x130
	s_mov_b64 s[4:5], 0
.LBB48_243:                             ; =>This Inner Loop Header: Depth=1
	buffer_load_dword v116, v113, s[0:3], 0 offen
	v_mov_b32_e32 v117, s14
	ds_read_b32 v117, v117
	v_add_u32_e32 v115, -1, v115
	s_add_i32 s14, s14, 4
	v_cmp_eq_u32_e32 vcc, 0, v115
	v_add_u32_e32 v113, 4, v113
	s_or_b64 s[4:5], vcc, s[4:5]
	s_waitcnt vmcnt(0) lgkmcnt(0)
	v_fmac_f32_e32 v114, v116, v117
	s_andn2_b64 exec, exec, s[4:5]
	s_cbranch_execnz .LBB48_243
; %bb.244:
	s_or_b64 exec, exec, s[4:5]
.LBB48_245:
	s_or_b64 exec, exec, s[12:13]
	v_mov_b32_e32 v113, 0
	ds_read_b32 v113, v113 offset:92
	s_waitcnt lgkmcnt(0)
	v_mul_f32_e32 v113, v114, v113
	buffer_store_dword v113, off, s[0:3], 0 offset:92
.LBB48_246:
	s_or_b64 exec, exec, s[8:9]
	buffer_load_dword v113, off, s[0:3], 0 offset:88
	v_cmp_lt_u32_e64 s[4:5], 22, v0
	s_waitcnt vmcnt(0)
	ds_write_b32 v100, v113
	s_waitcnt lgkmcnt(0)
	; wave barrier
	s_waitcnt lgkmcnt(0)
	s_and_saveexec_b64 s[8:9], s[4:5]
	s_cbranch_execz .LBB48_256
; %bb.247:
	s_andn2_b64 vcc, exec, s[10:11]
	s_cbranch_vccnz .LBB48_249
; %bb.248:
	buffer_load_dword v113, v101, s[0:3], 0 offen
	ds_read_b32 v114, v100
	s_waitcnt vmcnt(0) lgkmcnt(0)
	v_mul_f32_e32 v113, v113, v114
	s_cbranch_execz .LBB48_250
	s_branch .LBB48_251
.LBB48_249:
                                        ; implicit-def: $vgpr113
.LBB48_250:
	ds_read_b32 v113, v100
.LBB48_251:
	s_and_saveexec_b64 s[12:13], s[6:7]
	s_cbranch_execz .LBB48_255
; %bb.252:
	v_mov_b32_e32 v114, 0
	v_add_u32_e32 v114, 0x5c, v114
	v_subrev_u32_e32 v115, 23, v0
	s_movk_i32 s14, 0x12c
	s_mov_b64 s[6:7], 0
.LBB48_253:                             ; =>This Inner Loop Header: Depth=1
	buffer_load_dword v116, v114, s[0:3], 0 offen
	v_mov_b32_e32 v117, s14
	ds_read_b32 v117, v117
	v_add_u32_e32 v115, -1, v115
	s_add_i32 s14, s14, 4
	v_cmp_eq_u32_e32 vcc, 0, v115
	v_add_u32_e32 v114, 4, v114
	s_or_b64 s[6:7], vcc, s[6:7]
	s_waitcnt vmcnt(0) lgkmcnt(0)
	v_fmac_f32_e32 v113, v116, v117
	s_andn2_b64 exec, exec, s[6:7]
	s_cbranch_execnz .LBB48_253
; %bb.254:
	s_or_b64 exec, exec, s[6:7]
.LBB48_255:
	s_or_b64 exec, exec, s[12:13]
	v_mov_b32_e32 v114, 0
	ds_read_b32 v114, v114 offset:88
	s_waitcnt lgkmcnt(0)
	v_mul_f32_e32 v113, v113, v114
	buffer_store_dword v113, off, s[0:3], 0 offset:88
.LBB48_256:
	s_or_b64 exec, exec, s[8:9]
	buffer_load_dword v113, off, s[0:3], 0 offset:84
	v_cmp_lt_u32_e64 s[6:7], 21, v0
	s_waitcnt vmcnt(0)
	ds_write_b32 v100, v113
	s_waitcnt lgkmcnt(0)
	; wave barrier
	s_waitcnt lgkmcnt(0)
	s_and_saveexec_b64 s[8:9], s[6:7]
	s_cbranch_execz .LBB48_266
; %bb.257:
	s_andn2_b64 vcc, exec, s[10:11]
	s_cbranch_vccnz .LBB48_259
; %bb.258:
	buffer_load_dword v113, v101, s[0:3], 0 offen
	ds_read_b32 v114, v100
	s_waitcnt vmcnt(0) lgkmcnt(0)
	v_mul_f32_e32 v113, v113, v114
	s_cbranch_execz .LBB48_260
	s_branch .LBB48_261
.LBB48_259:
                                        ; implicit-def: $vgpr113
.LBB48_260:
	ds_read_b32 v113, v100
.LBB48_261:
	s_and_saveexec_b64 s[12:13], s[4:5]
	s_cbranch_execz .LBB48_265
; %bb.262:
	v_subrev_u32_e32 v114, 22, v0
	s_movk_i32 s14, 0x128
	s_mov_b64 s[4:5], 0
.LBB48_263:                             ; =>This Inner Loop Header: Depth=1
	buffer_load_dword v115, v112, s[0:3], 0 offen
	v_mov_b32_e32 v116, s14
	ds_read_b32 v116, v116
	v_add_u32_e32 v114, -1, v114
	s_add_i32 s14, s14, 4
	v_cmp_eq_u32_e32 vcc, 0, v114
	v_add_u32_e32 v112, 4, v112
	s_or_b64 s[4:5], vcc, s[4:5]
	s_waitcnt vmcnt(0) lgkmcnt(0)
	v_fmac_f32_e32 v113, v115, v116
	s_andn2_b64 exec, exec, s[4:5]
	s_cbranch_execnz .LBB48_263
; %bb.264:
	s_or_b64 exec, exec, s[4:5]
.LBB48_265:
	s_or_b64 exec, exec, s[12:13]
	v_mov_b32_e32 v112, 0
	ds_read_b32 v112, v112 offset:84
	s_waitcnt lgkmcnt(0)
	v_mul_f32_e32 v112, v113, v112
	buffer_store_dword v112, off, s[0:3], 0 offset:84
.LBB48_266:
	s_or_b64 exec, exec, s[8:9]
	buffer_load_dword v112, off, s[0:3], 0 offset:80
	v_cmp_lt_u32_e64 s[4:5], 20, v0
	s_waitcnt vmcnt(0)
	ds_write_b32 v100, v112
	s_waitcnt lgkmcnt(0)
	; wave barrier
	s_waitcnt lgkmcnt(0)
	s_and_saveexec_b64 s[8:9], s[4:5]
	s_cbranch_execz .LBB48_276
; %bb.267:
	s_andn2_b64 vcc, exec, s[10:11]
	s_cbranch_vccnz .LBB48_269
; %bb.268:
	buffer_load_dword v112, v101, s[0:3], 0 offen
	ds_read_b32 v113, v100
	s_waitcnt vmcnt(0) lgkmcnt(0)
	v_mul_f32_e32 v112, v112, v113
	s_cbranch_execz .LBB48_270
	s_branch .LBB48_271
.LBB48_269:
                                        ; implicit-def: $vgpr112
.LBB48_270:
	ds_read_b32 v112, v100
.LBB48_271:
	s_and_saveexec_b64 s[12:13], s[6:7]
	s_cbranch_execz .LBB48_275
; %bb.272:
	v_mov_b32_e32 v113, 0
	v_add_u32_e32 v113, 0x54, v113
	v_subrev_u32_e32 v114, 21, v0
	s_movk_i32 s14, 0x124
	s_mov_b64 s[6:7], 0
.LBB48_273:                             ; =>This Inner Loop Header: Depth=1
	buffer_load_dword v115, v113, s[0:3], 0 offen
	v_mov_b32_e32 v116, s14
	ds_read_b32 v116, v116
	v_add_u32_e32 v114, -1, v114
	s_add_i32 s14, s14, 4
	v_cmp_eq_u32_e32 vcc, 0, v114
	v_add_u32_e32 v113, 4, v113
	s_or_b64 s[6:7], vcc, s[6:7]
	s_waitcnt vmcnt(0) lgkmcnt(0)
	v_fmac_f32_e32 v112, v115, v116
	s_andn2_b64 exec, exec, s[6:7]
	s_cbranch_execnz .LBB48_273
; %bb.274:
	s_or_b64 exec, exec, s[6:7]
.LBB48_275:
	s_or_b64 exec, exec, s[12:13]
	v_mov_b32_e32 v113, 0
	ds_read_b32 v113, v113 offset:80
	s_waitcnt lgkmcnt(0)
	v_mul_f32_e32 v112, v112, v113
	buffer_store_dword v112, off, s[0:3], 0 offset:80
.LBB48_276:
	s_or_b64 exec, exec, s[8:9]
	buffer_load_dword v112, off, s[0:3], 0 offset:76
	v_cmp_lt_u32_e64 s[6:7], 19, v0
	s_waitcnt vmcnt(0)
	ds_write_b32 v100, v112
	s_waitcnt lgkmcnt(0)
	; wave barrier
	s_waitcnt lgkmcnt(0)
	s_and_saveexec_b64 s[8:9], s[6:7]
	s_cbranch_execz .LBB48_286
; %bb.277:
	s_andn2_b64 vcc, exec, s[10:11]
	s_cbranch_vccnz .LBB48_279
; %bb.278:
	buffer_load_dword v112, v101, s[0:3], 0 offen
	ds_read_b32 v113, v100
	s_waitcnt vmcnt(0) lgkmcnt(0)
	v_mul_f32_e32 v112, v112, v113
	s_cbranch_execz .LBB48_280
	s_branch .LBB48_281
.LBB48_279:
                                        ; implicit-def: $vgpr112
.LBB48_280:
	ds_read_b32 v112, v100
.LBB48_281:
	s_and_saveexec_b64 s[12:13], s[4:5]
	s_cbranch_execz .LBB48_285
; %bb.282:
	v_subrev_u32_e32 v113, 20, v0
	s_movk_i32 s14, 0x120
	s_mov_b64 s[4:5], 0
.LBB48_283:                             ; =>This Inner Loop Header: Depth=1
	buffer_load_dword v114, v111, s[0:3], 0 offen
	v_mov_b32_e32 v115, s14
	ds_read_b32 v115, v115
	v_add_u32_e32 v113, -1, v113
	s_add_i32 s14, s14, 4
	v_cmp_eq_u32_e32 vcc, 0, v113
	v_add_u32_e32 v111, 4, v111
	s_or_b64 s[4:5], vcc, s[4:5]
	s_waitcnt vmcnt(0) lgkmcnt(0)
	v_fmac_f32_e32 v112, v114, v115
	s_andn2_b64 exec, exec, s[4:5]
	s_cbranch_execnz .LBB48_283
; %bb.284:
	s_or_b64 exec, exec, s[4:5]
.LBB48_285:
	s_or_b64 exec, exec, s[12:13]
	v_mov_b32_e32 v111, 0
	ds_read_b32 v111, v111 offset:76
	s_waitcnt lgkmcnt(0)
	v_mul_f32_e32 v111, v112, v111
	buffer_store_dword v111, off, s[0:3], 0 offset:76
.LBB48_286:
	s_or_b64 exec, exec, s[8:9]
	buffer_load_dword v111, off, s[0:3], 0 offset:72
	v_cmp_lt_u32_e64 s[4:5], 18, v0
	s_waitcnt vmcnt(0)
	ds_write_b32 v100, v111
	s_waitcnt lgkmcnt(0)
	; wave barrier
	s_waitcnt lgkmcnt(0)
	s_and_saveexec_b64 s[8:9], s[4:5]
	s_cbranch_execz .LBB48_296
; %bb.287:
	s_andn2_b64 vcc, exec, s[10:11]
	s_cbranch_vccnz .LBB48_289
; %bb.288:
	buffer_load_dword v111, v101, s[0:3], 0 offen
	ds_read_b32 v112, v100
	s_waitcnt vmcnt(0) lgkmcnt(0)
	v_mul_f32_e32 v111, v111, v112
	s_cbranch_execz .LBB48_290
	s_branch .LBB48_291
.LBB48_289:
                                        ; implicit-def: $vgpr111
.LBB48_290:
	ds_read_b32 v111, v100
.LBB48_291:
	s_and_saveexec_b64 s[12:13], s[6:7]
	s_cbranch_execz .LBB48_295
; %bb.292:
	v_mov_b32_e32 v112, 0
	v_add_u32_e32 v112, 0x4c, v112
	v_subrev_u32_e32 v113, 19, v0
	s_movk_i32 s14, 0x11c
	s_mov_b64 s[6:7], 0
.LBB48_293:                             ; =>This Inner Loop Header: Depth=1
	buffer_load_dword v114, v112, s[0:3], 0 offen
	v_mov_b32_e32 v115, s14
	ds_read_b32 v115, v115
	v_add_u32_e32 v113, -1, v113
	s_add_i32 s14, s14, 4
	v_cmp_eq_u32_e32 vcc, 0, v113
	v_add_u32_e32 v112, 4, v112
	s_or_b64 s[6:7], vcc, s[6:7]
	s_waitcnt vmcnt(0) lgkmcnt(0)
	v_fmac_f32_e32 v111, v114, v115
	s_andn2_b64 exec, exec, s[6:7]
	s_cbranch_execnz .LBB48_293
; %bb.294:
	s_or_b64 exec, exec, s[6:7]
.LBB48_295:
	s_or_b64 exec, exec, s[12:13]
	v_mov_b32_e32 v112, 0
	ds_read_b32 v112, v112 offset:72
	s_waitcnt lgkmcnt(0)
	v_mul_f32_e32 v111, v111, v112
	buffer_store_dword v111, off, s[0:3], 0 offset:72
.LBB48_296:
	s_or_b64 exec, exec, s[8:9]
	buffer_load_dword v111, off, s[0:3], 0 offset:68
	v_cmp_lt_u32_e64 s[6:7], 17, v0
	s_waitcnt vmcnt(0)
	ds_write_b32 v100, v111
	s_waitcnt lgkmcnt(0)
	; wave barrier
	s_waitcnt lgkmcnt(0)
	s_and_saveexec_b64 s[8:9], s[6:7]
	s_cbranch_execz .LBB48_306
; %bb.297:
	s_andn2_b64 vcc, exec, s[10:11]
	s_cbranch_vccnz .LBB48_299
; %bb.298:
	buffer_load_dword v111, v101, s[0:3], 0 offen
	ds_read_b32 v112, v100
	s_waitcnt vmcnt(0) lgkmcnt(0)
	v_mul_f32_e32 v111, v111, v112
	s_cbranch_execz .LBB48_300
	s_branch .LBB48_301
.LBB48_299:
                                        ; implicit-def: $vgpr111
.LBB48_300:
	ds_read_b32 v111, v100
.LBB48_301:
	s_and_saveexec_b64 s[12:13], s[4:5]
	s_cbranch_execz .LBB48_305
; %bb.302:
	v_subrev_u32_e32 v112, 18, v0
	s_movk_i32 s14, 0x118
	s_mov_b64 s[4:5], 0
.LBB48_303:                             ; =>This Inner Loop Header: Depth=1
	buffer_load_dword v113, v110, s[0:3], 0 offen
	v_mov_b32_e32 v114, s14
	ds_read_b32 v114, v114
	v_add_u32_e32 v112, -1, v112
	s_add_i32 s14, s14, 4
	v_cmp_eq_u32_e32 vcc, 0, v112
	v_add_u32_e32 v110, 4, v110
	s_or_b64 s[4:5], vcc, s[4:5]
	s_waitcnt vmcnt(0) lgkmcnt(0)
	v_fmac_f32_e32 v111, v113, v114
	s_andn2_b64 exec, exec, s[4:5]
	s_cbranch_execnz .LBB48_303
; %bb.304:
	s_or_b64 exec, exec, s[4:5]
.LBB48_305:
	s_or_b64 exec, exec, s[12:13]
	v_mov_b32_e32 v110, 0
	ds_read_b32 v110, v110 offset:68
	s_waitcnt lgkmcnt(0)
	v_mul_f32_e32 v110, v111, v110
	buffer_store_dword v110, off, s[0:3], 0 offset:68
.LBB48_306:
	s_or_b64 exec, exec, s[8:9]
	buffer_load_dword v110, off, s[0:3], 0 offset:64
	v_cmp_lt_u32_e64 s[4:5], 16, v0
	s_waitcnt vmcnt(0)
	ds_write_b32 v100, v110
	s_waitcnt lgkmcnt(0)
	; wave barrier
	s_waitcnt lgkmcnt(0)
	s_and_saveexec_b64 s[8:9], s[4:5]
	s_cbranch_execz .LBB48_316
; %bb.307:
	s_andn2_b64 vcc, exec, s[10:11]
	s_cbranch_vccnz .LBB48_309
; %bb.308:
	buffer_load_dword v110, v101, s[0:3], 0 offen
	ds_read_b32 v111, v100
	s_waitcnt vmcnt(0) lgkmcnt(0)
	v_mul_f32_e32 v110, v110, v111
	s_cbranch_execz .LBB48_310
	s_branch .LBB48_311
.LBB48_309:
                                        ; implicit-def: $vgpr110
.LBB48_310:
	ds_read_b32 v110, v100
.LBB48_311:
	s_and_saveexec_b64 s[12:13], s[6:7]
	s_cbranch_execz .LBB48_315
; %bb.312:
	v_mov_b32_e32 v111, 0
	v_add_u32_e32 v111, 0x44, v111
	v_subrev_u32_e32 v112, 17, v0
	s_movk_i32 s14, 0x114
	s_mov_b64 s[6:7], 0
.LBB48_313:                             ; =>This Inner Loop Header: Depth=1
	buffer_load_dword v113, v111, s[0:3], 0 offen
	v_mov_b32_e32 v114, s14
	ds_read_b32 v114, v114
	v_add_u32_e32 v112, -1, v112
	s_add_i32 s14, s14, 4
	v_cmp_eq_u32_e32 vcc, 0, v112
	v_add_u32_e32 v111, 4, v111
	s_or_b64 s[6:7], vcc, s[6:7]
	s_waitcnt vmcnt(0) lgkmcnt(0)
	v_fmac_f32_e32 v110, v113, v114
	s_andn2_b64 exec, exec, s[6:7]
	s_cbranch_execnz .LBB48_313
; %bb.314:
	s_or_b64 exec, exec, s[6:7]
.LBB48_315:
	s_or_b64 exec, exec, s[12:13]
	v_mov_b32_e32 v111, 0
	ds_read_b32 v111, v111 offset:64
	s_waitcnt lgkmcnt(0)
	v_mul_f32_e32 v110, v110, v111
	buffer_store_dword v110, off, s[0:3], 0 offset:64
.LBB48_316:
	s_or_b64 exec, exec, s[8:9]
	buffer_load_dword v110, off, s[0:3], 0 offset:60
	v_cmp_lt_u32_e64 s[6:7], 15, v0
	s_waitcnt vmcnt(0)
	ds_write_b32 v100, v110
	s_waitcnt lgkmcnt(0)
	; wave barrier
	s_waitcnt lgkmcnt(0)
	s_and_saveexec_b64 s[8:9], s[6:7]
	s_cbranch_execz .LBB48_326
; %bb.317:
	s_andn2_b64 vcc, exec, s[10:11]
	s_cbranch_vccnz .LBB48_319
; %bb.318:
	buffer_load_dword v110, v101, s[0:3], 0 offen
	ds_read_b32 v111, v100
	s_waitcnt vmcnt(0) lgkmcnt(0)
	v_mul_f32_e32 v110, v110, v111
	s_cbranch_execz .LBB48_320
	s_branch .LBB48_321
.LBB48_319:
                                        ; implicit-def: $vgpr110
.LBB48_320:
	ds_read_b32 v110, v100
.LBB48_321:
	s_and_saveexec_b64 s[12:13], s[4:5]
	s_cbranch_execz .LBB48_325
; %bb.322:
	v_add_u32_e32 v111, -16, v0
	s_movk_i32 s14, 0x110
	s_mov_b64 s[4:5], 0
.LBB48_323:                             ; =>This Inner Loop Header: Depth=1
	buffer_load_dword v112, v109, s[0:3], 0 offen
	v_mov_b32_e32 v113, s14
	ds_read_b32 v113, v113
	v_add_u32_e32 v111, -1, v111
	s_add_i32 s14, s14, 4
	v_cmp_eq_u32_e32 vcc, 0, v111
	v_add_u32_e32 v109, 4, v109
	s_or_b64 s[4:5], vcc, s[4:5]
	s_waitcnt vmcnt(0) lgkmcnt(0)
	v_fmac_f32_e32 v110, v112, v113
	s_andn2_b64 exec, exec, s[4:5]
	s_cbranch_execnz .LBB48_323
; %bb.324:
	s_or_b64 exec, exec, s[4:5]
.LBB48_325:
	s_or_b64 exec, exec, s[12:13]
	v_mov_b32_e32 v109, 0
	ds_read_b32 v109, v109 offset:60
	s_waitcnt lgkmcnt(0)
	v_mul_f32_e32 v109, v110, v109
	buffer_store_dword v109, off, s[0:3], 0 offset:60
.LBB48_326:
	s_or_b64 exec, exec, s[8:9]
	buffer_load_dword v109, off, s[0:3], 0 offset:56
	v_cmp_lt_u32_e64 s[4:5], 14, v0
	s_waitcnt vmcnt(0)
	ds_write_b32 v100, v109
	s_waitcnt lgkmcnt(0)
	; wave barrier
	s_waitcnt lgkmcnt(0)
	s_and_saveexec_b64 s[8:9], s[4:5]
	s_cbranch_execz .LBB48_336
; %bb.327:
	s_andn2_b64 vcc, exec, s[10:11]
	s_cbranch_vccnz .LBB48_329
; %bb.328:
	buffer_load_dword v109, v101, s[0:3], 0 offen
	ds_read_b32 v110, v100
	s_waitcnt vmcnt(0) lgkmcnt(0)
	v_mul_f32_e32 v109, v109, v110
	s_cbranch_execz .LBB48_330
	s_branch .LBB48_331
.LBB48_329:
                                        ; implicit-def: $vgpr109
.LBB48_330:
	ds_read_b32 v109, v100
.LBB48_331:
	s_and_saveexec_b64 s[12:13], s[6:7]
	s_cbranch_execz .LBB48_335
; %bb.332:
	v_mov_b32_e32 v110, 0
	v_add_u32_e32 v110, 60, v110
	v_add_u32_e32 v111, -15, v0
	s_movk_i32 s14, 0x10c
	s_mov_b64 s[6:7], 0
.LBB48_333:                             ; =>This Inner Loop Header: Depth=1
	buffer_load_dword v112, v110, s[0:3], 0 offen
	v_mov_b32_e32 v113, s14
	ds_read_b32 v113, v113
	v_add_u32_e32 v111, -1, v111
	s_add_i32 s14, s14, 4
	v_cmp_eq_u32_e32 vcc, 0, v111
	v_add_u32_e32 v110, 4, v110
	s_or_b64 s[6:7], vcc, s[6:7]
	s_waitcnt vmcnt(0) lgkmcnt(0)
	v_fmac_f32_e32 v109, v112, v113
	s_andn2_b64 exec, exec, s[6:7]
	s_cbranch_execnz .LBB48_333
; %bb.334:
	s_or_b64 exec, exec, s[6:7]
.LBB48_335:
	s_or_b64 exec, exec, s[12:13]
	v_mov_b32_e32 v110, 0
	ds_read_b32 v110, v110 offset:56
	s_waitcnt lgkmcnt(0)
	v_mul_f32_e32 v109, v109, v110
	buffer_store_dword v109, off, s[0:3], 0 offset:56
.LBB48_336:
	s_or_b64 exec, exec, s[8:9]
	buffer_load_dword v109, off, s[0:3], 0 offset:52
	v_cmp_lt_u32_e64 s[6:7], 13, v0
	s_waitcnt vmcnt(0)
	ds_write_b32 v100, v109
	s_waitcnt lgkmcnt(0)
	; wave barrier
	s_waitcnt lgkmcnt(0)
	s_and_saveexec_b64 s[8:9], s[6:7]
	s_cbranch_execz .LBB48_346
; %bb.337:
	s_andn2_b64 vcc, exec, s[10:11]
	s_cbranch_vccnz .LBB48_339
; %bb.338:
	buffer_load_dword v109, v101, s[0:3], 0 offen
	ds_read_b32 v110, v100
	s_waitcnt vmcnt(0) lgkmcnt(0)
	v_mul_f32_e32 v109, v109, v110
	s_cbranch_execz .LBB48_340
	s_branch .LBB48_341
.LBB48_339:
                                        ; implicit-def: $vgpr109
.LBB48_340:
	ds_read_b32 v109, v100
.LBB48_341:
	s_and_saveexec_b64 s[12:13], s[4:5]
	s_cbranch_execz .LBB48_345
; %bb.342:
	v_add_u32_e32 v110, -14, v0
	s_movk_i32 s14, 0x108
	s_mov_b64 s[4:5], 0
.LBB48_343:                             ; =>This Inner Loop Header: Depth=1
	buffer_load_dword v111, v108, s[0:3], 0 offen
	v_mov_b32_e32 v112, s14
	ds_read_b32 v112, v112
	v_add_u32_e32 v110, -1, v110
	s_add_i32 s14, s14, 4
	v_cmp_eq_u32_e32 vcc, 0, v110
	v_add_u32_e32 v108, 4, v108
	s_or_b64 s[4:5], vcc, s[4:5]
	s_waitcnt vmcnt(0) lgkmcnt(0)
	v_fmac_f32_e32 v109, v111, v112
	s_andn2_b64 exec, exec, s[4:5]
	s_cbranch_execnz .LBB48_343
; %bb.344:
	s_or_b64 exec, exec, s[4:5]
.LBB48_345:
	s_or_b64 exec, exec, s[12:13]
	v_mov_b32_e32 v108, 0
	ds_read_b32 v108, v108 offset:52
	s_waitcnt lgkmcnt(0)
	v_mul_f32_e32 v108, v109, v108
	buffer_store_dword v108, off, s[0:3], 0 offset:52
.LBB48_346:
	s_or_b64 exec, exec, s[8:9]
	buffer_load_dword v108, off, s[0:3], 0 offset:48
	v_cmp_lt_u32_e64 s[4:5], 12, v0
	s_waitcnt vmcnt(0)
	ds_write_b32 v100, v108
	s_waitcnt lgkmcnt(0)
	; wave barrier
	s_waitcnt lgkmcnt(0)
	s_and_saveexec_b64 s[8:9], s[4:5]
	s_cbranch_execz .LBB48_356
; %bb.347:
	s_andn2_b64 vcc, exec, s[10:11]
	s_cbranch_vccnz .LBB48_349
; %bb.348:
	buffer_load_dword v108, v101, s[0:3], 0 offen
	ds_read_b32 v109, v100
	s_waitcnt vmcnt(0) lgkmcnt(0)
	v_mul_f32_e32 v108, v108, v109
	s_cbranch_execz .LBB48_350
	s_branch .LBB48_351
.LBB48_349:
                                        ; implicit-def: $vgpr108
.LBB48_350:
	ds_read_b32 v108, v100
.LBB48_351:
	s_and_saveexec_b64 s[12:13], s[6:7]
	s_cbranch_execz .LBB48_355
; %bb.352:
	v_mov_b32_e32 v109, 0
	v_add_u32_e32 v109, 52, v109
	v_add_u32_e32 v110, -13, v0
	s_movk_i32 s14, 0x104
	s_mov_b64 s[6:7], 0
.LBB48_353:                             ; =>This Inner Loop Header: Depth=1
	buffer_load_dword v111, v109, s[0:3], 0 offen
	v_mov_b32_e32 v112, s14
	ds_read_b32 v112, v112
	v_add_u32_e32 v110, -1, v110
	s_add_i32 s14, s14, 4
	v_cmp_eq_u32_e32 vcc, 0, v110
	v_add_u32_e32 v109, 4, v109
	s_or_b64 s[6:7], vcc, s[6:7]
	s_waitcnt vmcnt(0) lgkmcnt(0)
	v_fmac_f32_e32 v108, v111, v112
	s_andn2_b64 exec, exec, s[6:7]
	s_cbranch_execnz .LBB48_353
; %bb.354:
	s_or_b64 exec, exec, s[6:7]
.LBB48_355:
	s_or_b64 exec, exec, s[12:13]
	v_mov_b32_e32 v109, 0
	ds_read_b32 v109, v109 offset:48
	s_waitcnt lgkmcnt(0)
	v_mul_f32_e32 v108, v108, v109
	buffer_store_dword v108, off, s[0:3], 0 offset:48
.LBB48_356:
	s_or_b64 exec, exec, s[8:9]
	buffer_load_dword v108, off, s[0:3], 0 offset:44
	v_cmp_lt_u32_e64 s[6:7], 11, v0
	s_waitcnt vmcnt(0)
	ds_write_b32 v100, v108
	s_waitcnt lgkmcnt(0)
	; wave barrier
	s_waitcnt lgkmcnt(0)
	s_and_saveexec_b64 s[8:9], s[6:7]
	s_cbranch_execz .LBB48_366
; %bb.357:
	s_andn2_b64 vcc, exec, s[10:11]
	s_cbranch_vccnz .LBB48_359
; %bb.358:
	buffer_load_dword v108, v101, s[0:3], 0 offen
	ds_read_b32 v109, v100
	s_waitcnt vmcnt(0) lgkmcnt(0)
	v_mul_f32_e32 v108, v108, v109
	s_cbranch_execz .LBB48_360
	s_branch .LBB48_361
.LBB48_359:
                                        ; implicit-def: $vgpr108
.LBB48_360:
	ds_read_b32 v108, v100
.LBB48_361:
	s_and_saveexec_b64 s[12:13], s[4:5]
	s_cbranch_execz .LBB48_365
; %bb.362:
	v_add_u32_e32 v109, -12, v0
	s_movk_i32 s14, 0x100
	s_mov_b64 s[4:5], 0
.LBB48_363:                             ; =>This Inner Loop Header: Depth=1
	buffer_load_dword v110, v107, s[0:3], 0 offen
	v_mov_b32_e32 v111, s14
	ds_read_b32 v111, v111
	v_add_u32_e32 v109, -1, v109
	s_add_i32 s14, s14, 4
	v_cmp_eq_u32_e32 vcc, 0, v109
	v_add_u32_e32 v107, 4, v107
	s_or_b64 s[4:5], vcc, s[4:5]
	s_waitcnt vmcnt(0) lgkmcnt(0)
	v_fmac_f32_e32 v108, v110, v111
	s_andn2_b64 exec, exec, s[4:5]
	s_cbranch_execnz .LBB48_363
; %bb.364:
	s_or_b64 exec, exec, s[4:5]
.LBB48_365:
	s_or_b64 exec, exec, s[12:13]
	v_mov_b32_e32 v107, 0
	ds_read_b32 v107, v107 offset:44
	s_waitcnt lgkmcnt(0)
	v_mul_f32_e32 v107, v108, v107
	buffer_store_dword v107, off, s[0:3], 0 offset:44
.LBB48_366:
	s_or_b64 exec, exec, s[8:9]
	buffer_load_dword v107, off, s[0:3], 0 offset:40
	v_cmp_lt_u32_e64 s[4:5], 10, v0
	s_waitcnt vmcnt(0)
	ds_write_b32 v100, v107
	s_waitcnt lgkmcnt(0)
	; wave barrier
	s_waitcnt lgkmcnt(0)
	s_and_saveexec_b64 s[8:9], s[4:5]
	s_cbranch_execz .LBB48_376
; %bb.367:
	s_andn2_b64 vcc, exec, s[10:11]
	s_cbranch_vccnz .LBB48_369
; %bb.368:
	buffer_load_dword v107, v101, s[0:3], 0 offen
	ds_read_b32 v108, v100
	s_waitcnt vmcnt(0) lgkmcnt(0)
	v_mul_f32_e32 v107, v107, v108
	s_cbranch_execz .LBB48_370
	s_branch .LBB48_371
.LBB48_369:
                                        ; implicit-def: $vgpr107
.LBB48_370:
	ds_read_b32 v107, v100
.LBB48_371:
	s_and_saveexec_b64 s[12:13], s[6:7]
	s_cbranch_execz .LBB48_375
; %bb.372:
	v_mov_b32_e32 v108, 0
	v_add_u32_e32 v108, 44, v108
	v_add_u32_e32 v109, -11, v0
	s_movk_i32 s14, 0xfc
	s_mov_b64 s[6:7], 0
.LBB48_373:                             ; =>This Inner Loop Header: Depth=1
	buffer_load_dword v110, v108, s[0:3], 0 offen
	v_mov_b32_e32 v111, s14
	ds_read_b32 v111, v111
	v_add_u32_e32 v109, -1, v109
	s_add_i32 s14, s14, 4
	v_cmp_eq_u32_e32 vcc, 0, v109
	v_add_u32_e32 v108, 4, v108
	s_or_b64 s[6:7], vcc, s[6:7]
	s_waitcnt vmcnt(0) lgkmcnt(0)
	v_fmac_f32_e32 v107, v110, v111
	s_andn2_b64 exec, exec, s[6:7]
	s_cbranch_execnz .LBB48_373
; %bb.374:
	s_or_b64 exec, exec, s[6:7]
.LBB48_375:
	s_or_b64 exec, exec, s[12:13]
	v_mov_b32_e32 v108, 0
	ds_read_b32 v108, v108 offset:40
	s_waitcnt lgkmcnt(0)
	v_mul_f32_e32 v107, v107, v108
	buffer_store_dword v107, off, s[0:3], 0 offset:40
.LBB48_376:
	s_or_b64 exec, exec, s[8:9]
	buffer_load_dword v107, off, s[0:3], 0 offset:36
	v_cmp_lt_u32_e64 s[6:7], 9, v0
	s_waitcnt vmcnt(0)
	ds_write_b32 v100, v107
	s_waitcnt lgkmcnt(0)
	; wave barrier
	s_waitcnt lgkmcnt(0)
	s_and_saveexec_b64 s[8:9], s[6:7]
	s_cbranch_execz .LBB48_386
; %bb.377:
	s_andn2_b64 vcc, exec, s[10:11]
	s_cbranch_vccnz .LBB48_379
; %bb.378:
	buffer_load_dword v107, v101, s[0:3], 0 offen
	ds_read_b32 v108, v100
	s_waitcnt vmcnt(0) lgkmcnt(0)
	v_mul_f32_e32 v107, v107, v108
	s_cbranch_execz .LBB48_380
	s_branch .LBB48_381
.LBB48_379:
                                        ; implicit-def: $vgpr107
.LBB48_380:
	ds_read_b32 v107, v100
.LBB48_381:
	s_and_saveexec_b64 s[12:13], s[4:5]
	s_cbranch_execz .LBB48_385
; %bb.382:
	v_add_u32_e32 v108, -10, v0
	s_movk_i32 s14, 0xf8
	s_mov_b64 s[4:5], 0
.LBB48_383:                             ; =>This Inner Loop Header: Depth=1
	buffer_load_dword v109, v106, s[0:3], 0 offen
	v_mov_b32_e32 v110, s14
	ds_read_b32 v110, v110
	v_add_u32_e32 v108, -1, v108
	s_add_i32 s14, s14, 4
	v_cmp_eq_u32_e32 vcc, 0, v108
	v_add_u32_e32 v106, 4, v106
	s_or_b64 s[4:5], vcc, s[4:5]
	s_waitcnt vmcnt(0) lgkmcnt(0)
	v_fmac_f32_e32 v107, v109, v110
	s_andn2_b64 exec, exec, s[4:5]
	s_cbranch_execnz .LBB48_383
; %bb.384:
	s_or_b64 exec, exec, s[4:5]
.LBB48_385:
	s_or_b64 exec, exec, s[12:13]
	v_mov_b32_e32 v106, 0
	ds_read_b32 v106, v106 offset:36
	s_waitcnt lgkmcnt(0)
	v_mul_f32_e32 v106, v107, v106
	buffer_store_dword v106, off, s[0:3], 0 offset:36
.LBB48_386:
	s_or_b64 exec, exec, s[8:9]
	buffer_load_dword v106, off, s[0:3], 0 offset:32
	v_cmp_lt_u32_e64 s[4:5], 8, v0
	s_waitcnt vmcnt(0)
	ds_write_b32 v100, v106
	s_waitcnt lgkmcnt(0)
	; wave barrier
	s_waitcnt lgkmcnt(0)
	s_and_saveexec_b64 s[8:9], s[4:5]
	s_cbranch_execz .LBB48_396
; %bb.387:
	s_andn2_b64 vcc, exec, s[10:11]
	s_cbranch_vccnz .LBB48_389
; %bb.388:
	buffer_load_dword v106, v101, s[0:3], 0 offen
	ds_read_b32 v107, v100
	s_waitcnt vmcnt(0) lgkmcnt(0)
	v_mul_f32_e32 v106, v106, v107
	s_cbranch_execz .LBB48_390
	s_branch .LBB48_391
.LBB48_389:
                                        ; implicit-def: $vgpr106
.LBB48_390:
	ds_read_b32 v106, v100
.LBB48_391:
	s_and_saveexec_b64 s[12:13], s[6:7]
	s_cbranch_execz .LBB48_395
; %bb.392:
	v_mov_b32_e32 v107, 0
	v_add_u32_e32 v107, 36, v107
	v_add_u32_e32 v108, -9, v0
	s_movk_i32 s14, 0xf4
	s_mov_b64 s[6:7], 0
.LBB48_393:                             ; =>This Inner Loop Header: Depth=1
	buffer_load_dword v109, v107, s[0:3], 0 offen
	v_mov_b32_e32 v110, s14
	ds_read_b32 v110, v110
	v_add_u32_e32 v108, -1, v108
	s_add_i32 s14, s14, 4
	v_cmp_eq_u32_e32 vcc, 0, v108
	v_add_u32_e32 v107, 4, v107
	s_or_b64 s[6:7], vcc, s[6:7]
	s_waitcnt vmcnt(0) lgkmcnt(0)
	v_fmac_f32_e32 v106, v109, v110
	s_andn2_b64 exec, exec, s[6:7]
	s_cbranch_execnz .LBB48_393
; %bb.394:
	s_or_b64 exec, exec, s[6:7]
.LBB48_395:
	s_or_b64 exec, exec, s[12:13]
	v_mov_b32_e32 v107, 0
	ds_read_b32 v107, v107 offset:32
	s_waitcnt lgkmcnt(0)
	v_mul_f32_e32 v106, v106, v107
	buffer_store_dword v106, off, s[0:3], 0 offset:32
.LBB48_396:
	s_or_b64 exec, exec, s[8:9]
	buffer_load_dword v106, off, s[0:3], 0 offset:28
	v_cmp_lt_u32_e64 s[6:7], 7, v0
	s_waitcnt vmcnt(0)
	ds_write_b32 v100, v106
	s_waitcnt lgkmcnt(0)
	; wave barrier
	s_waitcnt lgkmcnt(0)
	s_and_saveexec_b64 s[8:9], s[6:7]
	s_cbranch_execz .LBB48_406
; %bb.397:
	s_andn2_b64 vcc, exec, s[10:11]
	s_cbranch_vccnz .LBB48_399
; %bb.398:
	buffer_load_dword v106, v101, s[0:3], 0 offen
	ds_read_b32 v107, v100
	s_waitcnt vmcnt(0) lgkmcnt(0)
	v_mul_f32_e32 v106, v106, v107
	s_cbranch_execz .LBB48_400
	s_branch .LBB48_401
.LBB48_399:
                                        ; implicit-def: $vgpr106
.LBB48_400:
	ds_read_b32 v106, v100
.LBB48_401:
	s_and_saveexec_b64 s[12:13], s[4:5]
	s_cbranch_execz .LBB48_405
; %bb.402:
	v_add_u32_e32 v107, -8, v0
	s_movk_i32 s14, 0xf0
	s_mov_b64 s[4:5], 0
.LBB48_403:                             ; =>This Inner Loop Header: Depth=1
	buffer_load_dword v108, v105, s[0:3], 0 offen
	v_mov_b32_e32 v109, s14
	ds_read_b32 v109, v109
	v_add_u32_e32 v107, -1, v107
	s_add_i32 s14, s14, 4
	v_cmp_eq_u32_e32 vcc, 0, v107
	v_add_u32_e32 v105, 4, v105
	s_or_b64 s[4:5], vcc, s[4:5]
	s_waitcnt vmcnt(0) lgkmcnt(0)
	v_fmac_f32_e32 v106, v108, v109
	s_andn2_b64 exec, exec, s[4:5]
	s_cbranch_execnz .LBB48_403
; %bb.404:
	s_or_b64 exec, exec, s[4:5]
.LBB48_405:
	s_or_b64 exec, exec, s[12:13]
	v_mov_b32_e32 v105, 0
	ds_read_b32 v105, v105 offset:28
	s_waitcnt lgkmcnt(0)
	v_mul_f32_e32 v105, v106, v105
	buffer_store_dword v105, off, s[0:3], 0 offset:28
.LBB48_406:
	s_or_b64 exec, exec, s[8:9]
	buffer_load_dword v105, off, s[0:3], 0 offset:24
	v_cmp_lt_u32_e64 s[4:5], 6, v0
	s_waitcnt vmcnt(0)
	ds_write_b32 v100, v105
	s_waitcnt lgkmcnt(0)
	; wave barrier
	s_waitcnt lgkmcnt(0)
	s_and_saveexec_b64 s[8:9], s[4:5]
	s_cbranch_execz .LBB48_416
; %bb.407:
	s_andn2_b64 vcc, exec, s[10:11]
	s_cbranch_vccnz .LBB48_409
; %bb.408:
	buffer_load_dword v105, v101, s[0:3], 0 offen
	ds_read_b32 v106, v100
	s_waitcnt vmcnt(0) lgkmcnt(0)
	v_mul_f32_e32 v105, v105, v106
	s_cbranch_execz .LBB48_410
	s_branch .LBB48_411
.LBB48_409:
                                        ; implicit-def: $vgpr105
.LBB48_410:
	ds_read_b32 v105, v100
.LBB48_411:
	s_and_saveexec_b64 s[12:13], s[6:7]
	s_cbranch_execz .LBB48_415
; %bb.412:
	v_mov_b32_e32 v106, 0
	v_add_u32_e32 v106, 28, v106
	v_add_u32_e32 v107, -7, v0
	s_movk_i32 s14, 0xec
	s_mov_b64 s[6:7], 0
.LBB48_413:                             ; =>This Inner Loop Header: Depth=1
	buffer_load_dword v108, v106, s[0:3], 0 offen
	v_mov_b32_e32 v109, s14
	ds_read_b32 v109, v109
	v_add_u32_e32 v107, -1, v107
	s_add_i32 s14, s14, 4
	v_cmp_eq_u32_e32 vcc, 0, v107
	v_add_u32_e32 v106, 4, v106
	s_or_b64 s[6:7], vcc, s[6:7]
	s_waitcnt vmcnt(0) lgkmcnt(0)
	v_fmac_f32_e32 v105, v108, v109
	s_andn2_b64 exec, exec, s[6:7]
	s_cbranch_execnz .LBB48_413
; %bb.414:
	s_or_b64 exec, exec, s[6:7]
.LBB48_415:
	s_or_b64 exec, exec, s[12:13]
	v_mov_b32_e32 v106, 0
	ds_read_b32 v106, v106 offset:24
	s_waitcnt lgkmcnt(0)
	v_mul_f32_e32 v105, v105, v106
	buffer_store_dword v105, off, s[0:3], 0 offset:24
.LBB48_416:
	s_or_b64 exec, exec, s[8:9]
	buffer_load_dword v105, off, s[0:3], 0 offset:20
	v_cmp_lt_u32_e64 s[6:7], 5, v0
	s_waitcnt vmcnt(0)
	ds_write_b32 v100, v105
	s_waitcnt lgkmcnt(0)
	; wave barrier
	s_waitcnt lgkmcnt(0)
	s_and_saveexec_b64 s[8:9], s[6:7]
	s_cbranch_execz .LBB48_426
; %bb.417:
	s_andn2_b64 vcc, exec, s[10:11]
	s_cbranch_vccnz .LBB48_419
; %bb.418:
	buffer_load_dword v105, v101, s[0:3], 0 offen
	ds_read_b32 v106, v100
	s_waitcnt vmcnt(0) lgkmcnt(0)
	v_mul_f32_e32 v105, v105, v106
	s_cbranch_execz .LBB48_420
	s_branch .LBB48_421
.LBB48_419:
                                        ; implicit-def: $vgpr105
.LBB48_420:
	ds_read_b32 v105, v100
.LBB48_421:
	s_and_saveexec_b64 s[12:13], s[4:5]
	s_cbranch_execz .LBB48_425
; %bb.422:
	v_add_u32_e32 v106, -6, v0
	s_movk_i32 s14, 0xe8
	s_mov_b64 s[4:5], 0
.LBB48_423:                             ; =>This Inner Loop Header: Depth=1
	buffer_load_dword v107, v104, s[0:3], 0 offen
	v_mov_b32_e32 v108, s14
	ds_read_b32 v108, v108
	v_add_u32_e32 v106, -1, v106
	s_add_i32 s14, s14, 4
	v_cmp_eq_u32_e32 vcc, 0, v106
	v_add_u32_e32 v104, 4, v104
	s_or_b64 s[4:5], vcc, s[4:5]
	s_waitcnt vmcnt(0) lgkmcnt(0)
	v_fmac_f32_e32 v105, v107, v108
	s_andn2_b64 exec, exec, s[4:5]
	s_cbranch_execnz .LBB48_423
; %bb.424:
	s_or_b64 exec, exec, s[4:5]
.LBB48_425:
	s_or_b64 exec, exec, s[12:13]
	v_mov_b32_e32 v104, 0
	ds_read_b32 v104, v104 offset:20
	s_waitcnt lgkmcnt(0)
	v_mul_f32_e32 v104, v105, v104
	buffer_store_dword v104, off, s[0:3], 0 offset:20
.LBB48_426:
	s_or_b64 exec, exec, s[8:9]
	buffer_load_dword v104, off, s[0:3], 0 offset:16
	v_cmp_lt_u32_e64 s[4:5], 4, v0
	s_waitcnt vmcnt(0)
	ds_write_b32 v100, v104
	s_waitcnt lgkmcnt(0)
	; wave barrier
	s_waitcnt lgkmcnt(0)
	s_and_saveexec_b64 s[8:9], s[4:5]
	s_cbranch_execz .LBB48_436
; %bb.427:
	s_andn2_b64 vcc, exec, s[10:11]
	s_cbranch_vccnz .LBB48_429
; %bb.428:
	buffer_load_dword v104, v101, s[0:3], 0 offen
	ds_read_b32 v105, v100
	s_waitcnt vmcnt(0) lgkmcnt(0)
	v_mul_f32_e32 v104, v104, v105
	s_cbranch_execz .LBB48_430
	s_branch .LBB48_431
.LBB48_429:
                                        ; implicit-def: $vgpr104
.LBB48_430:
	ds_read_b32 v104, v100
.LBB48_431:
	s_and_saveexec_b64 s[12:13], s[6:7]
	s_cbranch_execz .LBB48_435
; %bb.432:
	v_mov_b32_e32 v105, 0
	v_add_u32_e32 v105, 20, v105
	v_add_u32_e32 v106, -5, v0
	s_movk_i32 s14, 0xe4
	s_mov_b64 s[6:7], 0
.LBB48_433:                             ; =>This Inner Loop Header: Depth=1
	buffer_load_dword v107, v105, s[0:3], 0 offen
	v_mov_b32_e32 v108, s14
	ds_read_b32 v108, v108
	v_add_u32_e32 v106, -1, v106
	s_add_i32 s14, s14, 4
	v_cmp_eq_u32_e32 vcc, 0, v106
	v_add_u32_e32 v105, 4, v105
	s_or_b64 s[6:7], vcc, s[6:7]
	s_waitcnt vmcnt(0) lgkmcnt(0)
	v_fmac_f32_e32 v104, v107, v108
	s_andn2_b64 exec, exec, s[6:7]
	s_cbranch_execnz .LBB48_433
; %bb.434:
	s_or_b64 exec, exec, s[6:7]
.LBB48_435:
	s_or_b64 exec, exec, s[12:13]
	v_mov_b32_e32 v105, 0
	ds_read_b32 v105, v105 offset:16
	s_waitcnt lgkmcnt(0)
	v_mul_f32_e32 v104, v104, v105
	buffer_store_dword v104, off, s[0:3], 0 offset:16
.LBB48_436:
	s_or_b64 exec, exec, s[8:9]
	buffer_load_dword v104, off, s[0:3], 0 offset:12
	v_cmp_lt_u32_e64 s[6:7], 3, v0
	s_waitcnt vmcnt(0)
	ds_write_b32 v100, v104
	s_waitcnt lgkmcnt(0)
	; wave barrier
	s_waitcnt lgkmcnt(0)
	s_and_saveexec_b64 s[8:9], s[6:7]
	s_cbranch_execz .LBB48_446
; %bb.437:
	s_andn2_b64 vcc, exec, s[10:11]
	s_cbranch_vccnz .LBB48_439
; %bb.438:
	buffer_load_dword v104, v101, s[0:3], 0 offen
	ds_read_b32 v105, v100
	s_waitcnt vmcnt(0) lgkmcnt(0)
	v_mul_f32_e32 v104, v104, v105
	s_cbranch_execz .LBB48_440
	s_branch .LBB48_441
.LBB48_439:
                                        ; implicit-def: $vgpr104
.LBB48_440:
	ds_read_b32 v104, v100
.LBB48_441:
	s_and_saveexec_b64 s[12:13], s[4:5]
	s_cbranch_execz .LBB48_445
; %bb.442:
	v_add_u32_e32 v105, -4, v0
	s_movk_i32 s14, 0xe0
	s_mov_b64 s[4:5], 0
.LBB48_443:                             ; =>This Inner Loop Header: Depth=1
	buffer_load_dword v106, v103, s[0:3], 0 offen
	v_mov_b32_e32 v107, s14
	ds_read_b32 v107, v107
	v_add_u32_e32 v105, -1, v105
	s_add_i32 s14, s14, 4
	v_cmp_eq_u32_e32 vcc, 0, v105
	v_add_u32_e32 v103, 4, v103
	s_or_b64 s[4:5], vcc, s[4:5]
	s_waitcnt vmcnt(0) lgkmcnt(0)
	v_fmac_f32_e32 v104, v106, v107
	s_andn2_b64 exec, exec, s[4:5]
	s_cbranch_execnz .LBB48_443
; %bb.444:
	s_or_b64 exec, exec, s[4:5]
.LBB48_445:
	s_or_b64 exec, exec, s[12:13]
	v_mov_b32_e32 v103, 0
	ds_read_b32 v103, v103 offset:12
	s_waitcnt lgkmcnt(0)
	v_mul_f32_e32 v103, v104, v103
	buffer_store_dword v103, off, s[0:3], 0 offset:12
.LBB48_446:
	s_or_b64 exec, exec, s[8:9]
	buffer_load_dword v103, off, s[0:3], 0 offset:8
	v_cmp_lt_u32_e64 s[4:5], 2, v0
	s_waitcnt vmcnt(0)
	ds_write_b32 v100, v103
	s_waitcnt lgkmcnt(0)
	; wave barrier
	s_waitcnt lgkmcnt(0)
	s_and_saveexec_b64 s[8:9], s[4:5]
	s_cbranch_execz .LBB48_456
; %bb.447:
	s_andn2_b64 vcc, exec, s[10:11]
	s_cbranch_vccnz .LBB48_449
; %bb.448:
	buffer_load_dword v103, v101, s[0:3], 0 offen
	ds_read_b32 v104, v100
	s_waitcnt vmcnt(0) lgkmcnt(0)
	v_mul_f32_e32 v103, v103, v104
	s_cbranch_execz .LBB48_450
	s_branch .LBB48_451
.LBB48_449:
                                        ; implicit-def: $vgpr103
.LBB48_450:
	ds_read_b32 v103, v100
.LBB48_451:
	s_and_saveexec_b64 s[12:13], s[6:7]
	s_cbranch_execz .LBB48_455
; %bb.452:
	v_mov_b32_e32 v104, 0
	v_or_b32_e32 v104, 12, v104
	v_add_u32_e32 v105, -3, v0
	s_movk_i32 s14, 0xdc
	s_mov_b64 s[6:7], 0
.LBB48_453:                             ; =>This Inner Loop Header: Depth=1
	buffer_load_dword v106, v104, s[0:3], 0 offen
	v_mov_b32_e32 v107, s14
	ds_read_b32 v107, v107
	v_add_u32_e32 v105, -1, v105
	s_add_i32 s14, s14, 4
	v_cmp_eq_u32_e32 vcc, 0, v105
	v_add_u32_e32 v104, 4, v104
	s_or_b64 s[6:7], vcc, s[6:7]
	s_waitcnt vmcnt(0) lgkmcnt(0)
	v_fmac_f32_e32 v103, v106, v107
	s_andn2_b64 exec, exec, s[6:7]
	s_cbranch_execnz .LBB48_453
; %bb.454:
	s_or_b64 exec, exec, s[6:7]
.LBB48_455:
	s_or_b64 exec, exec, s[12:13]
	v_mov_b32_e32 v104, 0
	ds_read_b32 v104, v104 offset:8
	s_waitcnt lgkmcnt(0)
	v_mul_f32_e32 v103, v103, v104
	buffer_store_dword v103, off, s[0:3], 0 offset:8
.LBB48_456:
	s_or_b64 exec, exec, s[8:9]
	buffer_load_dword v103, off, s[0:3], 0 offset:4
	v_cmp_lt_u32_e64 s[6:7], 1, v0
	s_waitcnt vmcnt(0)
	ds_write_b32 v100, v103
	s_waitcnt lgkmcnt(0)
	; wave barrier
	s_waitcnt lgkmcnt(0)
	s_and_saveexec_b64 s[8:9], s[6:7]
	s_cbranch_execz .LBB48_466
; %bb.457:
	s_andn2_b64 vcc, exec, s[10:11]
	s_cbranch_vccnz .LBB48_459
; %bb.458:
	buffer_load_dword v103, v101, s[0:3], 0 offen
	ds_read_b32 v104, v100
	s_waitcnt vmcnt(0) lgkmcnt(0)
	v_mul_f32_e32 v103, v103, v104
	s_cbranch_execz .LBB48_460
	s_branch .LBB48_461
.LBB48_459:
                                        ; implicit-def: $vgpr103
.LBB48_460:
	ds_read_b32 v103, v100
.LBB48_461:
	s_and_saveexec_b64 s[12:13], s[4:5]
	s_cbranch_execz .LBB48_465
; %bb.462:
	v_add_u32_e32 v104, -2, v0
	s_movk_i32 s14, 0xd8
	s_mov_b64 s[4:5], 0
.LBB48_463:                             ; =>This Inner Loop Header: Depth=1
	buffer_load_dword v105, v102, s[0:3], 0 offen
	v_mov_b32_e32 v106, s14
	ds_read_b32 v106, v106
	v_add_u32_e32 v104, -1, v104
	s_add_i32 s14, s14, 4
	v_cmp_eq_u32_e32 vcc, 0, v104
	v_add_u32_e32 v102, 4, v102
	s_or_b64 s[4:5], vcc, s[4:5]
	s_waitcnt vmcnt(0) lgkmcnt(0)
	v_fmac_f32_e32 v103, v105, v106
	s_andn2_b64 exec, exec, s[4:5]
	s_cbranch_execnz .LBB48_463
; %bb.464:
	s_or_b64 exec, exec, s[4:5]
.LBB48_465:
	s_or_b64 exec, exec, s[12:13]
	v_mov_b32_e32 v102, 0
	ds_read_b32 v102, v102 offset:4
	s_waitcnt lgkmcnt(0)
	v_mul_f32_e32 v102, v103, v102
	buffer_store_dword v102, off, s[0:3], 0 offset:4
.LBB48_466:
	s_or_b64 exec, exec, s[8:9]
	buffer_load_dword v102, off, s[0:3], 0
	v_cmp_ne_u32_e32 vcc, 0, v0
	s_waitcnt vmcnt(0)
	ds_write_b32 v100, v102
	s_waitcnt lgkmcnt(0)
	; wave barrier
	s_waitcnt lgkmcnt(0)
	s_and_saveexec_b64 s[4:5], vcc
	s_cbranch_execz .LBB48_476
; %bb.467:
	s_andn2_b64 vcc, exec, s[10:11]
	s_cbranch_vccnz .LBB48_469
; %bb.468:
	buffer_load_dword v102, v101, s[0:3], 0 offen
	ds_read_b32 v103, v100
	s_waitcnt vmcnt(0) lgkmcnt(0)
	v_mul_f32_e32 v102, v102, v103
	s_cbranch_execz .LBB48_470
	s_branch .LBB48_471
.LBB48_469:
                                        ; implicit-def: $vgpr102
.LBB48_470:
	ds_read_b32 v102, v100
.LBB48_471:
	s_and_saveexec_b64 s[8:9], s[6:7]
	s_cbranch_execz .LBB48_475
; %bb.472:
	v_mov_b32_e32 v103, 0
	v_or_b32_e32 v103, 4, v103
	v_add_u32_e32 v104, -1, v0
	s_movk_i32 s12, 0xd4
	s_mov_b64 s[6:7], 0
.LBB48_473:                             ; =>This Inner Loop Header: Depth=1
	buffer_load_dword v105, v103, s[0:3], 0 offen
	v_mov_b32_e32 v106, s12
	ds_read_b32 v106, v106
	v_add_u32_e32 v104, -1, v104
	s_add_i32 s12, s12, 4
	v_cmp_eq_u32_e32 vcc, 0, v104
	v_add_u32_e32 v103, 4, v103
	s_or_b64 s[6:7], vcc, s[6:7]
	s_waitcnt vmcnt(0) lgkmcnt(0)
	v_fmac_f32_e32 v102, v105, v106
	s_andn2_b64 exec, exec, s[6:7]
	s_cbranch_execnz .LBB48_473
; %bb.474:
	s_or_b64 exec, exec, s[6:7]
.LBB48_475:
	s_or_b64 exec, exec, s[8:9]
	v_mov_b32_e32 v103, 0
	ds_read_b32 v103, v103
	s_waitcnt lgkmcnt(0)
	v_mul_f32_e32 v102, v102, v103
	buffer_store_dword v102, off, s[0:3], 0
.LBB48_476:
	s_or_b64 exec, exec, s[4:5]
	s_mov_b64 s[4:5], 0
.LBB48_477:
	s_and_b64 vcc, exec, s[4:5]
	s_cbranch_vccz .LBB48_951
; %bb.478:
	buffer_load_dword v102, off, s[0:3], 0 offset:4
	v_cmp_eq_u32_e64 s[6:7], 0, v0
	s_waitcnt vmcnt(0)
	ds_write_b32 v100, v102
	s_waitcnt lgkmcnt(0)
	; wave barrier
	s_waitcnt lgkmcnt(0)
	s_and_saveexec_b64 s[4:5], s[6:7]
	s_cbranch_execz .LBB48_484
; %bb.479:
	s_and_b64 vcc, exec, s[10:11]
	s_cbranch_vccz .LBB48_481
; %bb.480:
	buffer_load_dword v102, v101, s[0:3], 0 offen
	ds_read_b32 v103, v100
	s_waitcnt vmcnt(0) lgkmcnt(0)
	v_mul_f32_e32 v102, v102, v103
	s_cbranch_execz .LBB48_482
	s_branch .LBB48_483
.LBB48_481:
                                        ; implicit-def: $vgpr102
.LBB48_482:
	ds_read_b32 v102, v100
.LBB48_483:
	v_mov_b32_e32 v103, 0
	ds_read_b32 v103, v103 offset:4
	s_waitcnt lgkmcnt(0)
	v_mul_f32_e32 v102, v102, v103
	buffer_store_dword v102, off, s[0:3], 0 offset:4
.LBB48_484:
	s_or_b64 exec, exec, s[4:5]
	buffer_load_dword v102, off, s[0:3], 0 offset:8
	v_cndmask_b32_e64 v103, 0, 1, s[10:11]
	v_cmp_gt_u32_e32 vcc, 2, v0
	v_cmp_ne_u32_e64 s[4:5], 1, v103
	s_waitcnt vmcnt(0)
	ds_write_b32 v100, v102
	s_waitcnt lgkmcnt(0)
	; wave barrier
	s_waitcnt lgkmcnt(0)
	s_and_saveexec_b64 s[8:9], vcc
	s_cbranch_execz .LBB48_492
; %bb.485:
	s_and_b64 vcc, exec, s[4:5]
	s_cbranch_vccnz .LBB48_487
; %bb.486:
	buffer_load_dword v102, v101, s[0:3], 0 offen
	ds_read_b32 v103, v100
	s_waitcnt vmcnt(0) lgkmcnt(0)
	v_mul_f32_e32 v102, v102, v103
	s_cbranch_execz .LBB48_488
	s_branch .LBB48_489
.LBB48_487:
                                        ; implicit-def: $vgpr102
.LBB48_488:
	ds_read_b32 v102, v100
.LBB48_489:
	s_and_saveexec_b64 s[10:11], s[6:7]
	s_cbranch_execz .LBB48_491
; %bb.490:
	buffer_load_dword v103, v101, s[0:3], 0 offen offset:4
	ds_read_b32 v104, v100 offset:4
	s_waitcnt vmcnt(0) lgkmcnt(0)
	v_fmac_f32_e32 v102, v103, v104
.LBB48_491:
	s_or_b64 exec, exec, s[10:11]
	v_mov_b32_e32 v103, 0
	ds_read_b32 v103, v103 offset:8
	s_waitcnt lgkmcnt(0)
	v_mul_f32_e32 v102, v102, v103
	buffer_store_dword v102, off, s[0:3], 0 offset:8
.LBB48_492:
	s_or_b64 exec, exec, s[8:9]
	buffer_load_dword v102, off, s[0:3], 0 offset:12
	v_cmp_gt_u32_e32 vcc, 3, v0
	s_waitcnt vmcnt(0)
	ds_write_b32 v100, v102
	s_waitcnt lgkmcnt(0)
	; wave barrier
	s_waitcnt lgkmcnt(0)
	s_and_saveexec_b64 s[8:9], vcc
	s_cbranch_execz .LBB48_500
; %bb.493:
	s_and_b64 vcc, exec, s[4:5]
	s_cbranch_vccnz .LBB48_495
; %bb.494:
	buffer_load_dword v102, v101, s[0:3], 0 offen
	ds_read_b32 v103, v100
	s_waitcnt vmcnt(0) lgkmcnt(0)
	v_mul_f32_e32 v102, v102, v103
	s_cbranch_execz .LBB48_496
	s_branch .LBB48_497
.LBB48_495:
                                        ; implicit-def: $vgpr102
.LBB48_496:
	ds_read_b32 v102, v100
.LBB48_497:
	v_cmp_ne_u32_e32 vcc, 2, v0
	s_and_saveexec_b64 s[10:11], vcc
	s_cbranch_execz .LBB48_499
; %bb.498:
	buffer_load_dword v103, v101, s[0:3], 0 offen offset:4
	buffer_load_dword v104, off, s[0:3], 0 offset:8
	v_mov_b32_e32 v105, 0
	ds_read_b32 v106, v100 offset:4
	ds_read_b32 v105, v105 offset:216
	s_waitcnt vmcnt(1) lgkmcnt(1)
	v_fmac_f32_e32 v102, v103, v106
	s_waitcnt vmcnt(0) lgkmcnt(0)
	v_fma_f32 v103, v104, v105, v102
	v_cndmask_b32_e64 v102, v102, v103, s[6:7]
.LBB48_499:
	s_or_b64 exec, exec, s[10:11]
	v_mov_b32_e32 v103, 0
	ds_read_b32 v103, v103 offset:12
	s_waitcnt lgkmcnt(0)
	v_mul_f32_e32 v102, v102, v103
	buffer_store_dword v102, off, s[0:3], 0 offset:12
.LBB48_500:
	s_or_b64 exec, exec, s[8:9]
	buffer_load_dword v102, off, s[0:3], 0 offset:16
	v_cmp_gt_u32_e32 vcc, 4, v0
	s_waitcnt vmcnt(0)
	ds_write_b32 v100, v102
	s_waitcnt lgkmcnt(0)
	; wave barrier
	s_waitcnt lgkmcnt(0)
	s_and_saveexec_b64 s[6:7], vcc
	s_cbranch_execz .LBB48_510
; %bb.501:
	s_and_b64 vcc, exec, s[4:5]
	s_cbranch_vccnz .LBB48_503
; %bb.502:
	buffer_load_dword v102, v101, s[0:3], 0 offen
	ds_read_b32 v103, v100
	s_waitcnt vmcnt(0) lgkmcnt(0)
	v_mul_f32_e32 v102, v102, v103
	s_cbranch_execz .LBB48_504
	s_branch .LBB48_505
.LBB48_503:
                                        ; implicit-def: $vgpr102
.LBB48_504:
	ds_read_b32 v102, v100
.LBB48_505:
	v_cmp_ne_u32_e32 vcc, 3, v0
	s_and_saveexec_b64 s[8:9], vcc
	s_cbranch_execz .LBB48_509
; %bb.506:
	v_mov_b32_e32 v104, 0
	v_add_u32_e32 v103, 0xd4, v1
	v_add3_u32 v104, v1, v104, 4
	s_mov_b64 s[10:11], 0
	v_mov_b32_e32 v105, v0
.LBB48_507:                             ; =>This Inner Loop Header: Depth=1
	buffer_load_dword v106, v104, s[0:3], 0 offen
	ds_read_b32 v107, v103
	v_add_u32_e32 v105, 1, v105
	v_cmp_lt_u32_e32 vcc, 2, v105
	v_add_u32_e32 v103, 4, v103
	v_add_u32_e32 v104, 4, v104
	s_or_b64 s[10:11], vcc, s[10:11]
	s_waitcnt vmcnt(0) lgkmcnt(0)
	v_fmac_f32_e32 v102, v106, v107
	s_andn2_b64 exec, exec, s[10:11]
	s_cbranch_execnz .LBB48_507
; %bb.508:
	s_or_b64 exec, exec, s[10:11]
.LBB48_509:
	s_or_b64 exec, exec, s[8:9]
	v_mov_b32_e32 v103, 0
	ds_read_b32 v103, v103 offset:16
	s_waitcnt lgkmcnt(0)
	v_mul_f32_e32 v102, v102, v103
	buffer_store_dword v102, off, s[0:3], 0 offset:16
.LBB48_510:
	s_or_b64 exec, exec, s[6:7]
	buffer_load_dword v102, off, s[0:3], 0 offset:20
	v_cmp_gt_u32_e32 vcc, 5, v0
	s_waitcnt vmcnt(0)
	ds_write_b32 v100, v102
	s_waitcnt lgkmcnt(0)
	; wave barrier
	s_waitcnt lgkmcnt(0)
	s_and_saveexec_b64 s[6:7], vcc
	s_cbranch_execz .LBB48_520
; %bb.511:
	s_and_b64 vcc, exec, s[4:5]
	s_cbranch_vccnz .LBB48_513
; %bb.512:
	buffer_load_dword v102, v101, s[0:3], 0 offen
	ds_read_b32 v103, v100
	s_waitcnt vmcnt(0) lgkmcnt(0)
	v_mul_f32_e32 v102, v102, v103
	s_cbranch_execz .LBB48_514
	s_branch .LBB48_515
.LBB48_513:
                                        ; implicit-def: $vgpr102
.LBB48_514:
	ds_read_b32 v102, v100
.LBB48_515:
	v_cmp_ne_u32_e32 vcc, 4, v0
	s_and_saveexec_b64 s[8:9], vcc
	s_cbranch_execz .LBB48_519
; %bb.516:
	v_mov_b32_e32 v104, 0
	v_add_u32_e32 v103, 0xd4, v1
	v_add3_u32 v104, v1, v104, 4
	s_mov_b64 s[10:11], 0
	v_mov_b32_e32 v105, v0
.LBB48_517:                             ; =>This Inner Loop Header: Depth=1
	buffer_load_dword v106, v104, s[0:3], 0 offen
	ds_read_b32 v107, v103
	v_add_u32_e32 v105, 1, v105
	v_cmp_lt_u32_e32 vcc, 3, v105
	v_add_u32_e32 v103, 4, v103
	v_add_u32_e32 v104, 4, v104
	s_or_b64 s[10:11], vcc, s[10:11]
	s_waitcnt vmcnt(0) lgkmcnt(0)
	v_fmac_f32_e32 v102, v106, v107
	s_andn2_b64 exec, exec, s[10:11]
	s_cbranch_execnz .LBB48_517
; %bb.518:
	s_or_b64 exec, exec, s[10:11]
.LBB48_519:
	s_or_b64 exec, exec, s[8:9]
	v_mov_b32_e32 v103, 0
	ds_read_b32 v103, v103 offset:20
	s_waitcnt lgkmcnt(0)
	v_mul_f32_e32 v102, v102, v103
	buffer_store_dword v102, off, s[0:3], 0 offset:20
.LBB48_520:
	;; [unrolled: 56-line block ×43, first 2 shown]
	s_or_b64 exec, exec, s[6:7]
	buffer_load_dword v102, off, s[0:3], 0 offset:188
	v_cmp_gt_u32_e64 s[6:7], 47, v0
	s_waitcnt vmcnt(0)
	ds_write_b32 v100, v102
	s_waitcnt lgkmcnt(0)
	; wave barrier
	s_waitcnt lgkmcnt(0)
	s_and_saveexec_b64 s[8:9], s[6:7]
	s_cbranch_execz .LBB48_940
; %bb.931:
	s_and_b64 vcc, exec, s[4:5]
	s_cbranch_vccnz .LBB48_933
; %bb.932:
	buffer_load_dword v102, v101, s[0:3], 0 offen
	ds_read_b32 v103, v100
	s_waitcnt vmcnt(0) lgkmcnt(0)
	v_mul_f32_e32 v102, v102, v103
	s_cbranch_execz .LBB48_934
	s_branch .LBB48_935
.LBB48_933:
                                        ; implicit-def: $vgpr102
.LBB48_934:
	ds_read_b32 v102, v100
.LBB48_935:
	v_cmp_ne_u32_e32 vcc, 46, v0
	s_and_saveexec_b64 s[10:11], vcc
	s_cbranch_execz .LBB48_939
; %bb.936:
	v_mov_b32_e32 v104, 0
	v_add_u32_e32 v103, 0xd4, v1
	v_add3_u32 v104, v1, v104, 4
	s_mov_b64 s[12:13], 0
	v_mov_b32_e32 v105, v0
.LBB48_937:                             ; =>This Inner Loop Header: Depth=1
	buffer_load_dword v106, v104, s[0:3], 0 offen
	ds_read_b32 v107, v103
	v_add_u32_e32 v105, 1, v105
	v_cmp_lt_u32_e32 vcc, 45, v105
	v_add_u32_e32 v103, 4, v103
	v_add_u32_e32 v104, 4, v104
	s_or_b64 s[12:13], vcc, s[12:13]
	s_waitcnt vmcnt(0) lgkmcnt(0)
	v_fmac_f32_e32 v102, v106, v107
	s_andn2_b64 exec, exec, s[12:13]
	s_cbranch_execnz .LBB48_937
; %bb.938:
	s_or_b64 exec, exec, s[12:13]
.LBB48_939:
	s_or_b64 exec, exec, s[10:11]
	v_mov_b32_e32 v103, 0
	ds_read_b32 v103, v103 offset:188
	s_waitcnt lgkmcnt(0)
	v_mul_f32_e32 v102, v102, v103
	buffer_store_dword v102, off, s[0:3], 0 offset:188
.LBB48_940:
	s_or_b64 exec, exec, s[8:9]
	buffer_load_dword v102, off, s[0:3], 0 offset:192
	v_cmp_ne_u32_e32 vcc, 48, v0
	s_waitcnt vmcnt(0)
	ds_write_b32 v100, v102
	s_waitcnt lgkmcnt(0)
	; wave barrier
	s_waitcnt lgkmcnt(0)
	s_and_saveexec_b64 s[8:9], vcc
	s_cbranch_execz .LBB48_950
; %bb.941:
	s_and_b64 vcc, exec, s[4:5]
	s_cbranch_vccnz .LBB48_943
; %bb.942:
	buffer_load_dword v101, v101, s[0:3], 0 offen
	ds_read_b32 v102, v100
	s_waitcnt vmcnt(0) lgkmcnt(0)
	v_mul_f32_e32 v101, v101, v102
	s_cbranch_execz .LBB48_944
	s_branch .LBB48_945
.LBB48_943:
                                        ; implicit-def: $vgpr101
.LBB48_944:
	ds_read_b32 v101, v100
.LBB48_945:
	s_and_saveexec_b64 s[4:5], s[6:7]
	s_cbranch_execz .LBB48_949
; %bb.946:
	v_mov_b32_e32 v102, 0
	v_add_u32_e32 v100, 0xd4, v1
	v_add3_u32 v1, v1, v102, 4
	s_mov_b64 s[6:7], 0
.LBB48_947:                             ; =>This Inner Loop Header: Depth=1
	buffer_load_dword v102, v1, s[0:3], 0 offen
	ds_read_b32 v103, v100
	v_add_u32_e32 v0, 1, v0
	v_cmp_lt_u32_e32 vcc, 46, v0
	v_add_u32_e32 v100, 4, v100
	v_add_u32_e32 v1, 4, v1
	s_or_b64 s[6:7], vcc, s[6:7]
	s_waitcnt vmcnt(0) lgkmcnt(0)
	v_fmac_f32_e32 v101, v102, v103
	s_andn2_b64 exec, exec, s[6:7]
	s_cbranch_execnz .LBB48_947
; %bb.948:
	s_or_b64 exec, exec, s[6:7]
.LBB48_949:
	s_or_b64 exec, exec, s[4:5]
	v_mov_b32_e32 v0, 0
	ds_read_b32 v0, v0 offset:192
	s_waitcnt lgkmcnt(0)
	v_mul_f32_e32 v0, v101, v0
	buffer_store_dword v0, off, s[0:3], 0 offset:192
.LBB48_950:
	s_or_b64 exec, exec, s[8:9]
.LBB48_951:
	buffer_load_dword v0, off, s[0:3], 0
	buffer_load_dword v1, off, s[0:3], 0 offset:4
	buffer_load_dword v100, off, s[0:3], 0 offset:8
	;; [unrolled: 1-line block ×48, first 2 shown]
	s_waitcnt vmcnt(48)
	global_store_dword v[94:95], v0, off
	s_waitcnt vmcnt(48)
	global_store_dword v[96:97], v1, off
	s_waitcnt vmcnt(48)
	global_store_dword v[2:3], v100, off
	s_waitcnt vmcnt(48)
	global_store_dword v[4:5], v101, off
	s_waitcnt vmcnt(48)
	global_store_dword v[6:7], v102, off
	s_waitcnt vmcnt(48)
	global_store_dword v[8:9], v103, off
	s_waitcnt vmcnt(48)
	global_store_dword v[10:11], v104, off
	s_waitcnt vmcnt(48)
	global_store_dword v[12:13], v105, off
	s_waitcnt vmcnt(48)
	global_store_dword v[14:15], v106, off
	s_waitcnt vmcnt(48)
	global_store_dword v[16:17], v107, off
	s_waitcnt vmcnt(48)
	global_store_dword v[18:19], v108, off
	s_waitcnt vmcnt(48)
	global_store_dword v[20:21], v109, off
	s_waitcnt vmcnt(48)
	global_store_dword v[22:23], v110, off
	s_waitcnt vmcnt(48)
	global_store_dword v[24:25], v111, off
	s_waitcnt vmcnt(48)
	global_store_dword v[26:27], v112, off
	s_waitcnt vmcnt(48)
	global_store_dword v[28:29], v113, off
	s_waitcnt vmcnt(48)
	global_store_dword v[30:31], v114, off
	s_waitcnt vmcnt(48)
	global_store_dword v[32:33], v115, off
	s_waitcnt vmcnt(48)
	global_store_dword v[34:35], v116, off
	s_waitcnt vmcnt(48)
	global_store_dword v[36:37], v117, off
	s_waitcnt vmcnt(48)
	global_store_dword v[38:39], v118, off
	s_waitcnt vmcnt(48)
	global_store_dword v[40:41], v119, off
	s_waitcnt vmcnt(48)
	global_store_dword v[42:43], v120, off
	s_waitcnt vmcnt(48)
	global_store_dword v[44:45], v121, off
	s_waitcnt vmcnt(48)
	global_store_dword v[46:47], v122, off
	s_waitcnt vmcnt(48)
	global_store_dword v[48:49], v123, off
	s_waitcnt vmcnt(48)
	global_store_dword v[50:51], v124, off
	s_waitcnt vmcnt(48)
	global_store_dword v[52:53], v125, off
	s_waitcnt vmcnt(48)
	global_store_dword v[54:55], v126, off
	s_waitcnt vmcnt(48)
	global_store_dword v[56:57], v127, off
	s_waitcnt vmcnt(48)
	global_store_dword v[58:59], v128, off
	s_waitcnt vmcnt(48)
	global_store_dword v[60:61], v129, off
	s_waitcnt vmcnt(48)
	global_store_dword v[62:63], v130, off
	s_waitcnt vmcnt(48)
	global_store_dword v[64:65], v131, off
	s_waitcnt vmcnt(48)
	global_store_dword v[66:67], v132, off
	s_waitcnt vmcnt(48)
	global_store_dword v[68:69], v133, off
	s_waitcnt vmcnt(48)
	global_store_dword v[70:71], v134, off
	s_waitcnt vmcnt(48)
	global_store_dword v[72:73], v135, off
	s_waitcnt vmcnt(48)
	global_store_dword v[74:75], v136, off
	s_waitcnt vmcnt(48)
	global_store_dword v[76:77], v137, off
	s_waitcnt vmcnt(48)
	global_store_dword v[78:79], v138, off
	s_waitcnt vmcnt(48)
	global_store_dword v[80:81], v139, off
	s_waitcnt vmcnt(48)
	global_store_dword v[82:83], v140, off
	s_waitcnt vmcnt(48)
	global_store_dword v[84:85], v141, off
	s_waitcnt vmcnt(48)
	global_store_dword v[86:87], v142, off
	s_waitcnt vmcnt(48)
	global_store_dword v[88:89], v143, off
	s_waitcnt vmcnt(48)
	global_store_dword v[90:91], v144, off
	s_waitcnt vmcnt(48)
	global_store_dword v[98:99], v145, off
	s_waitcnt vmcnt(48)
	global_store_dword v[92:93], v146, off
.LBB48_952:
	s_endpgm
	.section	.rodata,"a",@progbits
	.p2align	6, 0x0
	.amdhsa_kernel _ZN9rocsolver6v33100L18trti2_kernel_smallILi49EfPfEEv13rocblas_fill_17rocblas_diagonal_T1_iil
		.amdhsa_group_segment_fixed_size 404
		.amdhsa_private_segment_fixed_size 208
		.amdhsa_kernarg_size 32
		.amdhsa_user_sgpr_count 8
		.amdhsa_user_sgpr_private_segment_buffer 1
		.amdhsa_user_sgpr_dispatch_ptr 0
		.amdhsa_user_sgpr_queue_ptr 0
		.amdhsa_user_sgpr_kernarg_segment_ptr 1
		.amdhsa_user_sgpr_dispatch_id 0
		.amdhsa_user_sgpr_flat_scratch_init 1
		.amdhsa_user_sgpr_kernarg_preload_length 0
		.amdhsa_user_sgpr_kernarg_preload_offset 0
		.amdhsa_user_sgpr_private_segment_size 0
		.amdhsa_uses_dynamic_stack 0
		.amdhsa_system_sgpr_private_segment_wavefront_offset 1
		.amdhsa_system_sgpr_workgroup_id_x 1
		.amdhsa_system_sgpr_workgroup_id_y 0
		.amdhsa_system_sgpr_workgroup_id_z 0
		.amdhsa_system_sgpr_workgroup_info 0
		.amdhsa_system_vgpr_workitem_id 0
		.amdhsa_next_free_vgpr 149
		.amdhsa_next_free_sgpr 20
		.amdhsa_accum_offset 152
		.amdhsa_reserve_vcc 1
		.amdhsa_reserve_flat_scratch 0
		.amdhsa_float_round_mode_32 0
		.amdhsa_float_round_mode_16_64 0
		.amdhsa_float_denorm_mode_32 3
		.amdhsa_float_denorm_mode_16_64 3
		.amdhsa_dx10_clamp 1
		.amdhsa_ieee_mode 1
		.amdhsa_fp16_overflow 0
		.amdhsa_tg_split 0
		.amdhsa_exception_fp_ieee_invalid_op 0
		.amdhsa_exception_fp_denorm_src 0
		.amdhsa_exception_fp_ieee_div_zero 0
		.amdhsa_exception_fp_ieee_overflow 0
		.amdhsa_exception_fp_ieee_underflow 0
		.amdhsa_exception_fp_ieee_inexact 0
		.amdhsa_exception_int_div_zero 0
	.end_amdhsa_kernel
	.section	.text._ZN9rocsolver6v33100L18trti2_kernel_smallILi49EfPfEEv13rocblas_fill_17rocblas_diagonal_T1_iil,"axG",@progbits,_ZN9rocsolver6v33100L18trti2_kernel_smallILi49EfPfEEv13rocblas_fill_17rocblas_diagonal_T1_iil,comdat
.Lfunc_end48:
	.size	_ZN9rocsolver6v33100L18trti2_kernel_smallILi49EfPfEEv13rocblas_fill_17rocblas_diagonal_T1_iil, .Lfunc_end48-_ZN9rocsolver6v33100L18trti2_kernel_smallILi49EfPfEEv13rocblas_fill_17rocblas_diagonal_T1_iil
                                        ; -- End function
	.section	.AMDGPU.csdata,"",@progbits
; Kernel info:
; codeLenInByte = 23928
; NumSgprs: 24
; NumVgprs: 149
; NumAgprs: 0
; TotalNumVgprs: 149
; ScratchSize: 208
; MemoryBound: 0
; FloatMode: 240
; IeeeMode: 1
; LDSByteSize: 404 bytes/workgroup (compile time only)
; SGPRBlocks: 2
; VGPRBlocks: 18
; NumSGPRsForWavesPerEU: 24
; NumVGPRsForWavesPerEU: 149
; AccumOffset: 152
; Occupancy: 3
; WaveLimiterHint : 0
; COMPUTE_PGM_RSRC2:SCRATCH_EN: 1
; COMPUTE_PGM_RSRC2:USER_SGPR: 8
; COMPUTE_PGM_RSRC2:TRAP_HANDLER: 0
; COMPUTE_PGM_RSRC2:TGID_X_EN: 1
; COMPUTE_PGM_RSRC2:TGID_Y_EN: 0
; COMPUTE_PGM_RSRC2:TGID_Z_EN: 0
; COMPUTE_PGM_RSRC2:TIDIG_COMP_CNT: 0
; COMPUTE_PGM_RSRC3_GFX90A:ACCUM_OFFSET: 37
; COMPUTE_PGM_RSRC3_GFX90A:TG_SPLIT: 0
	.section	.text._ZN9rocsolver6v33100L18trti2_kernel_smallILi50EfPfEEv13rocblas_fill_17rocblas_diagonal_T1_iil,"axG",@progbits,_ZN9rocsolver6v33100L18trti2_kernel_smallILi50EfPfEEv13rocblas_fill_17rocblas_diagonal_T1_iil,comdat
	.globl	_ZN9rocsolver6v33100L18trti2_kernel_smallILi50EfPfEEv13rocblas_fill_17rocblas_diagonal_T1_iil ; -- Begin function _ZN9rocsolver6v33100L18trti2_kernel_smallILi50EfPfEEv13rocblas_fill_17rocblas_diagonal_T1_iil
	.p2align	8
	.type	_ZN9rocsolver6v33100L18trti2_kernel_smallILi50EfPfEEv13rocblas_fill_17rocblas_diagonal_T1_iil,@function
_ZN9rocsolver6v33100L18trti2_kernel_smallILi50EfPfEEv13rocblas_fill_17rocblas_diagonal_T1_iil: ; @_ZN9rocsolver6v33100L18trti2_kernel_smallILi50EfPfEEv13rocblas_fill_17rocblas_diagonal_T1_iil
; %bb.0:
	s_add_u32 s0, s0, s9
	s_addc_u32 s1, s1, 0
	v_cmp_gt_u32_e32 vcc, 50, v0
	s_and_saveexec_b64 s[6:7], vcc
	s_cbranch_execz .LBB49_972
; %bb.1:
	s_load_dwordx8 s[12:19], s[4:5], 0x0
	s_ashr_i32 s6, s8, 31
	s_waitcnt lgkmcnt(0)
	s_mul_i32 s7, s8, s19
	s_mul_hi_u32 s9, s8, s18
	s_add_i32 s7, s9, s7
	s_mul_i32 s6, s6, s18
	s_add_i32 s7, s7, s6
	s_mul_i32 s6, s8, s18
	s_ashr_i32 s5, s16, 31
	s_lshl_b64 s[6:7], s[6:7], 2
	s_mov_b32 s4, s16
	s_add_u32 s6, s14, s6
	s_addc_u32 s7, s15, s7
	s_lshl_b64 s[4:5], s[4:5], 2
	s_add_u32 s4, s6, s4
	s_addc_u32 s5, s7, s5
	s_add_i32 s6, s17, s17
	v_add_u32_e32 v4, s6, v0
	v_ashrrev_i32_e32 v5, 31, v4
	v_lshlrev_b64 v[2:3], 2, v[4:5]
	v_add_u32_e32 v6, s17, v4
	v_mov_b32_e32 v1, s5
	v_add_co_u32_e32 v2, vcc, s4, v2
	v_ashrrev_i32_e32 v7, 31, v6
	v_addc_co_u32_e32 v3, vcc, v1, v3, vcc
	v_lshlrev_b64 v[4:5], 2, v[6:7]
	v_add_u32_e32 v8, s17, v6
	v_add_co_u32_e32 v4, vcc, s4, v4
	v_ashrrev_i32_e32 v9, 31, v8
	v_addc_co_u32_e32 v5, vcc, v1, v5, vcc
	v_lshlrev_b64 v[6:7], 2, v[8:9]
	v_add_u32_e32 v10, s17, v8
	;; [unrolled: 5-line block ×45, first 2 shown]
	v_add_co_u32_e32 v92, vcc, s4, v92
	v_ashrrev_i32_e32 v97, 31, v96
	v_addc_co_u32_e32 v93, vcc, v1, v93, vcc
	v_lshlrev_b64 v[94:95], 2, v[96:97]
	v_add_co_u32_e32 v94, vcc, s4, v94
	v_add_u32_e32 v96, s17, v96
	v_addc_co_u32_e32 v95, vcc, v1, v95, vcc
	v_ashrrev_i32_e32 v97, 31, v96
	v_lshlrev_b32_e32 v1, 2, v0
	v_lshlrev_b64 v[100:101], 2, v[96:97]
	v_mov_b32_e32 v97, s5
	v_add_co_u32_e32 v96, vcc, s4, v1
	s_ashr_i32 s7, s17, 31
	s_mov_b32 s6, s17
	v_addc_co_u32_e32 v97, vcc, 0, v97, vcc
	s_lshl_b64 s[6:7], s[6:7], 2
	v_mov_b32_e32 v99, s7
	v_add_co_u32_e32 v98, vcc, s6, v96
	v_addc_co_u32_e32 v99, vcc, v97, v99, vcc
	global_load_dword v103, v1, s[4:5]
	global_load_dword v104, v[98:99], off
	global_load_dword v105, v[6:7], off
	;; [unrolled: 1-line block ×14, first 2 shown]
                                        ; kill: killed $sgpr5
	global_load_dword v118, v[20:21], off
	global_load_dword v119, v[18:19], off
	;; [unrolled: 1-line block ×34, first 2 shown]
	v_mov_b32_e32 v102, s5
	v_add_co_u32_e32 v100, vcc, s4, v100
	v_addc_co_u32_e32 v101, vcc, v102, v101, vcc
	global_load_dword v102, v[100:101], off
	s_cmpk_lg_i32 s13, 0x84
	s_waitcnt vmcnt(49)
	buffer_store_dword v103, off, s[0:3], 0
	s_waitcnt vmcnt(49)
	buffer_store_dword v104, off, s[0:3], 0 offset:4
	s_waitcnt vmcnt(44)
	buffer_store_dword v110, off, s[0:3], 0 offset:12
	;; [unrolled: 2-line block ×3, first 2 shown]
	buffer_store_dword v105, off, s[0:3], 0 offset:16
	buffer_store_dword v106, off, s[0:3], 0 offset:20
	buffer_store_dword v107, off, s[0:3], 0 offset:24
	buffer_store_dword v108, off, s[0:3], 0 offset:28
	buffer_store_dword v109, off, s[0:3], 0 offset:32
	s_waitcnt vmcnt(49)
	buffer_store_dword v112, off, s[0:3], 0 offset:36
	s_waitcnt vmcnt(44)
	buffer_store_dword v118, off, s[0:3], 0 offset:44
	;; [unrolled: 2-line block ×3, first 2 shown]
	buffer_store_dword v113, off, s[0:3], 0 offset:48
	buffer_store_dword v114, off, s[0:3], 0 offset:52
	;; [unrolled: 1-line block ×5, first 2 shown]
	s_waitcnt vmcnt(49)
	buffer_store_dword v120, off, s[0:3], 0 offset:68
	s_waitcnt vmcnt(49)
	buffer_store_dword v121, off, s[0:3], 0 offset:72
	;; [unrolled: 2-line block ×5, first 2 shown]
	buffer_store_dword v124, off, s[0:3], 0 offset:92
	buffer_store_dword v125, off, s[0:3], 0 offset:88
	s_waitcnt vmcnt(48)
	buffer_store_dword v128, off, s[0:3], 0 offset:100
	buffer_store_dword v123, off, s[0:3], 0 offset:96
	s_waitcnt vmcnt(44)
	buffer_store_dword v134, off, s[0:3], 0 offset:108
	s_waitcnt vmcnt(44)
	buffer_store_dword v135, off, s[0:3], 0 offset:104
	buffer_store_dword v132, off, s[0:3], 0 offset:116
	buffer_store_dword v133, off, s[0:3], 0 offset:112
	buffer_store_dword v130, off, s[0:3], 0 offset:124
	buffer_store_dword v131, off, s[0:3], 0 offset:120
	s_waitcnt vmcnt(48)
	buffer_store_dword v136, off, s[0:3], 0 offset:132
	buffer_store_dword v129, off, s[0:3], 0 offset:128
	s_waitcnt vmcnt(44)
	buffer_store_dword v142, off, s[0:3], 0 offset:140
	s_waitcnt vmcnt(44)
	buffer_store_dword v143, off, s[0:3], 0 offset:136
	buffer_store_dword v140, off, s[0:3], 0 offset:148
	buffer_store_dword v141, off, s[0:3], 0 offset:144
	;; [unrolled: 11-line block ×3, first 2 shown]
	buffer_store_dword v146, off, s[0:3], 0 offset:188
	buffer_store_dword v147, off, s[0:3], 0 offset:184
	s_waitcnt vmcnt(48)
	buffer_store_dword v102, off, s[0:3], 0 offset:196
	buffer_store_dword v145, off, s[0:3], 0 offset:192
	s_cselect_b64 s[8:9], -1, 0
	s_cmpk_eq_i32 s13, 0x84
	v_mov_b32_e32 v126, 0
	v_mov_b32_e32 v102, -1.0
	s_cbranch_scc1 .LBB49_3
; %bb.2:
	v_lshl_add_u32 v102, v0, 2, v126
	buffer_load_dword v103, v102, s[0:3], 0 offen
	s_waitcnt vmcnt(0)
	v_div_scale_f32 v104, s[4:5], v103, v103, 1.0
	v_rcp_f32_e32 v105, v104
	v_div_scale_f32 v106, vcc, 1.0, v103, 1.0
	v_fma_f32 v107, -v104, v105, 1.0
	v_fmac_f32_e32 v105, v107, v105
	v_mul_f32_e32 v107, v106, v105
	v_fma_f32 v108, -v104, v107, v106
	v_fmac_f32_e32 v107, v108, v105
	v_fma_f32 v104, -v104, v107, v106
	v_div_fmas_f32 v104, v104, v105, v107
	v_div_fixup_f32 v103, v104, v103, 1.0
	buffer_store_dword v103, v102, s[0:3], 0 offen
	v_xor_b32_e32 v102, 0x80000000, v103
.LBB49_3:
	ds_write_b32 v1, v102
	s_cmpk_eq_i32 s12, 0x79
	v_add_u32_e32 v102, 0xd0, v1
	v_add_u32_e32 v103, 0, v1
	s_mov_b64 s[4:5], -1
	s_cbranch_scc1 .LBB49_487
; %bb.4:
	buffer_load_dword v104, off, s[0:3], 0 offset:192
	v_cmp_eq_u32_e64 s[4:5], 49, v0
	s_waitcnt vmcnt(0)
	ds_write_b32 v102, v104
	s_waitcnt lgkmcnt(0)
	; wave barrier
	s_waitcnt lgkmcnt(0)
	s_and_saveexec_b64 s[6:7], s[4:5]
	s_cbranch_execz .LBB49_10
; %bb.5:
	s_and_b64 vcc, exec, s[8:9]
	s_cbranch_vccz .LBB49_7
; %bb.6:
	buffer_load_dword v104, v103, s[0:3], 0 offen
	ds_read_b32 v105, v102
	s_waitcnt vmcnt(0) lgkmcnt(0)
	v_mul_f32_e32 v104, v104, v105
	s_cbranch_execz .LBB49_8
	s_branch .LBB49_9
.LBB49_7:
                                        ; implicit-def: $vgpr104
.LBB49_8:
	ds_read_b32 v104, v102
.LBB49_9:
	v_mov_b32_e32 v105, 0
	ds_read_b32 v105, v105 offset:192
	s_waitcnt lgkmcnt(0)
	v_mul_f32_e32 v104, v104, v105
	buffer_store_dword v104, off, s[0:3], 0 offset:192
.LBB49_10:
	s_or_b64 exec, exec, s[6:7]
	buffer_load_dword v127, off, s[0:3], 0 offset:188
	v_or_b32_e32 v104, 8, v126
	v_add_u32_e32 v105, 16, v126
	v_add_u32_e32 v106, 24, v126
	;; [unrolled: 1-line block ×22, first 2 shown]
	v_cmp_lt_u32_e64 s[6:7], 47, v0
	s_waitcnt vmcnt(0)
	ds_write_b32 v102, v127
	s_waitcnt lgkmcnt(0)
	; wave barrier
	s_waitcnt lgkmcnt(0)
	s_and_saveexec_b64 s[10:11], s[6:7]
	s_cbranch_execz .LBB49_16
; %bb.11:
	s_andn2_b64 vcc, exec, s[8:9]
	s_cbranch_vccnz .LBB49_13
; %bb.12:
	buffer_load_dword v127, v103, s[0:3], 0 offen
	ds_read_b32 v128, v102
	s_waitcnt vmcnt(0) lgkmcnt(0)
	v_mul_f32_e32 v127, v127, v128
	s_cbranch_execz .LBB49_14
	s_branch .LBB49_15
.LBB49_13:
                                        ; implicit-def: $vgpr127
.LBB49_14:
	ds_read_b32 v127, v102
.LBB49_15:
	buffer_load_dword v130, off, s[0:3], 0 offset:192
	v_mov_b32_e32 v128, 0
	ds_read2_b32 v[128:129], v128 offset0:47 offset1:100
	s_waitcnt vmcnt(0) lgkmcnt(0)
	v_fma_f32 v129, v130, v129, v127
	v_cndmask_b32_e64 v127, v127, v129, s[4:5]
	v_mul_f32_e32 v127, v127, v128
	buffer_store_dword v127, off, s[0:3], 0 offset:188
.LBB49_16:
	s_or_b64 exec, exec, s[10:11]
	buffer_load_dword v127, off, s[0:3], 0 offset:184
	v_cmp_lt_u32_e64 s[4:5], 46, v0
	s_waitcnt vmcnt(0)
	ds_write_b32 v102, v127
	s_waitcnt lgkmcnt(0)
	; wave barrier
	s_waitcnt lgkmcnt(0)
	s_and_saveexec_b64 s[10:11], s[4:5]
	s_cbranch_execz .LBB49_26
; %bb.17:
	s_andn2_b64 vcc, exec, s[8:9]
	s_cbranch_vccnz .LBB49_19
; %bb.18:
	buffer_load_dword v127, v103, s[0:3], 0 offen
	ds_read_b32 v128, v102
	s_waitcnt vmcnt(0) lgkmcnt(0)
	v_mul_f32_e32 v127, v127, v128
	s_cbranch_execz .LBB49_20
	s_branch .LBB49_21
.LBB49_19:
                                        ; implicit-def: $vgpr127
.LBB49_20:
	ds_read_b32 v127, v102
.LBB49_21:
	s_and_saveexec_b64 s[12:13], s[6:7]
	s_cbranch_execz .LBB49_25
; %bb.22:
	v_mov_b32_e32 v128, 0
	v_add_u32_e32 v128, 0xbc, v128
	v_subrev_u32_e32 v129, 47, v0
	s_movk_i32 s14, 0x18c
	s_mov_b64 s[6:7], 0
.LBB49_23:                              ; =>This Inner Loop Header: Depth=1
	buffer_load_dword v130, v128, s[0:3], 0 offen
	v_mov_b32_e32 v131, s14
	ds_read_b32 v131, v131
	v_add_u32_e32 v129, -1, v129
	s_add_i32 s14, s14, 4
	v_cmp_eq_u32_e32 vcc, 0, v129
	v_add_u32_e32 v128, 4, v128
	s_or_b64 s[6:7], vcc, s[6:7]
	s_waitcnt vmcnt(0) lgkmcnt(0)
	v_fmac_f32_e32 v127, v130, v131
	s_andn2_b64 exec, exec, s[6:7]
	s_cbranch_execnz .LBB49_23
; %bb.24:
	s_or_b64 exec, exec, s[6:7]
.LBB49_25:
	s_or_b64 exec, exec, s[12:13]
	v_mov_b32_e32 v128, 0
	ds_read_b32 v128, v128 offset:184
	s_waitcnt lgkmcnt(0)
	v_mul_f32_e32 v127, v127, v128
	buffer_store_dword v127, off, s[0:3], 0 offset:184
.LBB49_26:
	s_or_b64 exec, exec, s[10:11]
	buffer_load_dword v127, off, s[0:3], 0 offset:180
	v_cmp_lt_u32_e64 s[6:7], 45, v0
	s_waitcnt vmcnt(0)
	ds_write_b32 v102, v127
	s_waitcnt lgkmcnt(0)
	; wave barrier
	s_waitcnt lgkmcnt(0)
	s_and_saveexec_b64 s[10:11], s[6:7]
	s_cbranch_execz .LBB49_36
; %bb.27:
	s_andn2_b64 vcc, exec, s[8:9]
	s_cbranch_vccnz .LBB49_29
; %bb.28:
	buffer_load_dword v127, v103, s[0:3], 0 offen
	ds_read_b32 v128, v102
	s_waitcnt vmcnt(0) lgkmcnt(0)
	v_mul_f32_e32 v127, v127, v128
	s_cbranch_execz .LBB49_30
	s_branch .LBB49_31
.LBB49_29:
                                        ; implicit-def: $vgpr127
.LBB49_30:
	ds_read_b32 v127, v102
.LBB49_31:
	s_and_saveexec_b64 s[12:13], s[4:5]
	s_cbranch_execz .LBB49_35
; %bb.32:
	v_subrev_u32_e32 v128, 46, v0
	s_movk_i32 s14, 0x188
	s_mov_b64 s[4:5], 0
.LBB49_33:                              ; =>This Inner Loop Header: Depth=1
	buffer_load_dword v129, v126, s[0:3], 0 offen
	v_mov_b32_e32 v130, s14
	ds_read_b32 v130, v130
	v_add_u32_e32 v128, -1, v128
	s_add_i32 s14, s14, 4
	v_cmp_eq_u32_e32 vcc, 0, v128
	v_add_u32_e32 v126, 4, v126
	s_or_b64 s[4:5], vcc, s[4:5]
	s_waitcnt vmcnt(0) lgkmcnt(0)
	v_fmac_f32_e32 v127, v129, v130
	s_andn2_b64 exec, exec, s[4:5]
	s_cbranch_execnz .LBB49_33
; %bb.34:
	s_or_b64 exec, exec, s[4:5]
.LBB49_35:
	s_or_b64 exec, exec, s[12:13]
	v_mov_b32_e32 v126, 0
	ds_read_b32 v126, v126 offset:180
	s_waitcnt lgkmcnt(0)
	v_mul_f32_e32 v126, v127, v126
	buffer_store_dword v126, off, s[0:3], 0 offset:180
.LBB49_36:
	s_or_b64 exec, exec, s[10:11]
	buffer_load_dword v126, off, s[0:3], 0 offset:176
	v_cmp_lt_u32_e64 s[4:5], 44, v0
	s_waitcnt vmcnt(0)
	ds_write_b32 v102, v126
	s_waitcnt lgkmcnt(0)
	; wave barrier
	s_waitcnt lgkmcnt(0)
	s_and_saveexec_b64 s[10:11], s[4:5]
	s_cbranch_execz .LBB49_46
; %bb.37:
	s_andn2_b64 vcc, exec, s[8:9]
	s_cbranch_vccnz .LBB49_39
; %bb.38:
	buffer_load_dword v126, v103, s[0:3], 0 offen
	ds_read_b32 v127, v102
	s_waitcnt vmcnt(0) lgkmcnt(0)
	v_mul_f32_e32 v126, v126, v127
	s_cbranch_execz .LBB49_40
	s_branch .LBB49_41
.LBB49_39:
                                        ; implicit-def: $vgpr126
.LBB49_40:
	ds_read_b32 v126, v102
.LBB49_41:
	s_and_saveexec_b64 s[12:13], s[6:7]
	s_cbranch_execz .LBB49_45
; %bb.42:
	v_mov_b32_e32 v127, 0
	v_add_u32_e32 v127, 0xb4, v127
	v_subrev_u32_e32 v128, 45, v0
	s_movk_i32 s14, 0x184
	s_mov_b64 s[6:7], 0
.LBB49_43:                              ; =>This Inner Loop Header: Depth=1
	buffer_load_dword v129, v127, s[0:3], 0 offen
	v_mov_b32_e32 v130, s14
	ds_read_b32 v130, v130
	v_add_u32_e32 v128, -1, v128
	s_add_i32 s14, s14, 4
	v_cmp_eq_u32_e32 vcc, 0, v128
	v_add_u32_e32 v127, 4, v127
	s_or_b64 s[6:7], vcc, s[6:7]
	s_waitcnt vmcnt(0) lgkmcnt(0)
	v_fmac_f32_e32 v126, v129, v130
	s_andn2_b64 exec, exec, s[6:7]
	s_cbranch_execnz .LBB49_43
; %bb.44:
	s_or_b64 exec, exec, s[6:7]
.LBB49_45:
	s_or_b64 exec, exec, s[12:13]
	v_mov_b32_e32 v127, 0
	ds_read_b32 v127, v127 offset:176
	s_waitcnt lgkmcnt(0)
	v_mul_f32_e32 v126, v126, v127
	buffer_store_dword v126, off, s[0:3], 0 offset:176
.LBB49_46:
	s_or_b64 exec, exec, s[10:11]
	buffer_load_dword v126, off, s[0:3], 0 offset:172
	v_cmp_lt_u32_e64 s[6:7], 43, v0
	s_waitcnt vmcnt(0)
	ds_write_b32 v102, v126
	s_waitcnt lgkmcnt(0)
	; wave barrier
	s_waitcnt lgkmcnt(0)
	s_and_saveexec_b64 s[10:11], s[6:7]
	s_cbranch_execz .LBB49_56
; %bb.47:
	s_andn2_b64 vcc, exec, s[8:9]
	s_cbranch_vccnz .LBB49_49
; %bb.48:
	buffer_load_dword v126, v103, s[0:3], 0 offen
	ds_read_b32 v127, v102
	s_waitcnt vmcnt(0) lgkmcnt(0)
	v_mul_f32_e32 v126, v126, v127
	s_cbranch_execz .LBB49_50
	s_branch .LBB49_51
.LBB49_49:
                                        ; implicit-def: $vgpr126
.LBB49_50:
	ds_read_b32 v126, v102
.LBB49_51:
	s_and_saveexec_b64 s[12:13], s[4:5]
	s_cbranch_execz .LBB49_55
; %bb.52:
	v_subrev_u32_e32 v127, 44, v0
	s_movk_i32 s14, 0x180
	s_mov_b64 s[4:5], 0
.LBB49_53:                              ; =>This Inner Loop Header: Depth=1
	buffer_load_dword v128, v125, s[0:3], 0 offen
	v_mov_b32_e32 v129, s14
	ds_read_b32 v129, v129
	v_add_u32_e32 v127, -1, v127
	s_add_i32 s14, s14, 4
	v_cmp_eq_u32_e32 vcc, 0, v127
	v_add_u32_e32 v125, 4, v125
	s_or_b64 s[4:5], vcc, s[4:5]
	s_waitcnt vmcnt(0) lgkmcnt(0)
	v_fmac_f32_e32 v126, v128, v129
	s_andn2_b64 exec, exec, s[4:5]
	s_cbranch_execnz .LBB49_53
; %bb.54:
	s_or_b64 exec, exec, s[4:5]
.LBB49_55:
	s_or_b64 exec, exec, s[12:13]
	v_mov_b32_e32 v125, 0
	ds_read_b32 v125, v125 offset:172
	s_waitcnt lgkmcnt(0)
	v_mul_f32_e32 v125, v126, v125
	buffer_store_dword v125, off, s[0:3], 0 offset:172
.LBB49_56:
	s_or_b64 exec, exec, s[10:11]
	buffer_load_dword v125, off, s[0:3], 0 offset:168
	v_cmp_lt_u32_e64 s[4:5], 42, v0
	s_waitcnt vmcnt(0)
	ds_write_b32 v102, v125
	s_waitcnt lgkmcnt(0)
	; wave barrier
	s_waitcnt lgkmcnt(0)
	s_and_saveexec_b64 s[10:11], s[4:5]
	s_cbranch_execz .LBB49_66
; %bb.57:
	s_andn2_b64 vcc, exec, s[8:9]
	s_cbranch_vccnz .LBB49_59
; %bb.58:
	buffer_load_dword v125, v103, s[0:3], 0 offen
	ds_read_b32 v126, v102
	s_waitcnt vmcnt(0) lgkmcnt(0)
	v_mul_f32_e32 v125, v125, v126
	s_cbranch_execz .LBB49_60
	s_branch .LBB49_61
.LBB49_59:
                                        ; implicit-def: $vgpr125
.LBB49_60:
	ds_read_b32 v125, v102
.LBB49_61:
	s_and_saveexec_b64 s[12:13], s[6:7]
	s_cbranch_execz .LBB49_65
; %bb.62:
	v_mov_b32_e32 v126, 0
	v_add_u32_e32 v126, 0xac, v126
	v_subrev_u32_e32 v127, 43, v0
	s_movk_i32 s14, 0x17c
	s_mov_b64 s[6:7], 0
.LBB49_63:                              ; =>This Inner Loop Header: Depth=1
	buffer_load_dword v128, v126, s[0:3], 0 offen
	v_mov_b32_e32 v129, s14
	ds_read_b32 v129, v129
	v_add_u32_e32 v127, -1, v127
	s_add_i32 s14, s14, 4
	v_cmp_eq_u32_e32 vcc, 0, v127
	v_add_u32_e32 v126, 4, v126
	s_or_b64 s[6:7], vcc, s[6:7]
	s_waitcnt vmcnt(0) lgkmcnt(0)
	v_fmac_f32_e32 v125, v128, v129
	s_andn2_b64 exec, exec, s[6:7]
	s_cbranch_execnz .LBB49_63
; %bb.64:
	s_or_b64 exec, exec, s[6:7]
.LBB49_65:
	s_or_b64 exec, exec, s[12:13]
	v_mov_b32_e32 v126, 0
	ds_read_b32 v126, v126 offset:168
	s_waitcnt lgkmcnt(0)
	v_mul_f32_e32 v125, v125, v126
	buffer_store_dword v125, off, s[0:3], 0 offset:168
.LBB49_66:
	s_or_b64 exec, exec, s[10:11]
	buffer_load_dword v125, off, s[0:3], 0 offset:164
	v_cmp_lt_u32_e64 s[6:7], 41, v0
	s_waitcnt vmcnt(0)
	ds_write_b32 v102, v125
	s_waitcnt lgkmcnt(0)
	; wave barrier
	s_waitcnt lgkmcnt(0)
	s_and_saveexec_b64 s[10:11], s[6:7]
	s_cbranch_execz .LBB49_76
; %bb.67:
	s_andn2_b64 vcc, exec, s[8:9]
	s_cbranch_vccnz .LBB49_69
; %bb.68:
	buffer_load_dword v125, v103, s[0:3], 0 offen
	ds_read_b32 v126, v102
	s_waitcnt vmcnt(0) lgkmcnt(0)
	v_mul_f32_e32 v125, v125, v126
	s_cbranch_execz .LBB49_70
	s_branch .LBB49_71
.LBB49_69:
                                        ; implicit-def: $vgpr125
.LBB49_70:
	ds_read_b32 v125, v102
.LBB49_71:
	s_and_saveexec_b64 s[12:13], s[4:5]
	s_cbranch_execz .LBB49_75
; %bb.72:
	v_subrev_u32_e32 v126, 42, v0
	s_movk_i32 s14, 0x178
	s_mov_b64 s[4:5], 0
.LBB49_73:                              ; =>This Inner Loop Header: Depth=1
	buffer_load_dword v127, v124, s[0:3], 0 offen
	v_mov_b32_e32 v128, s14
	ds_read_b32 v128, v128
	v_add_u32_e32 v126, -1, v126
	s_add_i32 s14, s14, 4
	v_cmp_eq_u32_e32 vcc, 0, v126
	v_add_u32_e32 v124, 4, v124
	s_or_b64 s[4:5], vcc, s[4:5]
	s_waitcnt vmcnt(0) lgkmcnt(0)
	v_fmac_f32_e32 v125, v127, v128
	s_andn2_b64 exec, exec, s[4:5]
	s_cbranch_execnz .LBB49_73
; %bb.74:
	s_or_b64 exec, exec, s[4:5]
.LBB49_75:
	s_or_b64 exec, exec, s[12:13]
	v_mov_b32_e32 v124, 0
	ds_read_b32 v124, v124 offset:164
	s_waitcnt lgkmcnt(0)
	v_mul_f32_e32 v124, v125, v124
	buffer_store_dword v124, off, s[0:3], 0 offset:164
.LBB49_76:
	s_or_b64 exec, exec, s[10:11]
	buffer_load_dword v124, off, s[0:3], 0 offset:160
	v_cmp_lt_u32_e64 s[4:5], 40, v0
	s_waitcnt vmcnt(0)
	ds_write_b32 v102, v124
	s_waitcnt lgkmcnt(0)
	; wave barrier
	s_waitcnt lgkmcnt(0)
	s_and_saveexec_b64 s[10:11], s[4:5]
	s_cbranch_execz .LBB49_86
; %bb.77:
	s_andn2_b64 vcc, exec, s[8:9]
	s_cbranch_vccnz .LBB49_79
; %bb.78:
	buffer_load_dword v124, v103, s[0:3], 0 offen
	ds_read_b32 v125, v102
	s_waitcnt vmcnt(0) lgkmcnt(0)
	v_mul_f32_e32 v124, v124, v125
	s_cbranch_execz .LBB49_80
	s_branch .LBB49_81
.LBB49_79:
                                        ; implicit-def: $vgpr124
.LBB49_80:
	ds_read_b32 v124, v102
.LBB49_81:
	s_and_saveexec_b64 s[12:13], s[6:7]
	s_cbranch_execz .LBB49_85
; %bb.82:
	v_mov_b32_e32 v125, 0
	v_add_u32_e32 v125, 0xa4, v125
	v_subrev_u32_e32 v126, 41, v0
	s_movk_i32 s14, 0x174
	s_mov_b64 s[6:7], 0
.LBB49_83:                              ; =>This Inner Loop Header: Depth=1
	buffer_load_dword v127, v125, s[0:3], 0 offen
	v_mov_b32_e32 v128, s14
	ds_read_b32 v128, v128
	v_add_u32_e32 v126, -1, v126
	s_add_i32 s14, s14, 4
	v_cmp_eq_u32_e32 vcc, 0, v126
	v_add_u32_e32 v125, 4, v125
	s_or_b64 s[6:7], vcc, s[6:7]
	s_waitcnt vmcnt(0) lgkmcnt(0)
	v_fmac_f32_e32 v124, v127, v128
	s_andn2_b64 exec, exec, s[6:7]
	s_cbranch_execnz .LBB49_83
; %bb.84:
	s_or_b64 exec, exec, s[6:7]
.LBB49_85:
	s_or_b64 exec, exec, s[12:13]
	v_mov_b32_e32 v125, 0
	ds_read_b32 v125, v125 offset:160
	s_waitcnt lgkmcnt(0)
	v_mul_f32_e32 v124, v124, v125
	buffer_store_dword v124, off, s[0:3], 0 offset:160
.LBB49_86:
	s_or_b64 exec, exec, s[10:11]
	buffer_load_dword v124, off, s[0:3], 0 offset:156
	v_cmp_lt_u32_e64 s[6:7], 39, v0
	s_waitcnt vmcnt(0)
	ds_write_b32 v102, v124
	s_waitcnt lgkmcnt(0)
	; wave barrier
	s_waitcnt lgkmcnt(0)
	s_and_saveexec_b64 s[10:11], s[6:7]
	s_cbranch_execz .LBB49_96
; %bb.87:
	s_andn2_b64 vcc, exec, s[8:9]
	s_cbranch_vccnz .LBB49_89
; %bb.88:
	buffer_load_dword v124, v103, s[0:3], 0 offen
	ds_read_b32 v125, v102
	s_waitcnt vmcnt(0) lgkmcnt(0)
	v_mul_f32_e32 v124, v124, v125
	s_cbranch_execz .LBB49_90
	s_branch .LBB49_91
.LBB49_89:
                                        ; implicit-def: $vgpr124
.LBB49_90:
	ds_read_b32 v124, v102
.LBB49_91:
	s_and_saveexec_b64 s[12:13], s[4:5]
	s_cbranch_execz .LBB49_95
; %bb.92:
	v_subrev_u32_e32 v125, 40, v0
	s_movk_i32 s14, 0x170
	s_mov_b64 s[4:5], 0
.LBB49_93:                              ; =>This Inner Loop Header: Depth=1
	buffer_load_dword v126, v123, s[0:3], 0 offen
	v_mov_b32_e32 v127, s14
	ds_read_b32 v127, v127
	v_add_u32_e32 v125, -1, v125
	s_add_i32 s14, s14, 4
	v_cmp_eq_u32_e32 vcc, 0, v125
	v_add_u32_e32 v123, 4, v123
	s_or_b64 s[4:5], vcc, s[4:5]
	s_waitcnt vmcnt(0) lgkmcnt(0)
	v_fmac_f32_e32 v124, v126, v127
	s_andn2_b64 exec, exec, s[4:5]
	s_cbranch_execnz .LBB49_93
; %bb.94:
	s_or_b64 exec, exec, s[4:5]
.LBB49_95:
	s_or_b64 exec, exec, s[12:13]
	v_mov_b32_e32 v123, 0
	ds_read_b32 v123, v123 offset:156
	s_waitcnt lgkmcnt(0)
	v_mul_f32_e32 v123, v124, v123
	buffer_store_dword v123, off, s[0:3], 0 offset:156
.LBB49_96:
	s_or_b64 exec, exec, s[10:11]
	buffer_load_dword v123, off, s[0:3], 0 offset:152
	v_cmp_lt_u32_e64 s[4:5], 38, v0
	s_waitcnt vmcnt(0)
	ds_write_b32 v102, v123
	s_waitcnt lgkmcnt(0)
	; wave barrier
	s_waitcnt lgkmcnt(0)
	s_and_saveexec_b64 s[10:11], s[4:5]
	s_cbranch_execz .LBB49_106
; %bb.97:
	s_andn2_b64 vcc, exec, s[8:9]
	s_cbranch_vccnz .LBB49_99
; %bb.98:
	buffer_load_dword v123, v103, s[0:3], 0 offen
	ds_read_b32 v124, v102
	s_waitcnt vmcnt(0) lgkmcnt(0)
	v_mul_f32_e32 v123, v123, v124
	s_cbranch_execz .LBB49_100
	s_branch .LBB49_101
.LBB49_99:
                                        ; implicit-def: $vgpr123
.LBB49_100:
	ds_read_b32 v123, v102
.LBB49_101:
	s_and_saveexec_b64 s[12:13], s[6:7]
	s_cbranch_execz .LBB49_105
; %bb.102:
	v_mov_b32_e32 v124, 0
	v_add_u32_e32 v124, 0x9c, v124
	v_subrev_u32_e32 v125, 39, v0
	s_movk_i32 s14, 0x16c
	s_mov_b64 s[6:7], 0
.LBB49_103:                             ; =>This Inner Loop Header: Depth=1
	buffer_load_dword v126, v124, s[0:3], 0 offen
	v_mov_b32_e32 v127, s14
	ds_read_b32 v127, v127
	v_add_u32_e32 v125, -1, v125
	s_add_i32 s14, s14, 4
	v_cmp_eq_u32_e32 vcc, 0, v125
	v_add_u32_e32 v124, 4, v124
	s_or_b64 s[6:7], vcc, s[6:7]
	s_waitcnt vmcnt(0) lgkmcnt(0)
	v_fmac_f32_e32 v123, v126, v127
	s_andn2_b64 exec, exec, s[6:7]
	s_cbranch_execnz .LBB49_103
; %bb.104:
	s_or_b64 exec, exec, s[6:7]
.LBB49_105:
	s_or_b64 exec, exec, s[12:13]
	v_mov_b32_e32 v124, 0
	ds_read_b32 v124, v124 offset:152
	s_waitcnt lgkmcnt(0)
	v_mul_f32_e32 v123, v123, v124
	buffer_store_dword v123, off, s[0:3], 0 offset:152
.LBB49_106:
	s_or_b64 exec, exec, s[10:11]
	buffer_load_dword v123, off, s[0:3], 0 offset:148
	v_cmp_lt_u32_e64 s[6:7], 37, v0
	s_waitcnt vmcnt(0)
	ds_write_b32 v102, v123
	s_waitcnt lgkmcnt(0)
	; wave barrier
	s_waitcnt lgkmcnt(0)
	s_and_saveexec_b64 s[10:11], s[6:7]
	s_cbranch_execz .LBB49_116
; %bb.107:
	s_andn2_b64 vcc, exec, s[8:9]
	s_cbranch_vccnz .LBB49_109
; %bb.108:
	buffer_load_dword v123, v103, s[0:3], 0 offen
	ds_read_b32 v124, v102
	s_waitcnt vmcnt(0) lgkmcnt(0)
	v_mul_f32_e32 v123, v123, v124
	s_cbranch_execz .LBB49_110
	s_branch .LBB49_111
.LBB49_109:
                                        ; implicit-def: $vgpr123
.LBB49_110:
	ds_read_b32 v123, v102
.LBB49_111:
	s_and_saveexec_b64 s[12:13], s[4:5]
	s_cbranch_execz .LBB49_115
; %bb.112:
	v_subrev_u32_e32 v124, 38, v0
	s_movk_i32 s14, 0x168
	s_mov_b64 s[4:5], 0
.LBB49_113:                             ; =>This Inner Loop Header: Depth=1
	buffer_load_dword v125, v122, s[0:3], 0 offen
	v_mov_b32_e32 v126, s14
	ds_read_b32 v126, v126
	v_add_u32_e32 v124, -1, v124
	s_add_i32 s14, s14, 4
	v_cmp_eq_u32_e32 vcc, 0, v124
	v_add_u32_e32 v122, 4, v122
	s_or_b64 s[4:5], vcc, s[4:5]
	s_waitcnt vmcnt(0) lgkmcnt(0)
	v_fmac_f32_e32 v123, v125, v126
	s_andn2_b64 exec, exec, s[4:5]
	s_cbranch_execnz .LBB49_113
; %bb.114:
	s_or_b64 exec, exec, s[4:5]
.LBB49_115:
	s_or_b64 exec, exec, s[12:13]
	v_mov_b32_e32 v122, 0
	ds_read_b32 v122, v122 offset:148
	s_waitcnt lgkmcnt(0)
	v_mul_f32_e32 v122, v123, v122
	buffer_store_dword v122, off, s[0:3], 0 offset:148
.LBB49_116:
	s_or_b64 exec, exec, s[10:11]
	buffer_load_dword v122, off, s[0:3], 0 offset:144
	v_cmp_lt_u32_e64 s[4:5], 36, v0
	s_waitcnt vmcnt(0)
	ds_write_b32 v102, v122
	s_waitcnt lgkmcnt(0)
	; wave barrier
	s_waitcnt lgkmcnt(0)
	s_and_saveexec_b64 s[10:11], s[4:5]
	s_cbranch_execz .LBB49_126
; %bb.117:
	s_andn2_b64 vcc, exec, s[8:9]
	s_cbranch_vccnz .LBB49_119
; %bb.118:
	buffer_load_dword v122, v103, s[0:3], 0 offen
	ds_read_b32 v123, v102
	s_waitcnt vmcnt(0) lgkmcnt(0)
	v_mul_f32_e32 v122, v122, v123
	s_cbranch_execz .LBB49_120
	s_branch .LBB49_121
.LBB49_119:
                                        ; implicit-def: $vgpr122
.LBB49_120:
	ds_read_b32 v122, v102
.LBB49_121:
	s_and_saveexec_b64 s[12:13], s[6:7]
	s_cbranch_execz .LBB49_125
; %bb.122:
	v_mov_b32_e32 v123, 0
	v_add_u32_e32 v123, 0x94, v123
	v_subrev_u32_e32 v124, 37, v0
	s_movk_i32 s14, 0x164
	s_mov_b64 s[6:7], 0
.LBB49_123:                             ; =>This Inner Loop Header: Depth=1
	buffer_load_dword v125, v123, s[0:3], 0 offen
	v_mov_b32_e32 v126, s14
	ds_read_b32 v126, v126
	v_add_u32_e32 v124, -1, v124
	s_add_i32 s14, s14, 4
	v_cmp_eq_u32_e32 vcc, 0, v124
	v_add_u32_e32 v123, 4, v123
	s_or_b64 s[6:7], vcc, s[6:7]
	s_waitcnt vmcnt(0) lgkmcnt(0)
	v_fmac_f32_e32 v122, v125, v126
	s_andn2_b64 exec, exec, s[6:7]
	s_cbranch_execnz .LBB49_123
; %bb.124:
	s_or_b64 exec, exec, s[6:7]
.LBB49_125:
	s_or_b64 exec, exec, s[12:13]
	v_mov_b32_e32 v123, 0
	ds_read_b32 v123, v123 offset:144
	s_waitcnt lgkmcnt(0)
	v_mul_f32_e32 v122, v122, v123
	buffer_store_dword v122, off, s[0:3], 0 offset:144
.LBB49_126:
	s_or_b64 exec, exec, s[10:11]
	buffer_load_dword v122, off, s[0:3], 0 offset:140
	v_cmp_lt_u32_e64 s[6:7], 35, v0
	s_waitcnt vmcnt(0)
	ds_write_b32 v102, v122
	s_waitcnt lgkmcnt(0)
	; wave barrier
	s_waitcnt lgkmcnt(0)
	s_and_saveexec_b64 s[10:11], s[6:7]
	s_cbranch_execz .LBB49_136
; %bb.127:
	s_andn2_b64 vcc, exec, s[8:9]
	s_cbranch_vccnz .LBB49_129
; %bb.128:
	buffer_load_dword v122, v103, s[0:3], 0 offen
	ds_read_b32 v123, v102
	s_waitcnt vmcnt(0) lgkmcnt(0)
	v_mul_f32_e32 v122, v122, v123
	s_cbranch_execz .LBB49_130
	s_branch .LBB49_131
.LBB49_129:
                                        ; implicit-def: $vgpr122
.LBB49_130:
	ds_read_b32 v122, v102
.LBB49_131:
	s_and_saveexec_b64 s[12:13], s[4:5]
	s_cbranch_execz .LBB49_135
; %bb.132:
	v_subrev_u32_e32 v123, 36, v0
	s_movk_i32 s14, 0x160
	s_mov_b64 s[4:5], 0
.LBB49_133:                             ; =>This Inner Loop Header: Depth=1
	buffer_load_dword v124, v121, s[0:3], 0 offen
	v_mov_b32_e32 v125, s14
	ds_read_b32 v125, v125
	v_add_u32_e32 v123, -1, v123
	s_add_i32 s14, s14, 4
	v_cmp_eq_u32_e32 vcc, 0, v123
	v_add_u32_e32 v121, 4, v121
	s_or_b64 s[4:5], vcc, s[4:5]
	s_waitcnt vmcnt(0) lgkmcnt(0)
	v_fmac_f32_e32 v122, v124, v125
	s_andn2_b64 exec, exec, s[4:5]
	s_cbranch_execnz .LBB49_133
; %bb.134:
	s_or_b64 exec, exec, s[4:5]
.LBB49_135:
	s_or_b64 exec, exec, s[12:13]
	v_mov_b32_e32 v121, 0
	ds_read_b32 v121, v121 offset:140
	s_waitcnt lgkmcnt(0)
	v_mul_f32_e32 v121, v122, v121
	buffer_store_dword v121, off, s[0:3], 0 offset:140
.LBB49_136:
	s_or_b64 exec, exec, s[10:11]
	buffer_load_dword v121, off, s[0:3], 0 offset:136
	v_cmp_lt_u32_e64 s[4:5], 34, v0
	s_waitcnt vmcnt(0)
	ds_write_b32 v102, v121
	s_waitcnt lgkmcnt(0)
	; wave barrier
	s_waitcnt lgkmcnt(0)
	s_and_saveexec_b64 s[10:11], s[4:5]
	s_cbranch_execz .LBB49_146
; %bb.137:
	s_andn2_b64 vcc, exec, s[8:9]
	s_cbranch_vccnz .LBB49_139
; %bb.138:
	buffer_load_dword v121, v103, s[0:3], 0 offen
	ds_read_b32 v122, v102
	s_waitcnt vmcnt(0) lgkmcnt(0)
	v_mul_f32_e32 v121, v121, v122
	s_cbranch_execz .LBB49_140
	s_branch .LBB49_141
.LBB49_139:
                                        ; implicit-def: $vgpr121
.LBB49_140:
	ds_read_b32 v121, v102
.LBB49_141:
	s_and_saveexec_b64 s[12:13], s[6:7]
	s_cbranch_execz .LBB49_145
; %bb.142:
	v_mov_b32_e32 v122, 0
	v_add_u32_e32 v122, 0x8c, v122
	v_subrev_u32_e32 v123, 35, v0
	s_movk_i32 s14, 0x15c
	s_mov_b64 s[6:7], 0
.LBB49_143:                             ; =>This Inner Loop Header: Depth=1
	buffer_load_dword v124, v122, s[0:3], 0 offen
	v_mov_b32_e32 v125, s14
	ds_read_b32 v125, v125
	v_add_u32_e32 v123, -1, v123
	s_add_i32 s14, s14, 4
	v_cmp_eq_u32_e32 vcc, 0, v123
	v_add_u32_e32 v122, 4, v122
	s_or_b64 s[6:7], vcc, s[6:7]
	s_waitcnt vmcnt(0) lgkmcnt(0)
	v_fmac_f32_e32 v121, v124, v125
	s_andn2_b64 exec, exec, s[6:7]
	s_cbranch_execnz .LBB49_143
; %bb.144:
	s_or_b64 exec, exec, s[6:7]
.LBB49_145:
	s_or_b64 exec, exec, s[12:13]
	v_mov_b32_e32 v122, 0
	ds_read_b32 v122, v122 offset:136
	s_waitcnt lgkmcnt(0)
	v_mul_f32_e32 v121, v121, v122
	buffer_store_dword v121, off, s[0:3], 0 offset:136
.LBB49_146:
	s_or_b64 exec, exec, s[10:11]
	buffer_load_dword v121, off, s[0:3], 0 offset:132
	v_cmp_lt_u32_e64 s[6:7], 33, v0
	s_waitcnt vmcnt(0)
	ds_write_b32 v102, v121
	s_waitcnt lgkmcnt(0)
	; wave barrier
	s_waitcnt lgkmcnt(0)
	s_and_saveexec_b64 s[10:11], s[6:7]
	s_cbranch_execz .LBB49_156
; %bb.147:
	s_andn2_b64 vcc, exec, s[8:9]
	s_cbranch_vccnz .LBB49_149
; %bb.148:
	buffer_load_dword v121, v103, s[0:3], 0 offen
	ds_read_b32 v122, v102
	s_waitcnt vmcnt(0) lgkmcnt(0)
	v_mul_f32_e32 v121, v121, v122
	s_cbranch_execz .LBB49_150
	s_branch .LBB49_151
.LBB49_149:
                                        ; implicit-def: $vgpr121
.LBB49_150:
	ds_read_b32 v121, v102
.LBB49_151:
	s_and_saveexec_b64 s[12:13], s[4:5]
	s_cbranch_execz .LBB49_155
; %bb.152:
	v_subrev_u32_e32 v122, 34, v0
	s_movk_i32 s14, 0x158
	s_mov_b64 s[4:5], 0
.LBB49_153:                             ; =>This Inner Loop Header: Depth=1
	buffer_load_dword v123, v120, s[0:3], 0 offen
	v_mov_b32_e32 v124, s14
	ds_read_b32 v124, v124
	v_add_u32_e32 v122, -1, v122
	s_add_i32 s14, s14, 4
	v_cmp_eq_u32_e32 vcc, 0, v122
	v_add_u32_e32 v120, 4, v120
	s_or_b64 s[4:5], vcc, s[4:5]
	s_waitcnt vmcnt(0) lgkmcnt(0)
	v_fmac_f32_e32 v121, v123, v124
	s_andn2_b64 exec, exec, s[4:5]
	s_cbranch_execnz .LBB49_153
; %bb.154:
	s_or_b64 exec, exec, s[4:5]
.LBB49_155:
	s_or_b64 exec, exec, s[12:13]
	v_mov_b32_e32 v120, 0
	ds_read_b32 v120, v120 offset:132
	s_waitcnt lgkmcnt(0)
	v_mul_f32_e32 v120, v121, v120
	buffer_store_dword v120, off, s[0:3], 0 offset:132
.LBB49_156:
	s_or_b64 exec, exec, s[10:11]
	buffer_load_dword v120, off, s[0:3], 0 offset:128
	v_cmp_lt_u32_e64 s[4:5], 32, v0
	s_waitcnt vmcnt(0)
	ds_write_b32 v102, v120
	s_waitcnt lgkmcnt(0)
	; wave barrier
	s_waitcnt lgkmcnt(0)
	s_and_saveexec_b64 s[10:11], s[4:5]
	s_cbranch_execz .LBB49_166
; %bb.157:
	s_andn2_b64 vcc, exec, s[8:9]
	s_cbranch_vccnz .LBB49_159
; %bb.158:
	buffer_load_dword v120, v103, s[0:3], 0 offen
	ds_read_b32 v121, v102
	s_waitcnt vmcnt(0) lgkmcnt(0)
	v_mul_f32_e32 v120, v120, v121
	s_cbranch_execz .LBB49_160
	s_branch .LBB49_161
.LBB49_159:
                                        ; implicit-def: $vgpr120
.LBB49_160:
	ds_read_b32 v120, v102
.LBB49_161:
	s_and_saveexec_b64 s[12:13], s[6:7]
	s_cbranch_execz .LBB49_165
; %bb.162:
	v_mov_b32_e32 v121, 0
	v_add_u32_e32 v121, 0x84, v121
	v_subrev_u32_e32 v122, 33, v0
	s_movk_i32 s14, 0x154
	s_mov_b64 s[6:7], 0
.LBB49_163:                             ; =>This Inner Loop Header: Depth=1
	buffer_load_dword v123, v121, s[0:3], 0 offen
	v_mov_b32_e32 v124, s14
	ds_read_b32 v124, v124
	v_add_u32_e32 v122, -1, v122
	s_add_i32 s14, s14, 4
	v_cmp_eq_u32_e32 vcc, 0, v122
	v_add_u32_e32 v121, 4, v121
	s_or_b64 s[6:7], vcc, s[6:7]
	s_waitcnt vmcnt(0) lgkmcnt(0)
	v_fmac_f32_e32 v120, v123, v124
	s_andn2_b64 exec, exec, s[6:7]
	s_cbranch_execnz .LBB49_163
; %bb.164:
	s_or_b64 exec, exec, s[6:7]
.LBB49_165:
	s_or_b64 exec, exec, s[12:13]
	v_mov_b32_e32 v121, 0
	ds_read_b32 v121, v121 offset:128
	s_waitcnt lgkmcnt(0)
	v_mul_f32_e32 v120, v120, v121
	buffer_store_dword v120, off, s[0:3], 0 offset:128
.LBB49_166:
	s_or_b64 exec, exec, s[10:11]
	buffer_load_dword v120, off, s[0:3], 0 offset:124
	v_cmp_lt_u32_e64 s[6:7], 31, v0
	s_waitcnt vmcnt(0)
	ds_write_b32 v102, v120
	s_waitcnt lgkmcnt(0)
	; wave barrier
	s_waitcnt lgkmcnt(0)
	s_and_saveexec_b64 s[10:11], s[6:7]
	s_cbranch_execz .LBB49_176
; %bb.167:
	s_andn2_b64 vcc, exec, s[8:9]
	s_cbranch_vccnz .LBB49_169
; %bb.168:
	buffer_load_dword v120, v103, s[0:3], 0 offen
	ds_read_b32 v121, v102
	s_waitcnt vmcnt(0) lgkmcnt(0)
	v_mul_f32_e32 v120, v120, v121
	s_cbranch_execz .LBB49_170
	s_branch .LBB49_171
.LBB49_169:
                                        ; implicit-def: $vgpr120
.LBB49_170:
	ds_read_b32 v120, v102
.LBB49_171:
	s_and_saveexec_b64 s[12:13], s[4:5]
	s_cbranch_execz .LBB49_175
; %bb.172:
	v_subrev_u32_e32 v121, 32, v0
	s_movk_i32 s14, 0x150
	s_mov_b64 s[4:5], 0
.LBB49_173:                             ; =>This Inner Loop Header: Depth=1
	buffer_load_dword v122, v119, s[0:3], 0 offen
	v_mov_b32_e32 v123, s14
	ds_read_b32 v123, v123
	v_add_u32_e32 v121, -1, v121
	s_add_i32 s14, s14, 4
	v_cmp_eq_u32_e32 vcc, 0, v121
	v_add_u32_e32 v119, 4, v119
	s_or_b64 s[4:5], vcc, s[4:5]
	s_waitcnt vmcnt(0) lgkmcnt(0)
	v_fmac_f32_e32 v120, v122, v123
	s_andn2_b64 exec, exec, s[4:5]
	s_cbranch_execnz .LBB49_173
; %bb.174:
	s_or_b64 exec, exec, s[4:5]
.LBB49_175:
	s_or_b64 exec, exec, s[12:13]
	v_mov_b32_e32 v119, 0
	ds_read_b32 v119, v119 offset:124
	s_waitcnt lgkmcnt(0)
	v_mul_f32_e32 v119, v120, v119
	buffer_store_dword v119, off, s[0:3], 0 offset:124
.LBB49_176:
	s_or_b64 exec, exec, s[10:11]
	buffer_load_dword v119, off, s[0:3], 0 offset:120
	v_cmp_lt_u32_e64 s[4:5], 30, v0
	s_waitcnt vmcnt(0)
	ds_write_b32 v102, v119
	s_waitcnt lgkmcnt(0)
	; wave barrier
	s_waitcnt lgkmcnt(0)
	s_and_saveexec_b64 s[10:11], s[4:5]
	s_cbranch_execz .LBB49_186
; %bb.177:
	s_andn2_b64 vcc, exec, s[8:9]
	s_cbranch_vccnz .LBB49_179
; %bb.178:
	buffer_load_dword v119, v103, s[0:3], 0 offen
	ds_read_b32 v120, v102
	s_waitcnt vmcnt(0) lgkmcnt(0)
	v_mul_f32_e32 v119, v119, v120
	s_cbranch_execz .LBB49_180
	s_branch .LBB49_181
.LBB49_179:
                                        ; implicit-def: $vgpr119
.LBB49_180:
	ds_read_b32 v119, v102
.LBB49_181:
	s_and_saveexec_b64 s[12:13], s[6:7]
	s_cbranch_execz .LBB49_185
; %bb.182:
	v_mov_b32_e32 v120, 0
	v_add_u32_e32 v120, 0x7c, v120
	v_subrev_u32_e32 v121, 31, v0
	s_movk_i32 s14, 0x14c
	s_mov_b64 s[6:7], 0
.LBB49_183:                             ; =>This Inner Loop Header: Depth=1
	buffer_load_dword v122, v120, s[0:3], 0 offen
	v_mov_b32_e32 v123, s14
	ds_read_b32 v123, v123
	v_add_u32_e32 v121, -1, v121
	s_add_i32 s14, s14, 4
	v_cmp_eq_u32_e32 vcc, 0, v121
	v_add_u32_e32 v120, 4, v120
	s_or_b64 s[6:7], vcc, s[6:7]
	s_waitcnt vmcnt(0) lgkmcnt(0)
	v_fmac_f32_e32 v119, v122, v123
	s_andn2_b64 exec, exec, s[6:7]
	s_cbranch_execnz .LBB49_183
; %bb.184:
	s_or_b64 exec, exec, s[6:7]
.LBB49_185:
	s_or_b64 exec, exec, s[12:13]
	v_mov_b32_e32 v120, 0
	ds_read_b32 v120, v120 offset:120
	s_waitcnt lgkmcnt(0)
	v_mul_f32_e32 v119, v119, v120
	buffer_store_dword v119, off, s[0:3], 0 offset:120
.LBB49_186:
	s_or_b64 exec, exec, s[10:11]
	buffer_load_dword v119, off, s[0:3], 0 offset:116
	v_cmp_lt_u32_e64 s[6:7], 29, v0
	s_waitcnt vmcnt(0)
	ds_write_b32 v102, v119
	s_waitcnt lgkmcnt(0)
	; wave barrier
	s_waitcnt lgkmcnt(0)
	s_and_saveexec_b64 s[10:11], s[6:7]
	s_cbranch_execz .LBB49_196
; %bb.187:
	s_andn2_b64 vcc, exec, s[8:9]
	s_cbranch_vccnz .LBB49_189
; %bb.188:
	buffer_load_dword v119, v103, s[0:3], 0 offen
	ds_read_b32 v120, v102
	s_waitcnt vmcnt(0) lgkmcnt(0)
	v_mul_f32_e32 v119, v119, v120
	s_cbranch_execz .LBB49_190
	s_branch .LBB49_191
.LBB49_189:
                                        ; implicit-def: $vgpr119
.LBB49_190:
	ds_read_b32 v119, v102
.LBB49_191:
	s_and_saveexec_b64 s[12:13], s[4:5]
	s_cbranch_execz .LBB49_195
; %bb.192:
	v_subrev_u32_e32 v120, 30, v0
	s_movk_i32 s14, 0x148
	s_mov_b64 s[4:5], 0
.LBB49_193:                             ; =>This Inner Loop Header: Depth=1
	buffer_load_dword v121, v118, s[0:3], 0 offen
	v_mov_b32_e32 v122, s14
	ds_read_b32 v122, v122
	v_add_u32_e32 v120, -1, v120
	s_add_i32 s14, s14, 4
	v_cmp_eq_u32_e32 vcc, 0, v120
	v_add_u32_e32 v118, 4, v118
	s_or_b64 s[4:5], vcc, s[4:5]
	s_waitcnt vmcnt(0) lgkmcnt(0)
	v_fmac_f32_e32 v119, v121, v122
	s_andn2_b64 exec, exec, s[4:5]
	s_cbranch_execnz .LBB49_193
; %bb.194:
	s_or_b64 exec, exec, s[4:5]
.LBB49_195:
	s_or_b64 exec, exec, s[12:13]
	v_mov_b32_e32 v118, 0
	ds_read_b32 v118, v118 offset:116
	s_waitcnt lgkmcnt(0)
	v_mul_f32_e32 v118, v119, v118
	buffer_store_dword v118, off, s[0:3], 0 offset:116
.LBB49_196:
	s_or_b64 exec, exec, s[10:11]
	buffer_load_dword v118, off, s[0:3], 0 offset:112
	v_cmp_lt_u32_e64 s[4:5], 28, v0
	s_waitcnt vmcnt(0)
	ds_write_b32 v102, v118
	s_waitcnt lgkmcnt(0)
	; wave barrier
	s_waitcnt lgkmcnt(0)
	s_and_saveexec_b64 s[10:11], s[4:5]
	s_cbranch_execz .LBB49_206
; %bb.197:
	s_andn2_b64 vcc, exec, s[8:9]
	s_cbranch_vccnz .LBB49_199
; %bb.198:
	buffer_load_dword v118, v103, s[0:3], 0 offen
	ds_read_b32 v119, v102
	s_waitcnt vmcnt(0) lgkmcnt(0)
	v_mul_f32_e32 v118, v118, v119
	s_cbranch_execz .LBB49_200
	s_branch .LBB49_201
.LBB49_199:
                                        ; implicit-def: $vgpr118
.LBB49_200:
	ds_read_b32 v118, v102
.LBB49_201:
	s_and_saveexec_b64 s[12:13], s[6:7]
	s_cbranch_execz .LBB49_205
; %bb.202:
	v_mov_b32_e32 v119, 0
	v_add_u32_e32 v119, 0x74, v119
	v_subrev_u32_e32 v120, 29, v0
	s_movk_i32 s14, 0x144
	s_mov_b64 s[6:7], 0
.LBB49_203:                             ; =>This Inner Loop Header: Depth=1
	buffer_load_dword v121, v119, s[0:3], 0 offen
	v_mov_b32_e32 v122, s14
	ds_read_b32 v122, v122
	v_add_u32_e32 v120, -1, v120
	s_add_i32 s14, s14, 4
	v_cmp_eq_u32_e32 vcc, 0, v120
	v_add_u32_e32 v119, 4, v119
	s_or_b64 s[6:7], vcc, s[6:7]
	s_waitcnt vmcnt(0) lgkmcnt(0)
	v_fmac_f32_e32 v118, v121, v122
	s_andn2_b64 exec, exec, s[6:7]
	s_cbranch_execnz .LBB49_203
; %bb.204:
	s_or_b64 exec, exec, s[6:7]
.LBB49_205:
	s_or_b64 exec, exec, s[12:13]
	v_mov_b32_e32 v119, 0
	ds_read_b32 v119, v119 offset:112
	s_waitcnt lgkmcnt(0)
	v_mul_f32_e32 v118, v118, v119
	buffer_store_dword v118, off, s[0:3], 0 offset:112
.LBB49_206:
	s_or_b64 exec, exec, s[10:11]
	buffer_load_dword v118, off, s[0:3], 0 offset:108
	v_cmp_lt_u32_e64 s[6:7], 27, v0
	s_waitcnt vmcnt(0)
	ds_write_b32 v102, v118
	s_waitcnt lgkmcnt(0)
	; wave barrier
	s_waitcnt lgkmcnt(0)
	s_and_saveexec_b64 s[10:11], s[6:7]
	s_cbranch_execz .LBB49_216
; %bb.207:
	s_andn2_b64 vcc, exec, s[8:9]
	s_cbranch_vccnz .LBB49_209
; %bb.208:
	buffer_load_dword v118, v103, s[0:3], 0 offen
	ds_read_b32 v119, v102
	s_waitcnt vmcnt(0) lgkmcnt(0)
	v_mul_f32_e32 v118, v118, v119
	s_cbranch_execz .LBB49_210
	s_branch .LBB49_211
.LBB49_209:
                                        ; implicit-def: $vgpr118
.LBB49_210:
	ds_read_b32 v118, v102
.LBB49_211:
	s_and_saveexec_b64 s[12:13], s[4:5]
	s_cbranch_execz .LBB49_215
; %bb.212:
	v_subrev_u32_e32 v119, 28, v0
	s_movk_i32 s14, 0x140
	s_mov_b64 s[4:5], 0
.LBB49_213:                             ; =>This Inner Loop Header: Depth=1
	buffer_load_dword v120, v117, s[0:3], 0 offen
	v_mov_b32_e32 v121, s14
	ds_read_b32 v121, v121
	v_add_u32_e32 v119, -1, v119
	s_add_i32 s14, s14, 4
	v_cmp_eq_u32_e32 vcc, 0, v119
	v_add_u32_e32 v117, 4, v117
	s_or_b64 s[4:5], vcc, s[4:5]
	s_waitcnt vmcnt(0) lgkmcnt(0)
	v_fmac_f32_e32 v118, v120, v121
	s_andn2_b64 exec, exec, s[4:5]
	s_cbranch_execnz .LBB49_213
; %bb.214:
	s_or_b64 exec, exec, s[4:5]
.LBB49_215:
	s_or_b64 exec, exec, s[12:13]
	v_mov_b32_e32 v117, 0
	ds_read_b32 v117, v117 offset:108
	s_waitcnt lgkmcnt(0)
	v_mul_f32_e32 v117, v118, v117
	buffer_store_dword v117, off, s[0:3], 0 offset:108
.LBB49_216:
	s_or_b64 exec, exec, s[10:11]
	buffer_load_dword v117, off, s[0:3], 0 offset:104
	v_cmp_lt_u32_e64 s[4:5], 26, v0
	s_waitcnt vmcnt(0)
	ds_write_b32 v102, v117
	s_waitcnt lgkmcnt(0)
	; wave barrier
	s_waitcnt lgkmcnt(0)
	s_and_saveexec_b64 s[10:11], s[4:5]
	s_cbranch_execz .LBB49_226
; %bb.217:
	s_andn2_b64 vcc, exec, s[8:9]
	s_cbranch_vccnz .LBB49_219
; %bb.218:
	buffer_load_dword v117, v103, s[0:3], 0 offen
	ds_read_b32 v118, v102
	s_waitcnt vmcnt(0) lgkmcnt(0)
	v_mul_f32_e32 v117, v117, v118
	s_cbranch_execz .LBB49_220
	s_branch .LBB49_221
.LBB49_219:
                                        ; implicit-def: $vgpr117
.LBB49_220:
	ds_read_b32 v117, v102
.LBB49_221:
	s_and_saveexec_b64 s[12:13], s[6:7]
	s_cbranch_execz .LBB49_225
; %bb.222:
	v_mov_b32_e32 v118, 0
	v_add_u32_e32 v118, 0x6c, v118
	v_subrev_u32_e32 v119, 27, v0
	s_movk_i32 s14, 0x13c
	s_mov_b64 s[6:7], 0
.LBB49_223:                             ; =>This Inner Loop Header: Depth=1
	buffer_load_dword v120, v118, s[0:3], 0 offen
	v_mov_b32_e32 v121, s14
	ds_read_b32 v121, v121
	v_add_u32_e32 v119, -1, v119
	s_add_i32 s14, s14, 4
	v_cmp_eq_u32_e32 vcc, 0, v119
	v_add_u32_e32 v118, 4, v118
	s_or_b64 s[6:7], vcc, s[6:7]
	s_waitcnt vmcnt(0) lgkmcnt(0)
	v_fmac_f32_e32 v117, v120, v121
	s_andn2_b64 exec, exec, s[6:7]
	s_cbranch_execnz .LBB49_223
; %bb.224:
	s_or_b64 exec, exec, s[6:7]
.LBB49_225:
	s_or_b64 exec, exec, s[12:13]
	v_mov_b32_e32 v118, 0
	ds_read_b32 v118, v118 offset:104
	s_waitcnt lgkmcnt(0)
	v_mul_f32_e32 v117, v117, v118
	buffer_store_dword v117, off, s[0:3], 0 offset:104
.LBB49_226:
	s_or_b64 exec, exec, s[10:11]
	buffer_load_dword v117, off, s[0:3], 0 offset:100
	v_cmp_lt_u32_e64 s[6:7], 25, v0
	s_waitcnt vmcnt(0)
	ds_write_b32 v102, v117
	s_waitcnt lgkmcnt(0)
	; wave barrier
	s_waitcnt lgkmcnt(0)
	s_and_saveexec_b64 s[10:11], s[6:7]
	s_cbranch_execz .LBB49_236
; %bb.227:
	s_andn2_b64 vcc, exec, s[8:9]
	s_cbranch_vccnz .LBB49_229
; %bb.228:
	buffer_load_dword v117, v103, s[0:3], 0 offen
	ds_read_b32 v118, v102
	s_waitcnt vmcnt(0) lgkmcnt(0)
	v_mul_f32_e32 v117, v117, v118
	s_cbranch_execz .LBB49_230
	s_branch .LBB49_231
.LBB49_229:
                                        ; implicit-def: $vgpr117
.LBB49_230:
	ds_read_b32 v117, v102
.LBB49_231:
	s_and_saveexec_b64 s[12:13], s[4:5]
	s_cbranch_execz .LBB49_235
; %bb.232:
	v_subrev_u32_e32 v118, 26, v0
	s_movk_i32 s14, 0x138
	s_mov_b64 s[4:5], 0
.LBB49_233:                             ; =>This Inner Loop Header: Depth=1
	buffer_load_dword v119, v116, s[0:3], 0 offen
	v_mov_b32_e32 v120, s14
	ds_read_b32 v120, v120
	v_add_u32_e32 v118, -1, v118
	s_add_i32 s14, s14, 4
	v_cmp_eq_u32_e32 vcc, 0, v118
	v_add_u32_e32 v116, 4, v116
	s_or_b64 s[4:5], vcc, s[4:5]
	s_waitcnt vmcnt(0) lgkmcnt(0)
	v_fmac_f32_e32 v117, v119, v120
	s_andn2_b64 exec, exec, s[4:5]
	s_cbranch_execnz .LBB49_233
; %bb.234:
	s_or_b64 exec, exec, s[4:5]
.LBB49_235:
	s_or_b64 exec, exec, s[12:13]
	v_mov_b32_e32 v116, 0
	ds_read_b32 v116, v116 offset:100
	s_waitcnt lgkmcnt(0)
	v_mul_f32_e32 v116, v117, v116
	buffer_store_dword v116, off, s[0:3], 0 offset:100
.LBB49_236:
	s_or_b64 exec, exec, s[10:11]
	buffer_load_dword v116, off, s[0:3], 0 offset:96
	v_cmp_lt_u32_e64 s[4:5], 24, v0
	s_waitcnt vmcnt(0)
	ds_write_b32 v102, v116
	s_waitcnt lgkmcnt(0)
	; wave barrier
	s_waitcnt lgkmcnt(0)
	s_and_saveexec_b64 s[10:11], s[4:5]
	s_cbranch_execz .LBB49_246
; %bb.237:
	s_andn2_b64 vcc, exec, s[8:9]
	s_cbranch_vccnz .LBB49_239
; %bb.238:
	buffer_load_dword v116, v103, s[0:3], 0 offen
	ds_read_b32 v117, v102
	s_waitcnt vmcnt(0) lgkmcnt(0)
	v_mul_f32_e32 v116, v116, v117
	s_cbranch_execz .LBB49_240
	s_branch .LBB49_241
.LBB49_239:
                                        ; implicit-def: $vgpr116
.LBB49_240:
	ds_read_b32 v116, v102
.LBB49_241:
	s_and_saveexec_b64 s[12:13], s[6:7]
	s_cbranch_execz .LBB49_245
; %bb.242:
	v_mov_b32_e32 v117, 0
	v_add_u32_e32 v117, 0x64, v117
	v_subrev_u32_e32 v118, 25, v0
	s_movk_i32 s14, 0x134
	s_mov_b64 s[6:7], 0
.LBB49_243:                             ; =>This Inner Loop Header: Depth=1
	buffer_load_dword v119, v117, s[0:3], 0 offen
	v_mov_b32_e32 v120, s14
	ds_read_b32 v120, v120
	v_add_u32_e32 v118, -1, v118
	s_add_i32 s14, s14, 4
	v_cmp_eq_u32_e32 vcc, 0, v118
	v_add_u32_e32 v117, 4, v117
	s_or_b64 s[6:7], vcc, s[6:7]
	s_waitcnt vmcnt(0) lgkmcnt(0)
	v_fmac_f32_e32 v116, v119, v120
	s_andn2_b64 exec, exec, s[6:7]
	s_cbranch_execnz .LBB49_243
; %bb.244:
	s_or_b64 exec, exec, s[6:7]
.LBB49_245:
	s_or_b64 exec, exec, s[12:13]
	v_mov_b32_e32 v117, 0
	ds_read_b32 v117, v117 offset:96
	s_waitcnt lgkmcnt(0)
	v_mul_f32_e32 v116, v116, v117
	buffer_store_dword v116, off, s[0:3], 0 offset:96
.LBB49_246:
	s_or_b64 exec, exec, s[10:11]
	buffer_load_dword v116, off, s[0:3], 0 offset:92
	v_cmp_lt_u32_e64 s[6:7], 23, v0
	s_waitcnt vmcnt(0)
	ds_write_b32 v102, v116
	s_waitcnt lgkmcnt(0)
	; wave barrier
	s_waitcnt lgkmcnt(0)
	s_and_saveexec_b64 s[10:11], s[6:7]
	s_cbranch_execz .LBB49_256
; %bb.247:
	s_andn2_b64 vcc, exec, s[8:9]
	s_cbranch_vccnz .LBB49_249
; %bb.248:
	buffer_load_dword v116, v103, s[0:3], 0 offen
	ds_read_b32 v117, v102
	s_waitcnt vmcnt(0) lgkmcnt(0)
	v_mul_f32_e32 v116, v116, v117
	s_cbranch_execz .LBB49_250
	s_branch .LBB49_251
.LBB49_249:
                                        ; implicit-def: $vgpr116
.LBB49_250:
	ds_read_b32 v116, v102
.LBB49_251:
	s_and_saveexec_b64 s[12:13], s[4:5]
	s_cbranch_execz .LBB49_255
; %bb.252:
	v_subrev_u32_e32 v117, 24, v0
	s_movk_i32 s14, 0x130
	s_mov_b64 s[4:5], 0
.LBB49_253:                             ; =>This Inner Loop Header: Depth=1
	buffer_load_dword v118, v115, s[0:3], 0 offen
	v_mov_b32_e32 v119, s14
	ds_read_b32 v119, v119
	v_add_u32_e32 v117, -1, v117
	s_add_i32 s14, s14, 4
	v_cmp_eq_u32_e32 vcc, 0, v117
	v_add_u32_e32 v115, 4, v115
	s_or_b64 s[4:5], vcc, s[4:5]
	s_waitcnt vmcnt(0) lgkmcnt(0)
	v_fmac_f32_e32 v116, v118, v119
	s_andn2_b64 exec, exec, s[4:5]
	s_cbranch_execnz .LBB49_253
; %bb.254:
	s_or_b64 exec, exec, s[4:5]
.LBB49_255:
	s_or_b64 exec, exec, s[12:13]
	v_mov_b32_e32 v115, 0
	ds_read_b32 v115, v115 offset:92
	s_waitcnt lgkmcnt(0)
	v_mul_f32_e32 v115, v116, v115
	buffer_store_dword v115, off, s[0:3], 0 offset:92
.LBB49_256:
	s_or_b64 exec, exec, s[10:11]
	buffer_load_dword v115, off, s[0:3], 0 offset:88
	v_cmp_lt_u32_e64 s[4:5], 22, v0
	s_waitcnt vmcnt(0)
	ds_write_b32 v102, v115
	s_waitcnt lgkmcnt(0)
	; wave barrier
	s_waitcnt lgkmcnt(0)
	s_and_saveexec_b64 s[10:11], s[4:5]
	s_cbranch_execz .LBB49_266
; %bb.257:
	s_andn2_b64 vcc, exec, s[8:9]
	s_cbranch_vccnz .LBB49_259
; %bb.258:
	buffer_load_dword v115, v103, s[0:3], 0 offen
	ds_read_b32 v116, v102
	s_waitcnt vmcnt(0) lgkmcnt(0)
	v_mul_f32_e32 v115, v115, v116
	s_cbranch_execz .LBB49_260
	s_branch .LBB49_261
.LBB49_259:
                                        ; implicit-def: $vgpr115
.LBB49_260:
	ds_read_b32 v115, v102
.LBB49_261:
	s_and_saveexec_b64 s[12:13], s[6:7]
	s_cbranch_execz .LBB49_265
; %bb.262:
	v_mov_b32_e32 v116, 0
	v_add_u32_e32 v116, 0x5c, v116
	v_subrev_u32_e32 v117, 23, v0
	s_movk_i32 s14, 0x12c
	s_mov_b64 s[6:7], 0
.LBB49_263:                             ; =>This Inner Loop Header: Depth=1
	buffer_load_dword v118, v116, s[0:3], 0 offen
	v_mov_b32_e32 v119, s14
	ds_read_b32 v119, v119
	v_add_u32_e32 v117, -1, v117
	s_add_i32 s14, s14, 4
	v_cmp_eq_u32_e32 vcc, 0, v117
	v_add_u32_e32 v116, 4, v116
	s_or_b64 s[6:7], vcc, s[6:7]
	s_waitcnt vmcnt(0) lgkmcnt(0)
	v_fmac_f32_e32 v115, v118, v119
	s_andn2_b64 exec, exec, s[6:7]
	s_cbranch_execnz .LBB49_263
; %bb.264:
	s_or_b64 exec, exec, s[6:7]
.LBB49_265:
	s_or_b64 exec, exec, s[12:13]
	v_mov_b32_e32 v116, 0
	ds_read_b32 v116, v116 offset:88
	s_waitcnt lgkmcnt(0)
	v_mul_f32_e32 v115, v115, v116
	buffer_store_dword v115, off, s[0:3], 0 offset:88
.LBB49_266:
	s_or_b64 exec, exec, s[10:11]
	buffer_load_dword v115, off, s[0:3], 0 offset:84
	v_cmp_lt_u32_e64 s[6:7], 21, v0
	s_waitcnt vmcnt(0)
	ds_write_b32 v102, v115
	s_waitcnt lgkmcnt(0)
	; wave barrier
	s_waitcnt lgkmcnt(0)
	s_and_saveexec_b64 s[10:11], s[6:7]
	s_cbranch_execz .LBB49_276
; %bb.267:
	s_andn2_b64 vcc, exec, s[8:9]
	s_cbranch_vccnz .LBB49_269
; %bb.268:
	buffer_load_dword v115, v103, s[0:3], 0 offen
	ds_read_b32 v116, v102
	s_waitcnt vmcnt(0) lgkmcnt(0)
	v_mul_f32_e32 v115, v115, v116
	s_cbranch_execz .LBB49_270
	s_branch .LBB49_271
.LBB49_269:
                                        ; implicit-def: $vgpr115
.LBB49_270:
	ds_read_b32 v115, v102
.LBB49_271:
	s_and_saveexec_b64 s[12:13], s[4:5]
	s_cbranch_execz .LBB49_275
; %bb.272:
	v_subrev_u32_e32 v116, 22, v0
	s_movk_i32 s14, 0x128
	s_mov_b64 s[4:5], 0
.LBB49_273:                             ; =>This Inner Loop Header: Depth=1
	buffer_load_dword v117, v114, s[0:3], 0 offen
	v_mov_b32_e32 v118, s14
	ds_read_b32 v118, v118
	v_add_u32_e32 v116, -1, v116
	s_add_i32 s14, s14, 4
	v_cmp_eq_u32_e32 vcc, 0, v116
	v_add_u32_e32 v114, 4, v114
	s_or_b64 s[4:5], vcc, s[4:5]
	s_waitcnt vmcnt(0) lgkmcnt(0)
	v_fmac_f32_e32 v115, v117, v118
	s_andn2_b64 exec, exec, s[4:5]
	s_cbranch_execnz .LBB49_273
; %bb.274:
	s_or_b64 exec, exec, s[4:5]
.LBB49_275:
	s_or_b64 exec, exec, s[12:13]
	v_mov_b32_e32 v114, 0
	ds_read_b32 v114, v114 offset:84
	s_waitcnt lgkmcnt(0)
	v_mul_f32_e32 v114, v115, v114
	buffer_store_dword v114, off, s[0:3], 0 offset:84
.LBB49_276:
	s_or_b64 exec, exec, s[10:11]
	buffer_load_dword v114, off, s[0:3], 0 offset:80
	v_cmp_lt_u32_e64 s[4:5], 20, v0
	s_waitcnt vmcnt(0)
	ds_write_b32 v102, v114
	s_waitcnt lgkmcnt(0)
	; wave barrier
	s_waitcnt lgkmcnt(0)
	s_and_saveexec_b64 s[10:11], s[4:5]
	s_cbranch_execz .LBB49_286
; %bb.277:
	s_andn2_b64 vcc, exec, s[8:9]
	s_cbranch_vccnz .LBB49_279
; %bb.278:
	buffer_load_dword v114, v103, s[0:3], 0 offen
	ds_read_b32 v115, v102
	s_waitcnt vmcnt(0) lgkmcnt(0)
	v_mul_f32_e32 v114, v114, v115
	s_cbranch_execz .LBB49_280
	s_branch .LBB49_281
.LBB49_279:
                                        ; implicit-def: $vgpr114
.LBB49_280:
	ds_read_b32 v114, v102
.LBB49_281:
	s_and_saveexec_b64 s[12:13], s[6:7]
	s_cbranch_execz .LBB49_285
; %bb.282:
	v_mov_b32_e32 v115, 0
	v_add_u32_e32 v115, 0x54, v115
	v_subrev_u32_e32 v116, 21, v0
	s_movk_i32 s14, 0x124
	s_mov_b64 s[6:7], 0
.LBB49_283:                             ; =>This Inner Loop Header: Depth=1
	buffer_load_dword v117, v115, s[0:3], 0 offen
	v_mov_b32_e32 v118, s14
	ds_read_b32 v118, v118
	v_add_u32_e32 v116, -1, v116
	s_add_i32 s14, s14, 4
	v_cmp_eq_u32_e32 vcc, 0, v116
	v_add_u32_e32 v115, 4, v115
	s_or_b64 s[6:7], vcc, s[6:7]
	s_waitcnt vmcnt(0) lgkmcnt(0)
	v_fmac_f32_e32 v114, v117, v118
	s_andn2_b64 exec, exec, s[6:7]
	s_cbranch_execnz .LBB49_283
; %bb.284:
	s_or_b64 exec, exec, s[6:7]
.LBB49_285:
	s_or_b64 exec, exec, s[12:13]
	v_mov_b32_e32 v115, 0
	ds_read_b32 v115, v115 offset:80
	s_waitcnt lgkmcnt(0)
	v_mul_f32_e32 v114, v114, v115
	buffer_store_dword v114, off, s[0:3], 0 offset:80
.LBB49_286:
	s_or_b64 exec, exec, s[10:11]
	buffer_load_dword v114, off, s[0:3], 0 offset:76
	v_cmp_lt_u32_e64 s[6:7], 19, v0
	s_waitcnt vmcnt(0)
	ds_write_b32 v102, v114
	s_waitcnt lgkmcnt(0)
	; wave barrier
	s_waitcnt lgkmcnt(0)
	s_and_saveexec_b64 s[10:11], s[6:7]
	s_cbranch_execz .LBB49_296
; %bb.287:
	s_andn2_b64 vcc, exec, s[8:9]
	s_cbranch_vccnz .LBB49_289
; %bb.288:
	buffer_load_dword v114, v103, s[0:3], 0 offen
	ds_read_b32 v115, v102
	s_waitcnt vmcnt(0) lgkmcnt(0)
	v_mul_f32_e32 v114, v114, v115
	s_cbranch_execz .LBB49_290
	s_branch .LBB49_291
.LBB49_289:
                                        ; implicit-def: $vgpr114
.LBB49_290:
	ds_read_b32 v114, v102
.LBB49_291:
	s_and_saveexec_b64 s[12:13], s[4:5]
	s_cbranch_execz .LBB49_295
; %bb.292:
	v_subrev_u32_e32 v115, 20, v0
	s_movk_i32 s14, 0x120
	s_mov_b64 s[4:5], 0
.LBB49_293:                             ; =>This Inner Loop Header: Depth=1
	buffer_load_dword v116, v113, s[0:3], 0 offen
	v_mov_b32_e32 v117, s14
	ds_read_b32 v117, v117
	v_add_u32_e32 v115, -1, v115
	s_add_i32 s14, s14, 4
	v_cmp_eq_u32_e32 vcc, 0, v115
	v_add_u32_e32 v113, 4, v113
	s_or_b64 s[4:5], vcc, s[4:5]
	s_waitcnt vmcnt(0) lgkmcnt(0)
	v_fmac_f32_e32 v114, v116, v117
	s_andn2_b64 exec, exec, s[4:5]
	s_cbranch_execnz .LBB49_293
; %bb.294:
	s_or_b64 exec, exec, s[4:5]
.LBB49_295:
	s_or_b64 exec, exec, s[12:13]
	v_mov_b32_e32 v113, 0
	ds_read_b32 v113, v113 offset:76
	s_waitcnt lgkmcnt(0)
	v_mul_f32_e32 v113, v114, v113
	buffer_store_dword v113, off, s[0:3], 0 offset:76
.LBB49_296:
	s_or_b64 exec, exec, s[10:11]
	buffer_load_dword v113, off, s[0:3], 0 offset:72
	v_cmp_lt_u32_e64 s[4:5], 18, v0
	s_waitcnt vmcnt(0)
	ds_write_b32 v102, v113
	s_waitcnt lgkmcnt(0)
	; wave barrier
	s_waitcnt lgkmcnt(0)
	s_and_saveexec_b64 s[10:11], s[4:5]
	s_cbranch_execz .LBB49_306
; %bb.297:
	s_andn2_b64 vcc, exec, s[8:9]
	s_cbranch_vccnz .LBB49_299
; %bb.298:
	buffer_load_dword v113, v103, s[0:3], 0 offen
	ds_read_b32 v114, v102
	s_waitcnt vmcnt(0) lgkmcnt(0)
	v_mul_f32_e32 v113, v113, v114
	s_cbranch_execz .LBB49_300
	s_branch .LBB49_301
.LBB49_299:
                                        ; implicit-def: $vgpr113
.LBB49_300:
	ds_read_b32 v113, v102
.LBB49_301:
	s_and_saveexec_b64 s[12:13], s[6:7]
	s_cbranch_execz .LBB49_305
; %bb.302:
	v_mov_b32_e32 v114, 0
	v_add_u32_e32 v114, 0x4c, v114
	v_subrev_u32_e32 v115, 19, v0
	s_movk_i32 s14, 0x11c
	s_mov_b64 s[6:7], 0
.LBB49_303:                             ; =>This Inner Loop Header: Depth=1
	buffer_load_dword v116, v114, s[0:3], 0 offen
	v_mov_b32_e32 v117, s14
	ds_read_b32 v117, v117
	v_add_u32_e32 v115, -1, v115
	s_add_i32 s14, s14, 4
	v_cmp_eq_u32_e32 vcc, 0, v115
	v_add_u32_e32 v114, 4, v114
	s_or_b64 s[6:7], vcc, s[6:7]
	s_waitcnt vmcnt(0) lgkmcnt(0)
	v_fmac_f32_e32 v113, v116, v117
	s_andn2_b64 exec, exec, s[6:7]
	s_cbranch_execnz .LBB49_303
; %bb.304:
	s_or_b64 exec, exec, s[6:7]
.LBB49_305:
	s_or_b64 exec, exec, s[12:13]
	v_mov_b32_e32 v114, 0
	ds_read_b32 v114, v114 offset:72
	s_waitcnt lgkmcnt(0)
	v_mul_f32_e32 v113, v113, v114
	buffer_store_dword v113, off, s[0:3], 0 offset:72
.LBB49_306:
	s_or_b64 exec, exec, s[10:11]
	buffer_load_dword v113, off, s[0:3], 0 offset:68
	v_cmp_lt_u32_e64 s[6:7], 17, v0
	s_waitcnt vmcnt(0)
	ds_write_b32 v102, v113
	s_waitcnt lgkmcnt(0)
	; wave barrier
	s_waitcnt lgkmcnt(0)
	s_and_saveexec_b64 s[10:11], s[6:7]
	s_cbranch_execz .LBB49_316
; %bb.307:
	s_andn2_b64 vcc, exec, s[8:9]
	s_cbranch_vccnz .LBB49_309
; %bb.308:
	buffer_load_dword v113, v103, s[0:3], 0 offen
	ds_read_b32 v114, v102
	s_waitcnt vmcnt(0) lgkmcnt(0)
	v_mul_f32_e32 v113, v113, v114
	s_cbranch_execz .LBB49_310
	s_branch .LBB49_311
.LBB49_309:
                                        ; implicit-def: $vgpr113
.LBB49_310:
	ds_read_b32 v113, v102
.LBB49_311:
	s_and_saveexec_b64 s[12:13], s[4:5]
	s_cbranch_execz .LBB49_315
; %bb.312:
	v_subrev_u32_e32 v114, 18, v0
	s_movk_i32 s14, 0x118
	s_mov_b64 s[4:5], 0
.LBB49_313:                             ; =>This Inner Loop Header: Depth=1
	buffer_load_dword v115, v112, s[0:3], 0 offen
	v_mov_b32_e32 v116, s14
	ds_read_b32 v116, v116
	v_add_u32_e32 v114, -1, v114
	s_add_i32 s14, s14, 4
	v_cmp_eq_u32_e32 vcc, 0, v114
	v_add_u32_e32 v112, 4, v112
	s_or_b64 s[4:5], vcc, s[4:5]
	s_waitcnt vmcnt(0) lgkmcnt(0)
	v_fmac_f32_e32 v113, v115, v116
	s_andn2_b64 exec, exec, s[4:5]
	s_cbranch_execnz .LBB49_313
; %bb.314:
	s_or_b64 exec, exec, s[4:5]
.LBB49_315:
	s_or_b64 exec, exec, s[12:13]
	v_mov_b32_e32 v112, 0
	ds_read_b32 v112, v112 offset:68
	s_waitcnt lgkmcnt(0)
	v_mul_f32_e32 v112, v113, v112
	buffer_store_dword v112, off, s[0:3], 0 offset:68
.LBB49_316:
	s_or_b64 exec, exec, s[10:11]
	buffer_load_dword v112, off, s[0:3], 0 offset:64
	v_cmp_lt_u32_e64 s[4:5], 16, v0
	s_waitcnt vmcnt(0)
	ds_write_b32 v102, v112
	s_waitcnt lgkmcnt(0)
	; wave barrier
	s_waitcnt lgkmcnt(0)
	s_and_saveexec_b64 s[10:11], s[4:5]
	s_cbranch_execz .LBB49_326
; %bb.317:
	s_andn2_b64 vcc, exec, s[8:9]
	s_cbranch_vccnz .LBB49_319
; %bb.318:
	buffer_load_dword v112, v103, s[0:3], 0 offen
	ds_read_b32 v113, v102
	s_waitcnt vmcnt(0) lgkmcnt(0)
	v_mul_f32_e32 v112, v112, v113
	s_cbranch_execz .LBB49_320
	s_branch .LBB49_321
.LBB49_319:
                                        ; implicit-def: $vgpr112
.LBB49_320:
	ds_read_b32 v112, v102
.LBB49_321:
	s_and_saveexec_b64 s[12:13], s[6:7]
	s_cbranch_execz .LBB49_325
; %bb.322:
	v_mov_b32_e32 v113, 0
	v_add_u32_e32 v113, 0x44, v113
	v_subrev_u32_e32 v114, 17, v0
	s_movk_i32 s14, 0x114
	s_mov_b64 s[6:7], 0
.LBB49_323:                             ; =>This Inner Loop Header: Depth=1
	buffer_load_dword v115, v113, s[0:3], 0 offen
	v_mov_b32_e32 v116, s14
	ds_read_b32 v116, v116
	v_add_u32_e32 v114, -1, v114
	s_add_i32 s14, s14, 4
	v_cmp_eq_u32_e32 vcc, 0, v114
	v_add_u32_e32 v113, 4, v113
	s_or_b64 s[6:7], vcc, s[6:7]
	s_waitcnt vmcnt(0) lgkmcnt(0)
	v_fmac_f32_e32 v112, v115, v116
	s_andn2_b64 exec, exec, s[6:7]
	s_cbranch_execnz .LBB49_323
; %bb.324:
	s_or_b64 exec, exec, s[6:7]
.LBB49_325:
	s_or_b64 exec, exec, s[12:13]
	v_mov_b32_e32 v113, 0
	ds_read_b32 v113, v113 offset:64
	s_waitcnt lgkmcnt(0)
	v_mul_f32_e32 v112, v112, v113
	buffer_store_dword v112, off, s[0:3], 0 offset:64
.LBB49_326:
	s_or_b64 exec, exec, s[10:11]
	buffer_load_dword v112, off, s[0:3], 0 offset:60
	v_cmp_lt_u32_e64 s[6:7], 15, v0
	s_waitcnt vmcnt(0)
	ds_write_b32 v102, v112
	s_waitcnt lgkmcnt(0)
	; wave barrier
	s_waitcnt lgkmcnt(0)
	s_and_saveexec_b64 s[10:11], s[6:7]
	s_cbranch_execz .LBB49_336
; %bb.327:
	s_andn2_b64 vcc, exec, s[8:9]
	s_cbranch_vccnz .LBB49_329
; %bb.328:
	buffer_load_dword v112, v103, s[0:3], 0 offen
	ds_read_b32 v113, v102
	s_waitcnt vmcnt(0) lgkmcnt(0)
	v_mul_f32_e32 v112, v112, v113
	s_cbranch_execz .LBB49_330
	s_branch .LBB49_331
.LBB49_329:
                                        ; implicit-def: $vgpr112
.LBB49_330:
	ds_read_b32 v112, v102
.LBB49_331:
	s_and_saveexec_b64 s[12:13], s[4:5]
	s_cbranch_execz .LBB49_335
; %bb.332:
	v_add_u32_e32 v113, -16, v0
	s_movk_i32 s14, 0x110
	s_mov_b64 s[4:5], 0
.LBB49_333:                             ; =>This Inner Loop Header: Depth=1
	buffer_load_dword v114, v111, s[0:3], 0 offen
	v_mov_b32_e32 v115, s14
	ds_read_b32 v115, v115
	v_add_u32_e32 v113, -1, v113
	s_add_i32 s14, s14, 4
	v_cmp_eq_u32_e32 vcc, 0, v113
	v_add_u32_e32 v111, 4, v111
	s_or_b64 s[4:5], vcc, s[4:5]
	s_waitcnt vmcnt(0) lgkmcnt(0)
	v_fmac_f32_e32 v112, v114, v115
	s_andn2_b64 exec, exec, s[4:5]
	s_cbranch_execnz .LBB49_333
; %bb.334:
	s_or_b64 exec, exec, s[4:5]
.LBB49_335:
	s_or_b64 exec, exec, s[12:13]
	v_mov_b32_e32 v111, 0
	ds_read_b32 v111, v111 offset:60
	s_waitcnt lgkmcnt(0)
	v_mul_f32_e32 v111, v112, v111
	buffer_store_dword v111, off, s[0:3], 0 offset:60
.LBB49_336:
	s_or_b64 exec, exec, s[10:11]
	buffer_load_dword v111, off, s[0:3], 0 offset:56
	v_cmp_lt_u32_e64 s[4:5], 14, v0
	s_waitcnt vmcnt(0)
	ds_write_b32 v102, v111
	s_waitcnt lgkmcnt(0)
	; wave barrier
	s_waitcnt lgkmcnt(0)
	s_and_saveexec_b64 s[10:11], s[4:5]
	s_cbranch_execz .LBB49_346
; %bb.337:
	s_andn2_b64 vcc, exec, s[8:9]
	s_cbranch_vccnz .LBB49_339
; %bb.338:
	buffer_load_dword v111, v103, s[0:3], 0 offen
	ds_read_b32 v112, v102
	s_waitcnt vmcnt(0) lgkmcnt(0)
	v_mul_f32_e32 v111, v111, v112
	s_cbranch_execz .LBB49_340
	s_branch .LBB49_341
.LBB49_339:
                                        ; implicit-def: $vgpr111
.LBB49_340:
	ds_read_b32 v111, v102
.LBB49_341:
	s_and_saveexec_b64 s[12:13], s[6:7]
	s_cbranch_execz .LBB49_345
; %bb.342:
	v_mov_b32_e32 v112, 0
	v_add_u32_e32 v112, 60, v112
	v_add_u32_e32 v113, -15, v0
	s_movk_i32 s14, 0x10c
	s_mov_b64 s[6:7], 0
.LBB49_343:                             ; =>This Inner Loop Header: Depth=1
	buffer_load_dword v114, v112, s[0:3], 0 offen
	v_mov_b32_e32 v115, s14
	ds_read_b32 v115, v115
	v_add_u32_e32 v113, -1, v113
	s_add_i32 s14, s14, 4
	v_cmp_eq_u32_e32 vcc, 0, v113
	v_add_u32_e32 v112, 4, v112
	s_or_b64 s[6:7], vcc, s[6:7]
	s_waitcnt vmcnt(0) lgkmcnt(0)
	v_fmac_f32_e32 v111, v114, v115
	s_andn2_b64 exec, exec, s[6:7]
	s_cbranch_execnz .LBB49_343
; %bb.344:
	s_or_b64 exec, exec, s[6:7]
.LBB49_345:
	s_or_b64 exec, exec, s[12:13]
	v_mov_b32_e32 v112, 0
	ds_read_b32 v112, v112 offset:56
	s_waitcnt lgkmcnt(0)
	v_mul_f32_e32 v111, v111, v112
	buffer_store_dword v111, off, s[0:3], 0 offset:56
.LBB49_346:
	s_or_b64 exec, exec, s[10:11]
	buffer_load_dword v111, off, s[0:3], 0 offset:52
	v_cmp_lt_u32_e64 s[6:7], 13, v0
	s_waitcnt vmcnt(0)
	ds_write_b32 v102, v111
	s_waitcnt lgkmcnt(0)
	; wave barrier
	s_waitcnt lgkmcnt(0)
	s_and_saveexec_b64 s[10:11], s[6:7]
	s_cbranch_execz .LBB49_356
; %bb.347:
	s_andn2_b64 vcc, exec, s[8:9]
	s_cbranch_vccnz .LBB49_349
; %bb.348:
	buffer_load_dword v111, v103, s[0:3], 0 offen
	ds_read_b32 v112, v102
	s_waitcnt vmcnt(0) lgkmcnt(0)
	v_mul_f32_e32 v111, v111, v112
	s_cbranch_execz .LBB49_350
	s_branch .LBB49_351
.LBB49_349:
                                        ; implicit-def: $vgpr111
.LBB49_350:
	ds_read_b32 v111, v102
.LBB49_351:
	s_and_saveexec_b64 s[12:13], s[4:5]
	s_cbranch_execz .LBB49_355
; %bb.352:
	v_add_u32_e32 v112, -14, v0
	s_movk_i32 s14, 0x108
	s_mov_b64 s[4:5], 0
.LBB49_353:                             ; =>This Inner Loop Header: Depth=1
	buffer_load_dword v113, v110, s[0:3], 0 offen
	v_mov_b32_e32 v114, s14
	ds_read_b32 v114, v114
	v_add_u32_e32 v112, -1, v112
	s_add_i32 s14, s14, 4
	v_cmp_eq_u32_e32 vcc, 0, v112
	v_add_u32_e32 v110, 4, v110
	s_or_b64 s[4:5], vcc, s[4:5]
	s_waitcnt vmcnt(0) lgkmcnt(0)
	v_fmac_f32_e32 v111, v113, v114
	s_andn2_b64 exec, exec, s[4:5]
	s_cbranch_execnz .LBB49_353
; %bb.354:
	s_or_b64 exec, exec, s[4:5]
.LBB49_355:
	s_or_b64 exec, exec, s[12:13]
	v_mov_b32_e32 v110, 0
	ds_read_b32 v110, v110 offset:52
	s_waitcnt lgkmcnt(0)
	v_mul_f32_e32 v110, v111, v110
	buffer_store_dword v110, off, s[0:3], 0 offset:52
.LBB49_356:
	s_or_b64 exec, exec, s[10:11]
	buffer_load_dword v110, off, s[0:3], 0 offset:48
	v_cmp_lt_u32_e64 s[4:5], 12, v0
	s_waitcnt vmcnt(0)
	ds_write_b32 v102, v110
	s_waitcnt lgkmcnt(0)
	; wave barrier
	s_waitcnt lgkmcnt(0)
	s_and_saveexec_b64 s[10:11], s[4:5]
	s_cbranch_execz .LBB49_366
; %bb.357:
	s_andn2_b64 vcc, exec, s[8:9]
	s_cbranch_vccnz .LBB49_359
; %bb.358:
	buffer_load_dword v110, v103, s[0:3], 0 offen
	ds_read_b32 v111, v102
	s_waitcnt vmcnt(0) lgkmcnt(0)
	v_mul_f32_e32 v110, v110, v111
	s_cbranch_execz .LBB49_360
	s_branch .LBB49_361
.LBB49_359:
                                        ; implicit-def: $vgpr110
.LBB49_360:
	ds_read_b32 v110, v102
.LBB49_361:
	s_and_saveexec_b64 s[12:13], s[6:7]
	s_cbranch_execz .LBB49_365
; %bb.362:
	v_mov_b32_e32 v111, 0
	v_add_u32_e32 v111, 52, v111
	v_add_u32_e32 v112, -13, v0
	s_movk_i32 s14, 0x104
	s_mov_b64 s[6:7], 0
.LBB49_363:                             ; =>This Inner Loop Header: Depth=1
	buffer_load_dword v113, v111, s[0:3], 0 offen
	v_mov_b32_e32 v114, s14
	ds_read_b32 v114, v114
	v_add_u32_e32 v112, -1, v112
	s_add_i32 s14, s14, 4
	v_cmp_eq_u32_e32 vcc, 0, v112
	v_add_u32_e32 v111, 4, v111
	s_or_b64 s[6:7], vcc, s[6:7]
	s_waitcnt vmcnt(0) lgkmcnt(0)
	v_fmac_f32_e32 v110, v113, v114
	s_andn2_b64 exec, exec, s[6:7]
	s_cbranch_execnz .LBB49_363
; %bb.364:
	s_or_b64 exec, exec, s[6:7]
.LBB49_365:
	s_or_b64 exec, exec, s[12:13]
	v_mov_b32_e32 v111, 0
	ds_read_b32 v111, v111 offset:48
	s_waitcnt lgkmcnt(0)
	v_mul_f32_e32 v110, v110, v111
	buffer_store_dword v110, off, s[0:3], 0 offset:48
.LBB49_366:
	s_or_b64 exec, exec, s[10:11]
	buffer_load_dword v110, off, s[0:3], 0 offset:44
	v_cmp_lt_u32_e64 s[6:7], 11, v0
	s_waitcnt vmcnt(0)
	ds_write_b32 v102, v110
	s_waitcnt lgkmcnt(0)
	; wave barrier
	s_waitcnt lgkmcnt(0)
	s_and_saveexec_b64 s[10:11], s[6:7]
	s_cbranch_execz .LBB49_376
; %bb.367:
	s_andn2_b64 vcc, exec, s[8:9]
	s_cbranch_vccnz .LBB49_369
; %bb.368:
	buffer_load_dword v110, v103, s[0:3], 0 offen
	ds_read_b32 v111, v102
	s_waitcnt vmcnt(0) lgkmcnt(0)
	v_mul_f32_e32 v110, v110, v111
	s_cbranch_execz .LBB49_370
	s_branch .LBB49_371
.LBB49_369:
                                        ; implicit-def: $vgpr110
.LBB49_370:
	ds_read_b32 v110, v102
.LBB49_371:
	s_and_saveexec_b64 s[12:13], s[4:5]
	s_cbranch_execz .LBB49_375
; %bb.372:
	v_add_u32_e32 v111, -12, v0
	s_movk_i32 s14, 0x100
	s_mov_b64 s[4:5], 0
.LBB49_373:                             ; =>This Inner Loop Header: Depth=1
	buffer_load_dword v112, v109, s[0:3], 0 offen
	v_mov_b32_e32 v113, s14
	ds_read_b32 v113, v113
	v_add_u32_e32 v111, -1, v111
	s_add_i32 s14, s14, 4
	v_cmp_eq_u32_e32 vcc, 0, v111
	v_add_u32_e32 v109, 4, v109
	s_or_b64 s[4:5], vcc, s[4:5]
	s_waitcnt vmcnt(0) lgkmcnt(0)
	v_fmac_f32_e32 v110, v112, v113
	s_andn2_b64 exec, exec, s[4:5]
	s_cbranch_execnz .LBB49_373
; %bb.374:
	s_or_b64 exec, exec, s[4:5]
.LBB49_375:
	s_or_b64 exec, exec, s[12:13]
	v_mov_b32_e32 v109, 0
	ds_read_b32 v109, v109 offset:44
	s_waitcnt lgkmcnt(0)
	v_mul_f32_e32 v109, v110, v109
	buffer_store_dword v109, off, s[0:3], 0 offset:44
.LBB49_376:
	s_or_b64 exec, exec, s[10:11]
	buffer_load_dword v109, off, s[0:3], 0 offset:40
	v_cmp_lt_u32_e64 s[4:5], 10, v0
	s_waitcnt vmcnt(0)
	ds_write_b32 v102, v109
	s_waitcnt lgkmcnt(0)
	; wave barrier
	s_waitcnt lgkmcnt(0)
	s_and_saveexec_b64 s[10:11], s[4:5]
	s_cbranch_execz .LBB49_386
; %bb.377:
	s_andn2_b64 vcc, exec, s[8:9]
	s_cbranch_vccnz .LBB49_379
; %bb.378:
	buffer_load_dword v109, v103, s[0:3], 0 offen
	ds_read_b32 v110, v102
	s_waitcnt vmcnt(0) lgkmcnt(0)
	v_mul_f32_e32 v109, v109, v110
	s_cbranch_execz .LBB49_380
	s_branch .LBB49_381
.LBB49_379:
                                        ; implicit-def: $vgpr109
.LBB49_380:
	ds_read_b32 v109, v102
.LBB49_381:
	s_and_saveexec_b64 s[12:13], s[6:7]
	s_cbranch_execz .LBB49_385
; %bb.382:
	v_mov_b32_e32 v110, 0
	v_add_u32_e32 v110, 44, v110
	v_add_u32_e32 v111, -11, v0
	s_movk_i32 s14, 0xfc
	s_mov_b64 s[6:7], 0
.LBB49_383:                             ; =>This Inner Loop Header: Depth=1
	buffer_load_dword v112, v110, s[0:3], 0 offen
	v_mov_b32_e32 v113, s14
	ds_read_b32 v113, v113
	v_add_u32_e32 v111, -1, v111
	s_add_i32 s14, s14, 4
	v_cmp_eq_u32_e32 vcc, 0, v111
	v_add_u32_e32 v110, 4, v110
	s_or_b64 s[6:7], vcc, s[6:7]
	s_waitcnt vmcnt(0) lgkmcnt(0)
	v_fmac_f32_e32 v109, v112, v113
	s_andn2_b64 exec, exec, s[6:7]
	s_cbranch_execnz .LBB49_383
; %bb.384:
	s_or_b64 exec, exec, s[6:7]
.LBB49_385:
	s_or_b64 exec, exec, s[12:13]
	v_mov_b32_e32 v110, 0
	ds_read_b32 v110, v110 offset:40
	s_waitcnt lgkmcnt(0)
	v_mul_f32_e32 v109, v109, v110
	buffer_store_dword v109, off, s[0:3], 0 offset:40
.LBB49_386:
	s_or_b64 exec, exec, s[10:11]
	buffer_load_dword v109, off, s[0:3], 0 offset:36
	v_cmp_lt_u32_e64 s[6:7], 9, v0
	s_waitcnt vmcnt(0)
	ds_write_b32 v102, v109
	s_waitcnt lgkmcnt(0)
	; wave barrier
	s_waitcnt lgkmcnt(0)
	s_and_saveexec_b64 s[10:11], s[6:7]
	s_cbranch_execz .LBB49_396
; %bb.387:
	s_andn2_b64 vcc, exec, s[8:9]
	s_cbranch_vccnz .LBB49_389
; %bb.388:
	buffer_load_dword v109, v103, s[0:3], 0 offen
	ds_read_b32 v110, v102
	s_waitcnt vmcnt(0) lgkmcnt(0)
	v_mul_f32_e32 v109, v109, v110
	s_cbranch_execz .LBB49_390
	s_branch .LBB49_391
.LBB49_389:
                                        ; implicit-def: $vgpr109
.LBB49_390:
	ds_read_b32 v109, v102
.LBB49_391:
	s_and_saveexec_b64 s[12:13], s[4:5]
	s_cbranch_execz .LBB49_395
; %bb.392:
	v_add_u32_e32 v110, -10, v0
	s_movk_i32 s14, 0xf8
	s_mov_b64 s[4:5], 0
.LBB49_393:                             ; =>This Inner Loop Header: Depth=1
	buffer_load_dword v111, v108, s[0:3], 0 offen
	v_mov_b32_e32 v112, s14
	ds_read_b32 v112, v112
	v_add_u32_e32 v110, -1, v110
	s_add_i32 s14, s14, 4
	v_cmp_eq_u32_e32 vcc, 0, v110
	v_add_u32_e32 v108, 4, v108
	s_or_b64 s[4:5], vcc, s[4:5]
	s_waitcnt vmcnt(0) lgkmcnt(0)
	v_fmac_f32_e32 v109, v111, v112
	s_andn2_b64 exec, exec, s[4:5]
	s_cbranch_execnz .LBB49_393
; %bb.394:
	s_or_b64 exec, exec, s[4:5]
.LBB49_395:
	s_or_b64 exec, exec, s[12:13]
	v_mov_b32_e32 v108, 0
	ds_read_b32 v108, v108 offset:36
	s_waitcnt lgkmcnt(0)
	v_mul_f32_e32 v108, v109, v108
	buffer_store_dword v108, off, s[0:3], 0 offset:36
.LBB49_396:
	s_or_b64 exec, exec, s[10:11]
	buffer_load_dword v108, off, s[0:3], 0 offset:32
	v_cmp_lt_u32_e64 s[4:5], 8, v0
	s_waitcnt vmcnt(0)
	ds_write_b32 v102, v108
	s_waitcnt lgkmcnt(0)
	; wave barrier
	s_waitcnt lgkmcnt(0)
	s_and_saveexec_b64 s[10:11], s[4:5]
	s_cbranch_execz .LBB49_406
; %bb.397:
	s_andn2_b64 vcc, exec, s[8:9]
	s_cbranch_vccnz .LBB49_399
; %bb.398:
	buffer_load_dword v108, v103, s[0:3], 0 offen
	ds_read_b32 v109, v102
	s_waitcnt vmcnt(0) lgkmcnt(0)
	v_mul_f32_e32 v108, v108, v109
	s_cbranch_execz .LBB49_400
	s_branch .LBB49_401
.LBB49_399:
                                        ; implicit-def: $vgpr108
.LBB49_400:
	ds_read_b32 v108, v102
.LBB49_401:
	s_and_saveexec_b64 s[12:13], s[6:7]
	s_cbranch_execz .LBB49_405
; %bb.402:
	v_mov_b32_e32 v109, 0
	v_add_u32_e32 v109, 36, v109
	v_add_u32_e32 v110, -9, v0
	s_movk_i32 s14, 0xf4
	s_mov_b64 s[6:7], 0
.LBB49_403:                             ; =>This Inner Loop Header: Depth=1
	buffer_load_dword v111, v109, s[0:3], 0 offen
	v_mov_b32_e32 v112, s14
	ds_read_b32 v112, v112
	v_add_u32_e32 v110, -1, v110
	s_add_i32 s14, s14, 4
	v_cmp_eq_u32_e32 vcc, 0, v110
	v_add_u32_e32 v109, 4, v109
	s_or_b64 s[6:7], vcc, s[6:7]
	s_waitcnt vmcnt(0) lgkmcnt(0)
	v_fmac_f32_e32 v108, v111, v112
	s_andn2_b64 exec, exec, s[6:7]
	s_cbranch_execnz .LBB49_403
; %bb.404:
	s_or_b64 exec, exec, s[6:7]
.LBB49_405:
	s_or_b64 exec, exec, s[12:13]
	v_mov_b32_e32 v109, 0
	ds_read_b32 v109, v109 offset:32
	s_waitcnt lgkmcnt(0)
	v_mul_f32_e32 v108, v108, v109
	buffer_store_dword v108, off, s[0:3], 0 offset:32
.LBB49_406:
	s_or_b64 exec, exec, s[10:11]
	buffer_load_dword v108, off, s[0:3], 0 offset:28
	v_cmp_lt_u32_e64 s[6:7], 7, v0
	s_waitcnt vmcnt(0)
	ds_write_b32 v102, v108
	s_waitcnt lgkmcnt(0)
	; wave barrier
	s_waitcnt lgkmcnt(0)
	s_and_saveexec_b64 s[10:11], s[6:7]
	s_cbranch_execz .LBB49_416
; %bb.407:
	s_andn2_b64 vcc, exec, s[8:9]
	s_cbranch_vccnz .LBB49_409
; %bb.408:
	buffer_load_dword v108, v103, s[0:3], 0 offen
	ds_read_b32 v109, v102
	s_waitcnt vmcnt(0) lgkmcnt(0)
	v_mul_f32_e32 v108, v108, v109
	s_cbranch_execz .LBB49_410
	s_branch .LBB49_411
.LBB49_409:
                                        ; implicit-def: $vgpr108
.LBB49_410:
	ds_read_b32 v108, v102
.LBB49_411:
	s_and_saveexec_b64 s[12:13], s[4:5]
	s_cbranch_execz .LBB49_415
; %bb.412:
	v_add_u32_e32 v109, -8, v0
	s_movk_i32 s14, 0xf0
	s_mov_b64 s[4:5], 0
.LBB49_413:                             ; =>This Inner Loop Header: Depth=1
	buffer_load_dword v110, v107, s[0:3], 0 offen
	v_mov_b32_e32 v111, s14
	ds_read_b32 v111, v111
	v_add_u32_e32 v109, -1, v109
	s_add_i32 s14, s14, 4
	v_cmp_eq_u32_e32 vcc, 0, v109
	v_add_u32_e32 v107, 4, v107
	s_or_b64 s[4:5], vcc, s[4:5]
	s_waitcnt vmcnt(0) lgkmcnt(0)
	v_fmac_f32_e32 v108, v110, v111
	s_andn2_b64 exec, exec, s[4:5]
	s_cbranch_execnz .LBB49_413
; %bb.414:
	s_or_b64 exec, exec, s[4:5]
.LBB49_415:
	s_or_b64 exec, exec, s[12:13]
	v_mov_b32_e32 v107, 0
	ds_read_b32 v107, v107 offset:28
	s_waitcnt lgkmcnt(0)
	v_mul_f32_e32 v107, v108, v107
	buffer_store_dword v107, off, s[0:3], 0 offset:28
.LBB49_416:
	s_or_b64 exec, exec, s[10:11]
	buffer_load_dword v107, off, s[0:3], 0 offset:24
	v_cmp_lt_u32_e64 s[4:5], 6, v0
	s_waitcnt vmcnt(0)
	ds_write_b32 v102, v107
	s_waitcnt lgkmcnt(0)
	; wave barrier
	s_waitcnt lgkmcnt(0)
	s_and_saveexec_b64 s[10:11], s[4:5]
	s_cbranch_execz .LBB49_426
; %bb.417:
	s_andn2_b64 vcc, exec, s[8:9]
	s_cbranch_vccnz .LBB49_419
; %bb.418:
	buffer_load_dword v107, v103, s[0:3], 0 offen
	ds_read_b32 v108, v102
	s_waitcnt vmcnt(0) lgkmcnt(0)
	v_mul_f32_e32 v107, v107, v108
	s_cbranch_execz .LBB49_420
	s_branch .LBB49_421
.LBB49_419:
                                        ; implicit-def: $vgpr107
.LBB49_420:
	ds_read_b32 v107, v102
.LBB49_421:
	s_and_saveexec_b64 s[12:13], s[6:7]
	s_cbranch_execz .LBB49_425
; %bb.422:
	v_mov_b32_e32 v108, 0
	v_add_u32_e32 v108, 28, v108
	v_add_u32_e32 v109, -7, v0
	s_movk_i32 s14, 0xec
	s_mov_b64 s[6:7], 0
.LBB49_423:                             ; =>This Inner Loop Header: Depth=1
	buffer_load_dword v110, v108, s[0:3], 0 offen
	v_mov_b32_e32 v111, s14
	ds_read_b32 v111, v111
	v_add_u32_e32 v109, -1, v109
	s_add_i32 s14, s14, 4
	v_cmp_eq_u32_e32 vcc, 0, v109
	v_add_u32_e32 v108, 4, v108
	s_or_b64 s[6:7], vcc, s[6:7]
	s_waitcnt vmcnt(0) lgkmcnt(0)
	v_fmac_f32_e32 v107, v110, v111
	s_andn2_b64 exec, exec, s[6:7]
	s_cbranch_execnz .LBB49_423
; %bb.424:
	s_or_b64 exec, exec, s[6:7]
.LBB49_425:
	s_or_b64 exec, exec, s[12:13]
	v_mov_b32_e32 v108, 0
	ds_read_b32 v108, v108 offset:24
	s_waitcnt lgkmcnt(0)
	v_mul_f32_e32 v107, v107, v108
	buffer_store_dword v107, off, s[0:3], 0 offset:24
.LBB49_426:
	s_or_b64 exec, exec, s[10:11]
	buffer_load_dword v107, off, s[0:3], 0 offset:20
	v_cmp_lt_u32_e64 s[6:7], 5, v0
	s_waitcnt vmcnt(0)
	ds_write_b32 v102, v107
	s_waitcnt lgkmcnt(0)
	; wave barrier
	s_waitcnt lgkmcnt(0)
	s_and_saveexec_b64 s[10:11], s[6:7]
	s_cbranch_execz .LBB49_436
; %bb.427:
	s_andn2_b64 vcc, exec, s[8:9]
	s_cbranch_vccnz .LBB49_429
; %bb.428:
	buffer_load_dword v107, v103, s[0:3], 0 offen
	ds_read_b32 v108, v102
	s_waitcnt vmcnt(0) lgkmcnt(0)
	v_mul_f32_e32 v107, v107, v108
	s_cbranch_execz .LBB49_430
	s_branch .LBB49_431
.LBB49_429:
                                        ; implicit-def: $vgpr107
.LBB49_430:
	ds_read_b32 v107, v102
.LBB49_431:
	s_and_saveexec_b64 s[12:13], s[4:5]
	s_cbranch_execz .LBB49_435
; %bb.432:
	v_add_u32_e32 v108, -6, v0
	s_movk_i32 s14, 0xe8
	s_mov_b64 s[4:5], 0
.LBB49_433:                             ; =>This Inner Loop Header: Depth=1
	buffer_load_dword v109, v106, s[0:3], 0 offen
	v_mov_b32_e32 v110, s14
	ds_read_b32 v110, v110
	v_add_u32_e32 v108, -1, v108
	s_add_i32 s14, s14, 4
	v_cmp_eq_u32_e32 vcc, 0, v108
	v_add_u32_e32 v106, 4, v106
	s_or_b64 s[4:5], vcc, s[4:5]
	s_waitcnt vmcnt(0) lgkmcnt(0)
	v_fmac_f32_e32 v107, v109, v110
	s_andn2_b64 exec, exec, s[4:5]
	s_cbranch_execnz .LBB49_433
; %bb.434:
	s_or_b64 exec, exec, s[4:5]
.LBB49_435:
	s_or_b64 exec, exec, s[12:13]
	v_mov_b32_e32 v106, 0
	ds_read_b32 v106, v106 offset:20
	s_waitcnt lgkmcnt(0)
	v_mul_f32_e32 v106, v107, v106
	buffer_store_dword v106, off, s[0:3], 0 offset:20
.LBB49_436:
	s_or_b64 exec, exec, s[10:11]
	buffer_load_dword v106, off, s[0:3], 0 offset:16
	v_cmp_lt_u32_e64 s[4:5], 4, v0
	s_waitcnt vmcnt(0)
	ds_write_b32 v102, v106
	s_waitcnt lgkmcnt(0)
	; wave barrier
	s_waitcnt lgkmcnt(0)
	s_and_saveexec_b64 s[10:11], s[4:5]
	s_cbranch_execz .LBB49_446
; %bb.437:
	s_andn2_b64 vcc, exec, s[8:9]
	s_cbranch_vccnz .LBB49_439
; %bb.438:
	buffer_load_dword v106, v103, s[0:3], 0 offen
	ds_read_b32 v107, v102
	s_waitcnt vmcnt(0) lgkmcnt(0)
	v_mul_f32_e32 v106, v106, v107
	s_cbranch_execz .LBB49_440
	s_branch .LBB49_441
.LBB49_439:
                                        ; implicit-def: $vgpr106
.LBB49_440:
	ds_read_b32 v106, v102
.LBB49_441:
	s_and_saveexec_b64 s[12:13], s[6:7]
	s_cbranch_execz .LBB49_445
; %bb.442:
	v_mov_b32_e32 v107, 0
	v_add_u32_e32 v107, 20, v107
	v_add_u32_e32 v108, -5, v0
	s_movk_i32 s14, 0xe4
	s_mov_b64 s[6:7], 0
.LBB49_443:                             ; =>This Inner Loop Header: Depth=1
	buffer_load_dword v109, v107, s[0:3], 0 offen
	v_mov_b32_e32 v110, s14
	ds_read_b32 v110, v110
	v_add_u32_e32 v108, -1, v108
	s_add_i32 s14, s14, 4
	v_cmp_eq_u32_e32 vcc, 0, v108
	v_add_u32_e32 v107, 4, v107
	s_or_b64 s[6:7], vcc, s[6:7]
	s_waitcnt vmcnt(0) lgkmcnt(0)
	v_fmac_f32_e32 v106, v109, v110
	s_andn2_b64 exec, exec, s[6:7]
	s_cbranch_execnz .LBB49_443
; %bb.444:
	s_or_b64 exec, exec, s[6:7]
.LBB49_445:
	s_or_b64 exec, exec, s[12:13]
	v_mov_b32_e32 v107, 0
	ds_read_b32 v107, v107 offset:16
	s_waitcnt lgkmcnt(0)
	v_mul_f32_e32 v106, v106, v107
	buffer_store_dword v106, off, s[0:3], 0 offset:16
.LBB49_446:
	s_or_b64 exec, exec, s[10:11]
	buffer_load_dword v106, off, s[0:3], 0 offset:12
	v_cmp_lt_u32_e64 s[6:7], 3, v0
	s_waitcnt vmcnt(0)
	ds_write_b32 v102, v106
	s_waitcnt lgkmcnt(0)
	; wave barrier
	s_waitcnt lgkmcnt(0)
	s_and_saveexec_b64 s[10:11], s[6:7]
	s_cbranch_execz .LBB49_456
; %bb.447:
	s_andn2_b64 vcc, exec, s[8:9]
	s_cbranch_vccnz .LBB49_449
; %bb.448:
	buffer_load_dword v106, v103, s[0:3], 0 offen
	ds_read_b32 v107, v102
	s_waitcnt vmcnt(0) lgkmcnt(0)
	v_mul_f32_e32 v106, v106, v107
	s_cbranch_execz .LBB49_450
	s_branch .LBB49_451
.LBB49_449:
                                        ; implicit-def: $vgpr106
.LBB49_450:
	ds_read_b32 v106, v102
.LBB49_451:
	s_and_saveexec_b64 s[12:13], s[4:5]
	s_cbranch_execz .LBB49_455
; %bb.452:
	v_add_u32_e32 v107, -4, v0
	s_movk_i32 s14, 0xe0
	s_mov_b64 s[4:5], 0
.LBB49_453:                             ; =>This Inner Loop Header: Depth=1
	buffer_load_dword v108, v105, s[0:3], 0 offen
	v_mov_b32_e32 v109, s14
	ds_read_b32 v109, v109
	v_add_u32_e32 v107, -1, v107
	s_add_i32 s14, s14, 4
	v_cmp_eq_u32_e32 vcc, 0, v107
	v_add_u32_e32 v105, 4, v105
	s_or_b64 s[4:5], vcc, s[4:5]
	s_waitcnt vmcnt(0) lgkmcnt(0)
	v_fmac_f32_e32 v106, v108, v109
	s_andn2_b64 exec, exec, s[4:5]
	s_cbranch_execnz .LBB49_453
; %bb.454:
	s_or_b64 exec, exec, s[4:5]
.LBB49_455:
	s_or_b64 exec, exec, s[12:13]
	v_mov_b32_e32 v105, 0
	ds_read_b32 v105, v105 offset:12
	s_waitcnt lgkmcnt(0)
	v_mul_f32_e32 v105, v106, v105
	buffer_store_dword v105, off, s[0:3], 0 offset:12
.LBB49_456:
	s_or_b64 exec, exec, s[10:11]
	buffer_load_dword v105, off, s[0:3], 0 offset:8
	v_cmp_lt_u32_e64 s[4:5], 2, v0
	s_waitcnt vmcnt(0)
	ds_write_b32 v102, v105
	s_waitcnt lgkmcnt(0)
	; wave barrier
	s_waitcnt lgkmcnt(0)
	s_and_saveexec_b64 s[10:11], s[4:5]
	s_cbranch_execz .LBB49_466
; %bb.457:
	s_andn2_b64 vcc, exec, s[8:9]
	s_cbranch_vccnz .LBB49_459
; %bb.458:
	buffer_load_dword v105, v103, s[0:3], 0 offen
	ds_read_b32 v106, v102
	s_waitcnt vmcnt(0) lgkmcnt(0)
	v_mul_f32_e32 v105, v105, v106
	s_cbranch_execz .LBB49_460
	s_branch .LBB49_461
.LBB49_459:
                                        ; implicit-def: $vgpr105
.LBB49_460:
	ds_read_b32 v105, v102
.LBB49_461:
	s_and_saveexec_b64 s[12:13], s[6:7]
	s_cbranch_execz .LBB49_465
; %bb.462:
	v_mov_b32_e32 v106, 0
	v_or_b32_e32 v106, 12, v106
	v_add_u32_e32 v107, -3, v0
	s_movk_i32 s14, 0xdc
	s_mov_b64 s[6:7], 0
.LBB49_463:                             ; =>This Inner Loop Header: Depth=1
	buffer_load_dword v108, v106, s[0:3], 0 offen
	v_mov_b32_e32 v109, s14
	ds_read_b32 v109, v109
	v_add_u32_e32 v107, -1, v107
	s_add_i32 s14, s14, 4
	v_cmp_eq_u32_e32 vcc, 0, v107
	v_add_u32_e32 v106, 4, v106
	s_or_b64 s[6:7], vcc, s[6:7]
	s_waitcnt vmcnt(0) lgkmcnt(0)
	v_fmac_f32_e32 v105, v108, v109
	s_andn2_b64 exec, exec, s[6:7]
	s_cbranch_execnz .LBB49_463
; %bb.464:
	s_or_b64 exec, exec, s[6:7]
.LBB49_465:
	s_or_b64 exec, exec, s[12:13]
	v_mov_b32_e32 v106, 0
	ds_read_b32 v106, v106 offset:8
	s_waitcnt lgkmcnt(0)
	v_mul_f32_e32 v105, v105, v106
	buffer_store_dword v105, off, s[0:3], 0 offset:8
.LBB49_466:
	s_or_b64 exec, exec, s[10:11]
	buffer_load_dword v105, off, s[0:3], 0 offset:4
	v_cmp_lt_u32_e64 s[6:7], 1, v0
	s_waitcnt vmcnt(0)
	ds_write_b32 v102, v105
	s_waitcnt lgkmcnt(0)
	; wave barrier
	s_waitcnt lgkmcnt(0)
	s_and_saveexec_b64 s[10:11], s[6:7]
	s_cbranch_execz .LBB49_476
; %bb.467:
	s_andn2_b64 vcc, exec, s[8:9]
	s_cbranch_vccnz .LBB49_469
; %bb.468:
	buffer_load_dword v105, v103, s[0:3], 0 offen
	ds_read_b32 v106, v102
	s_waitcnt vmcnt(0) lgkmcnt(0)
	v_mul_f32_e32 v105, v105, v106
	s_cbranch_execz .LBB49_470
	s_branch .LBB49_471
.LBB49_469:
                                        ; implicit-def: $vgpr105
.LBB49_470:
	ds_read_b32 v105, v102
.LBB49_471:
	s_and_saveexec_b64 s[12:13], s[4:5]
	s_cbranch_execz .LBB49_475
; %bb.472:
	v_add_u32_e32 v106, -2, v0
	s_movk_i32 s14, 0xd8
	s_mov_b64 s[4:5], 0
.LBB49_473:                             ; =>This Inner Loop Header: Depth=1
	buffer_load_dword v107, v104, s[0:3], 0 offen
	v_mov_b32_e32 v108, s14
	ds_read_b32 v108, v108
	v_add_u32_e32 v106, -1, v106
	s_add_i32 s14, s14, 4
	v_cmp_eq_u32_e32 vcc, 0, v106
	v_add_u32_e32 v104, 4, v104
	s_or_b64 s[4:5], vcc, s[4:5]
	s_waitcnt vmcnt(0) lgkmcnt(0)
	v_fmac_f32_e32 v105, v107, v108
	s_andn2_b64 exec, exec, s[4:5]
	s_cbranch_execnz .LBB49_473
; %bb.474:
	s_or_b64 exec, exec, s[4:5]
.LBB49_475:
	s_or_b64 exec, exec, s[12:13]
	v_mov_b32_e32 v104, 0
	ds_read_b32 v104, v104 offset:4
	s_waitcnt lgkmcnt(0)
	v_mul_f32_e32 v104, v105, v104
	buffer_store_dword v104, off, s[0:3], 0 offset:4
.LBB49_476:
	s_or_b64 exec, exec, s[10:11]
	buffer_load_dword v104, off, s[0:3], 0
	v_cmp_ne_u32_e32 vcc, 0, v0
	s_waitcnt vmcnt(0)
	ds_write_b32 v102, v104
	s_waitcnt lgkmcnt(0)
	; wave barrier
	s_waitcnt lgkmcnt(0)
	s_and_saveexec_b64 s[4:5], vcc
	s_cbranch_execz .LBB49_486
; %bb.477:
	s_andn2_b64 vcc, exec, s[8:9]
	s_cbranch_vccnz .LBB49_479
; %bb.478:
	buffer_load_dword v104, v103, s[0:3], 0 offen
	ds_read_b32 v105, v102
	s_waitcnt vmcnt(0) lgkmcnt(0)
	v_mul_f32_e32 v104, v104, v105
	s_cbranch_execz .LBB49_480
	s_branch .LBB49_481
.LBB49_479:
                                        ; implicit-def: $vgpr104
.LBB49_480:
	ds_read_b32 v104, v102
.LBB49_481:
	s_and_saveexec_b64 s[10:11], s[6:7]
	s_cbranch_execz .LBB49_485
; %bb.482:
	v_mov_b32_e32 v105, 0
	v_or_b32_e32 v105, 4, v105
	v_add_u32_e32 v106, -1, v0
	s_movk_i32 s12, 0xd4
	s_mov_b64 s[6:7], 0
.LBB49_483:                             ; =>This Inner Loop Header: Depth=1
	buffer_load_dword v107, v105, s[0:3], 0 offen
	v_mov_b32_e32 v108, s12
	ds_read_b32 v108, v108
	v_add_u32_e32 v106, -1, v106
	s_add_i32 s12, s12, 4
	v_cmp_eq_u32_e32 vcc, 0, v106
	v_add_u32_e32 v105, 4, v105
	s_or_b64 s[6:7], vcc, s[6:7]
	s_waitcnt vmcnt(0) lgkmcnt(0)
	v_fmac_f32_e32 v104, v107, v108
	s_andn2_b64 exec, exec, s[6:7]
	s_cbranch_execnz .LBB49_483
; %bb.484:
	s_or_b64 exec, exec, s[6:7]
.LBB49_485:
	s_or_b64 exec, exec, s[10:11]
	v_mov_b32_e32 v105, 0
	ds_read_b32 v105, v105
	s_waitcnt lgkmcnt(0)
	v_mul_f32_e32 v104, v104, v105
	buffer_store_dword v104, off, s[0:3], 0
.LBB49_486:
	s_or_b64 exec, exec, s[4:5]
	s_mov_b64 s[4:5], 0
.LBB49_487:
	s_and_b64 vcc, exec, s[4:5]
	s_cbranch_vccz .LBB49_971
; %bb.488:
	buffer_load_dword v104, off, s[0:3], 0 offset:4
	v_cmp_eq_u32_e64 s[6:7], 0, v0
	s_waitcnt vmcnt(0)
	ds_write_b32 v102, v104
	s_waitcnt lgkmcnt(0)
	; wave barrier
	s_waitcnt lgkmcnt(0)
	s_and_saveexec_b64 s[4:5], s[6:7]
	s_cbranch_execz .LBB49_494
; %bb.489:
	s_and_b64 vcc, exec, s[8:9]
	s_cbranch_vccz .LBB49_491
; %bb.490:
	buffer_load_dword v104, v103, s[0:3], 0 offen
	ds_read_b32 v105, v102
	s_waitcnt vmcnt(0) lgkmcnt(0)
	v_mul_f32_e32 v104, v104, v105
	s_cbranch_execz .LBB49_492
	s_branch .LBB49_493
.LBB49_491:
                                        ; implicit-def: $vgpr104
.LBB49_492:
	ds_read_b32 v104, v102
.LBB49_493:
	v_mov_b32_e32 v105, 0
	ds_read_b32 v105, v105 offset:4
	s_waitcnt lgkmcnt(0)
	v_mul_f32_e32 v104, v104, v105
	buffer_store_dword v104, off, s[0:3], 0 offset:4
.LBB49_494:
	s_or_b64 exec, exec, s[4:5]
	buffer_load_dword v104, off, s[0:3], 0 offset:8
	v_cndmask_b32_e64 v105, 0, 1, s[8:9]
	v_cmp_gt_u32_e32 vcc, 2, v0
	v_cmp_ne_u32_e64 s[4:5], 1, v105
	s_waitcnt vmcnt(0)
	ds_write_b32 v102, v104
	s_waitcnt lgkmcnt(0)
	; wave barrier
	s_waitcnt lgkmcnt(0)
	s_and_saveexec_b64 s[8:9], vcc
	s_cbranch_execz .LBB49_502
; %bb.495:
	s_and_b64 vcc, exec, s[4:5]
	s_cbranch_vccnz .LBB49_497
; %bb.496:
	buffer_load_dword v104, v103, s[0:3], 0 offen
	ds_read_b32 v105, v102
	s_waitcnt vmcnt(0) lgkmcnt(0)
	v_mul_f32_e32 v104, v104, v105
	s_cbranch_execz .LBB49_498
	s_branch .LBB49_499
.LBB49_497:
                                        ; implicit-def: $vgpr104
.LBB49_498:
	ds_read_b32 v104, v102
.LBB49_499:
	s_and_saveexec_b64 s[10:11], s[6:7]
	s_cbranch_execz .LBB49_501
; %bb.500:
	buffer_load_dword v105, v103, s[0:3], 0 offen offset:4
	ds_read_b32 v106, v102 offset:4
	s_waitcnt vmcnt(0) lgkmcnt(0)
	v_fmac_f32_e32 v104, v105, v106
.LBB49_501:
	s_or_b64 exec, exec, s[10:11]
	v_mov_b32_e32 v105, 0
	ds_read_b32 v105, v105 offset:8
	s_waitcnt lgkmcnt(0)
	v_mul_f32_e32 v104, v104, v105
	buffer_store_dword v104, off, s[0:3], 0 offset:8
.LBB49_502:
	s_or_b64 exec, exec, s[8:9]
	buffer_load_dword v104, off, s[0:3], 0 offset:12
	v_cmp_gt_u32_e32 vcc, 3, v0
	s_waitcnt vmcnt(0)
	ds_write_b32 v102, v104
	s_waitcnt lgkmcnt(0)
	; wave barrier
	s_waitcnt lgkmcnt(0)
	s_and_saveexec_b64 s[8:9], vcc
	s_cbranch_execz .LBB49_510
; %bb.503:
	s_and_b64 vcc, exec, s[4:5]
	s_cbranch_vccnz .LBB49_505
; %bb.504:
	buffer_load_dword v104, v103, s[0:3], 0 offen
	ds_read_b32 v105, v102
	s_waitcnt vmcnt(0) lgkmcnt(0)
	v_mul_f32_e32 v104, v104, v105
	s_cbranch_execz .LBB49_506
	s_branch .LBB49_507
.LBB49_505:
                                        ; implicit-def: $vgpr104
.LBB49_506:
	ds_read_b32 v104, v102
.LBB49_507:
	v_cmp_ne_u32_e32 vcc, 2, v0
	s_and_saveexec_b64 s[10:11], vcc
	s_cbranch_execz .LBB49_509
; %bb.508:
	buffer_load_dword v105, v103, s[0:3], 0 offen offset:4
	buffer_load_dword v106, off, s[0:3], 0 offset:8
	v_mov_b32_e32 v107, 0
	ds_read_b32 v108, v102 offset:4
	ds_read_b32 v107, v107 offset:216
	s_waitcnt vmcnt(1) lgkmcnt(1)
	v_fmac_f32_e32 v104, v105, v108
	s_waitcnt vmcnt(0) lgkmcnt(0)
	v_fma_f32 v105, v106, v107, v104
	v_cndmask_b32_e64 v104, v104, v105, s[6:7]
.LBB49_509:
	s_or_b64 exec, exec, s[10:11]
	v_mov_b32_e32 v105, 0
	ds_read_b32 v105, v105 offset:12
	s_waitcnt lgkmcnt(0)
	v_mul_f32_e32 v104, v104, v105
	buffer_store_dword v104, off, s[0:3], 0 offset:12
.LBB49_510:
	s_or_b64 exec, exec, s[8:9]
	buffer_load_dword v104, off, s[0:3], 0 offset:16
	v_cmp_gt_u32_e32 vcc, 4, v0
	s_waitcnt vmcnt(0)
	ds_write_b32 v102, v104
	s_waitcnt lgkmcnt(0)
	; wave barrier
	s_waitcnt lgkmcnt(0)
	s_and_saveexec_b64 s[6:7], vcc
	s_cbranch_execz .LBB49_520
; %bb.511:
	s_and_b64 vcc, exec, s[4:5]
	s_cbranch_vccnz .LBB49_513
; %bb.512:
	buffer_load_dword v104, v103, s[0:3], 0 offen
	ds_read_b32 v105, v102
	s_waitcnt vmcnt(0) lgkmcnt(0)
	v_mul_f32_e32 v104, v104, v105
	s_cbranch_execz .LBB49_514
	s_branch .LBB49_515
.LBB49_513:
                                        ; implicit-def: $vgpr104
.LBB49_514:
	ds_read_b32 v104, v102
.LBB49_515:
	v_cmp_ne_u32_e32 vcc, 3, v0
	s_and_saveexec_b64 s[8:9], vcc
	s_cbranch_execz .LBB49_519
; %bb.516:
	v_mov_b32_e32 v106, 0
	v_add_u32_e32 v105, 0xd4, v1
	v_add3_u32 v106, v1, v106, 4
	s_mov_b64 s[10:11], 0
	v_mov_b32_e32 v107, v0
.LBB49_517:                             ; =>This Inner Loop Header: Depth=1
	buffer_load_dword v108, v106, s[0:3], 0 offen
	ds_read_b32 v109, v105
	v_add_u32_e32 v107, 1, v107
	v_cmp_lt_u32_e32 vcc, 2, v107
	v_add_u32_e32 v105, 4, v105
	v_add_u32_e32 v106, 4, v106
	s_or_b64 s[10:11], vcc, s[10:11]
	s_waitcnt vmcnt(0) lgkmcnt(0)
	v_fmac_f32_e32 v104, v108, v109
	s_andn2_b64 exec, exec, s[10:11]
	s_cbranch_execnz .LBB49_517
; %bb.518:
	s_or_b64 exec, exec, s[10:11]
.LBB49_519:
	s_or_b64 exec, exec, s[8:9]
	v_mov_b32_e32 v105, 0
	ds_read_b32 v105, v105 offset:16
	s_waitcnt lgkmcnt(0)
	v_mul_f32_e32 v104, v104, v105
	buffer_store_dword v104, off, s[0:3], 0 offset:16
.LBB49_520:
	s_or_b64 exec, exec, s[6:7]
	buffer_load_dword v104, off, s[0:3], 0 offset:20
	v_cmp_gt_u32_e32 vcc, 5, v0
	s_waitcnt vmcnt(0)
	ds_write_b32 v102, v104
	s_waitcnt lgkmcnt(0)
	; wave barrier
	s_waitcnt lgkmcnt(0)
	s_and_saveexec_b64 s[6:7], vcc
	s_cbranch_execz .LBB49_530
; %bb.521:
	s_and_b64 vcc, exec, s[4:5]
	s_cbranch_vccnz .LBB49_523
; %bb.522:
	buffer_load_dword v104, v103, s[0:3], 0 offen
	ds_read_b32 v105, v102
	s_waitcnt vmcnt(0) lgkmcnt(0)
	v_mul_f32_e32 v104, v104, v105
	s_cbranch_execz .LBB49_524
	s_branch .LBB49_525
.LBB49_523:
                                        ; implicit-def: $vgpr104
.LBB49_524:
	ds_read_b32 v104, v102
.LBB49_525:
	v_cmp_ne_u32_e32 vcc, 4, v0
	s_and_saveexec_b64 s[8:9], vcc
	s_cbranch_execz .LBB49_529
; %bb.526:
	v_mov_b32_e32 v106, 0
	v_add_u32_e32 v105, 0xd4, v1
	v_add3_u32 v106, v1, v106, 4
	s_mov_b64 s[10:11], 0
	v_mov_b32_e32 v107, v0
.LBB49_527:                             ; =>This Inner Loop Header: Depth=1
	buffer_load_dword v108, v106, s[0:3], 0 offen
	ds_read_b32 v109, v105
	v_add_u32_e32 v107, 1, v107
	v_cmp_lt_u32_e32 vcc, 3, v107
	v_add_u32_e32 v105, 4, v105
	v_add_u32_e32 v106, 4, v106
	s_or_b64 s[10:11], vcc, s[10:11]
	s_waitcnt vmcnt(0) lgkmcnt(0)
	v_fmac_f32_e32 v104, v108, v109
	s_andn2_b64 exec, exec, s[10:11]
	s_cbranch_execnz .LBB49_527
; %bb.528:
	s_or_b64 exec, exec, s[10:11]
.LBB49_529:
	s_or_b64 exec, exec, s[8:9]
	v_mov_b32_e32 v105, 0
	ds_read_b32 v105, v105 offset:20
	s_waitcnt lgkmcnt(0)
	v_mul_f32_e32 v104, v104, v105
	buffer_store_dword v104, off, s[0:3], 0 offset:20
.LBB49_530:
	s_or_b64 exec, exec, s[6:7]
	buffer_load_dword v104, off, s[0:3], 0 offset:24
	v_cmp_gt_u32_e32 vcc, 6, v0
	s_waitcnt vmcnt(0)
	ds_write_b32 v102, v104
	s_waitcnt lgkmcnt(0)
	; wave barrier
	s_waitcnt lgkmcnt(0)
	s_and_saveexec_b64 s[6:7], vcc
	s_cbranch_execz .LBB49_540
; %bb.531:
	s_and_b64 vcc, exec, s[4:5]
	s_cbranch_vccnz .LBB49_533
; %bb.532:
	buffer_load_dword v104, v103, s[0:3], 0 offen
	ds_read_b32 v105, v102
	s_waitcnt vmcnt(0) lgkmcnt(0)
	v_mul_f32_e32 v104, v104, v105
	s_cbranch_execz .LBB49_534
	s_branch .LBB49_535
.LBB49_533:
                                        ; implicit-def: $vgpr104
.LBB49_534:
	ds_read_b32 v104, v102
.LBB49_535:
	v_cmp_ne_u32_e32 vcc, 5, v0
	s_and_saveexec_b64 s[8:9], vcc
	s_cbranch_execz .LBB49_539
; %bb.536:
	v_mov_b32_e32 v106, 0
	v_add_u32_e32 v105, 0xd4, v1
	v_add3_u32 v106, v1, v106, 4
	s_mov_b64 s[10:11], 0
	v_mov_b32_e32 v107, v0
.LBB49_537:                             ; =>This Inner Loop Header: Depth=1
	buffer_load_dword v108, v106, s[0:3], 0 offen
	ds_read_b32 v109, v105
	v_add_u32_e32 v107, 1, v107
	v_cmp_lt_u32_e32 vcc, 4, v107
	v_add_u32_e32 v105, 4, v105
	v_add_u32_e32 v106, 4, v106
	s_or_b64 s[10:11], vcc, s[10:11]
	s_waitcnt vmcnt(0) lgkmcnt(0)
	v_fmac_f32_e32 v104, v108, v109
	s_andn2_b64 exec, exec, s[10:11]
	s_cbranch_execnz .LBB49_537
; %bb.538:
	s_or_b64 exec, exec, s[10:11]
.LBB49_539:
	s_or_b64 exec, exec, s[8:9]
	v_mov_b32_e32 v105, 0
	ds_read_b32 v105, v105 offset:24
	s_waitcnt lgkmcnt(0)
	v_mul_f32_e32 v104, v104, v105
	buffer_store_dword v104, off, s[0:3], 0 offset:24
.LBB49_540:
	s_or_b64 exec, exec, s[6:7]
	buffer_load_dword v104, off, s[0:3], 0 offset:28
	v_cmp_gt_u32_e32 vcc, 7, v0
	s_waitcnt vmcnt(0)
	ds_write_b32 v102, v104
	s_waitcnt lgkmcnt(0)
	; wave barrier
	s_waitcnt lgkmcnt(0)
	s_and_saveexec_b64 s[6:7], vcc
	s_cbranch_execz .LBB49_550
; %bb.541:
	s_and_b64 vcc, exec, s[4:5]
	s_cbranch_vccnz .LBB49_543
; %bb.542:
	buffer_load_dword v104, v103, s[0:3], 0 offen
	ds_read_b32 v105, v102
	s_waitcnt vmcnt(0) lgkmcnt(0)
	v_mul_f32_e32 v104, v104, v105
	s_cbranch_execz .LBB49_544
	s_branch .LBB49_545
.LBB49_543:
                                        ; implicit-def: $vgpr104
.LBB49_544:
	ds_read_b32 v104, v102
.LBB49_545:
	v_cmp_ne_u32_e32 vcc, 6, v0
	s_and_saveexec_b64 s[8:9], vcc
	s_cbranch_execz .LBB49_549
; %bb.546:
	v_mov_b32_e32 v106, 0
	v_add_u32_e32 v105, 0xd4, v1
	v_add3_u32 v106, v1, v106, 4
	s_mov_b64 s[10:11], 0
	v_mov_b32_e32 v107, v0
.LBB49_547:                             ; =>This Inner Loop Header: Depth=1
	buffer_load_dword v108, v106, s[0:3], 0 offen
	ds_read_b32 v109, v105
	v_add_u32_e32 v107, 1, v107
	v_cmp_lt_u32_e32 vcc, 5, v107
	v_add_u32_e32 v105, 4, v105
	v_add_u32_e32 v106, 4, v106
	s_or_b64 s[10:11], vcc, s[10:11]
	s_waitcnt vmcnt(0) lgkmcnt(0)
	v_fmac_f32_e32 v104, v108, v109
	s_andn2_b64 exec, exec, s[10:11]
	s_cbranch_execnz .LBB49_547
; %bb.548:
	s_or_b64 exec, exec, s[10:11]
.LBB49_549:
	s_or_b64 exec, exec, s[8:9]
	v_mov_b32_e32 v105, 0
	ds_read_b32 v105, v105 offset:28
	s_waitcnt lgkmcnt(0)
	v_mul_f32_e32 v104, v104, v105
	buffer_store_dword v104, off, s[0:3], 0 offset:28
.LBB49_550:
	s_or_b64 exec, exec, s[6:7]
	buffer_load_dword v104, off, s[0:3], 0 offset:32
	v_cmp_gt_u32_e32 vcc, 8, v0
	s_waitcnt vmcnt(0)
	ds_write_b32 v102, v104
	s_waitcnt lgkmcnt(0)
	; wave barrier
	s_waitcnt lgkmcnt(0)
	s_and_saveexec_b64 s[6:7], vcc
	s_cbranch_execz .LBB49_560
; %bb.551:
	s_and_b64 vcc, exec, s[4:5]
	s_cbranch_vccnz .LBB49_553
; %bb.552:
	buffer_load_dword v104, v103, s[0:3], 0 offen
	ds_read_b32 v105, v102
	s_waitcnt vmcnt(0) lgkmcnt(0)
	v_mul_f32_e32 v104, v104, v105
	s_cbranch_execz .LBB49_554
	s_branch .LBB49_555
.LBB49_553:
                                        ; implicit-def: $vgpr104
.LBB49_554:
	ds_read_b32 v104, v102
.LBB49_555:
	v_cmp_ne_u32_e32 vcc, 7, v0
	s_and_saveexec_b64 s[8:9], vcc
	s_cbranch_execz .LBB49_559
; %bb.556:
	v_mov_b32_e32 v106, 0
	v_add_u32_e32 v105, 0xd4, v1
	v_add3_u32 v106, v1, v106, 4
	s_mov_b64 s[10:11], 0
	v_mov_b32_e32 v107, v0
.LBB49_557:                             ; =>This Inner Loop Header: Depth=1
	buffer_load_dword v108, v106, s[0:3], 0 offen
	ds_read_b32 v109, v105
	v_add_u32_e32 v107, 1, v107
	v_cmp_lt_u32_e32 vcc, 6, v107
	v_add_u32_e32 v105, 4, v105
	v_add_u32_e32 v106, 4, v106
	s_or_b64 s[10:11], vcc, s[10:11]
	s_waitcnt vmcnt(0) lgkmcnt(0)
	v_fmac_f32_e32 v104, v108, v109
	s_andn2_b64 exec, exec, s[10:11]
	s_cbranch_execnz .LBB49_557
; %bb.558:
	s_or_b64 exec, exec, s[10:11]
.LBB49_559:
	s_or_b64 exec, exec, s[8:9]
	v_mov_b32_e32 v105, 0
	ds_read_b32 v105, v105 offset:32
	s_waitcnt lgkmcnt(0)
	v_mul_f32_e32 v104, v104, v105
	buffer_store_dword v104, off, s[0:3], 0 offset:32
.LBB49_560:
	s_or_b64 exec, exec, s[6:7]
	buffer_load_dword v104, off, s[0:3], 0 offset:36
	v_cmp_gt_u32_e32 vcc, 9, v0
	s_waitcnt vmcnt(0)
	ds_write_b32 v102, v104
	s_waitcnt lgkmcnt(0)
	; wave barrier
	s_waitcnt lgkmcnt(0)
	s_and_saveexec_b64 s[6:7], vcc
	s_cbranch_execz .LBB49_570
; %bb.561:
	s_and_b64 vcc, exec, s[4:5]
	s_cbranch_vccnz .LBB49_563
; %bb.562:
	buffer_load_dword v104, v103, s[0:3], 0 offen
	ds_read_b32 v105, v102
	s_waitcnt vmcnt(0) lgkmcnt(0)
	v_mul_f32_e32 v104, v104, v105
	s_cbranch_execz .LBB49_564
	s_branch .LBB49_565
.LBB49_563:
                                        ; implicit-def: $vgpr104
.LBB49_564:
	ds_read_b32 v104, v102
.LBB49_565:
	v_cmp_ne_u32_e32 vcc, 8, v0
	s_and_saveexec_b64 s[8:9], vcc
	s_cbranch_execz .LBB49_569
; %bb.566:
	v_mov_b32_e32 v106, 0
	v_add_u32_e32 v105, 0xd4, v1
	v_add3_u32 v106, v1, v106, 4
	s_mov_b64 s[10:11], 0
	v_mov_b32_e32 v107, v0
.LBB49_567:                             ; =>This Inner Loop Header: Depth=1
	buffer_load_dword v108, v106, s[0:3], 0 offen
	ds_read_b32 v109, v105
	v_add_u32_e32 v107, 1, v107
	v_cmp_lt_u32_e32 vcc, 7, v107
	v_add_u32_e32 v105, 4, v105
	v_add_u32_e32 v106, 4, v106
	s_or_b64 s[10:11], vcc, s[10:11]
	s_waitcnt vmcnt(0) lgkmcnt(0)
	v_fmac_f32_e32 v104, v108, v109
	s_andn2_b64 exec, exec, s[10:11]
	s_cbranch_execnz .LBB49_567
; %bb.568:
	s_or_b64 exec, exec, s[10:11]
.LBB49_569:
	s_or_b64 exec, exec, s[8:9]
	v_mov_b32_e32 v105, 0
	ds_read_b32 v105, v105 offset:36
	s_waitcnt lgkmcnt(0)
	v_mul_f32_e32 v104, v104, v105
	buffer_store_dword v104, off, s[0:3], 0 offset:36
.LBB49_570:
	s_or_b64 exec, exec, s[6:7]
	buffer_load_dword v104, off, s[0:3], 0 offset:40
	v_cmp_gt_u32_e32 vcc, 10, v0
	s_waitcnt vmcnt(0)
	ds_write_b32 v102, v104
	s_waitcnt lgkmcnt(0)
	; wave barrier
	s_waitcnt lgkmcnt(0)
	s_and_saveexec_b64 s[6:7], vcc
	s_cbranch_execz .LBB49_580
; %bb.571:
	s_and_b64 vcc, exec, s[4:5]
	s_cbranch_vccnz .LBB49_573
; %bb.572:
	buffer_load_dword v104, v103, s[0:3], 0 offen
	ds_read_b32 v105, v102
	s_waitcnt vmcnt(0) lgkmcnt(0)
	v_mul_f32_e32 v104, v104, v105
	s_cbranch_execz .LBB49_574
	s_branch .LBB49_575
.LBB49_573:
                                        ; implicit-def: $vgpr104
.LBB49_574:
	ds_read_b32 v104, v102
.LBB49_575:
	v_cmp_ne_u32_e32 vcc, 9, v0
	s_and_saveexec_b64 s[8:9], vcc
	s_cbranch_execz .LBB49_579
; %bb.576:
	v_mov_b32_e32 v106, 0
	v_add_u32_e32 v105, 0xd4, v1
	v_add3_u32 v106, v1, v106, 4
	s_mov_b64 s[10:11], 0
	v_mov_b32_e32 v107, v0
.LBB49_577:                             ; =>This Inner Loop Header: Depth=1
	buffer_load_dword v108, v106, s[0:3], 0 offen
	ds_read_b32 v109, v105
	v_add_u32_e32 v107, 1, v107
	v_cmp_lt_u32_e32 vcc, 8, v107
	v_add_u32_e32 v105, 4, v105
	v_add_u32_e32 v106, 4, v106
	s_or_b64 s[10:11], vcc, s[10:11]
	s_waitcnt vmcnt(0) lgkmcnt(0)
	v_fmac_f32_e32 v104, v108, v109
	s_andn2_b64 exec, exec, s[10:11]
	s_cbranch_execnz .LBB49_577
; %bb.578:
	s_or_b64 exec, exec, s[10:11]
.LBB49_579:
	s_or_b64 exec, exec, s[8:9]
	v_mov_b32_e32 v105, 0
	ds_read_b32 v105, v105 offset:40
	s_waitcnt lgkmcnt(0)
	v_mul_f32_e32 v104, v104, v105
	buffer_store_dword v104, off, s[0:3], 0 offset:40
.LBB49_580:
	s_or_b64 exec, exec, s[6:7]
	buffer_load_dword v104, off, s[0:3], 0 offset:44
	v_cmp_gt_u32_e32 vcc, 11, v0
	s_waitcnt vmcnt(0)
	ds_write_b32 v102, v104
	s_waitcnt lgkmcnt(0)
	; wave barrier
	s_waitcnt lgkmcnt(0)
	s_and_saveexec_b64 s[6:7], vcc
	s_cbranch_execz .LBB49_590
; %bb.581:
	s_and_b64 vcc, exec, s[4:5]
	s_cbranch_vccnz .LBB49_583
; %bb.582:
	buffer_load_dword v104, v103, s[0:3], 0 offen
	ds_read_b32 v105, v102
	s_waitcnt vmcnt(0) lgkmcnt(0)
	v_mul_f32_e32 v104, v104, v105
	s_cbranch_execz .LBB49_584
	s_branch .LBB49_585
.LBB49_583:
                                        ; implicit-def: $vgpr104
.LBB49_584:
	ds_read_b32 v104, v102
.LBB49_585:
	v_cmp_ne_u32_e32 vcc, 10, v0
	s_and_saveexec_b64 s[8:9], vcc
	s_cbranch_execz .LBB49_589
; %bb.586:
	v_mov_b32_e32 v106, 0
	v_add_u32_e32 v105, 0xd4, v1
	v_add3_u32 v106, v1, v106, 4
	s_mov_b64 s[10:11], 0
	v_mov_b32_e32 v107, v0
.LBB49_587:                             ; =>This Inner Loop Header: Depth=1
	buffer_load_dword v108, v106, s[0:3], 0 offen
	ds_read_b32 v109, v105
	v_add_u32_e32 v107, 1, v107
	v_cmp_lt_u32_e32 vcc, 9, v107
	v_add_u32_e32 v105, 4, v105
	v_add_u32_e32 v106, 4, v106
	s_or_b64 s[10:11], vcc, s[10:11]
	s_waitcnt vmcnt(0) lgkmcnt(0)
	v_fmac_f32_e32 v104, v108, v109
	s_andn2_b64 exec, exec, s[10:11]
	s_cbranch_execnz .LBB49_587
; %bb.588:
	s_or_b64 exec, exec, s[10:11]
.LBB49_589:
	s_or_b64 exec, exec, s[8:9]
	v_mov_b32_e32 v105, 0
	ds_read_b32 v105, v105 offset:44
	s_waitcnt lgkmcnt(0)
	v_mul_f32_e32 v104, v104, v105
	buffer_store_dword v104, off, s[0:3], 0 offset:44
.LBB49_590:
	s_or_b64 exec, exec, s[6:7]
	buffer_load_dword v104, off, s[0:3], 0 offset:48
	v_cmp_gt_u32_e32 vcc, 12, v0
	s_waitcnt vmcnt(0)
	ds_write_b32 v102, v104
	s_waitcnt lgkmcnt(0)
	; wave barrier
	s_waitcnt lgkmcnt(0)
	s_and_saveexec_b64 s[6:7], vcc
	s_cbranch_execz .LBB49_600
; %bb.591:
	s_and_b64 vcc, exec, s[4:5]
	s_cbranch_vccnz .LBB49_593
; %bb.592:
	buffer_load_dword v104, v103, s[0:3], 0 offen
	ds_read_b32 v105, v102
	s_waitcnt vmcnt(0) lgkmcnt(0)
	v_mul_f32_e32 v104, v104, v105
	s_cbranch_execz .LBB49_594
	s_branch .LBB49_595
.LBB49_593:
                                        ; implicit-def: $vgpr104
.LBB49_594:
	ds_read_b32 v104, v102
.LBB49_595:
	v_cmp_ne_u32_e32 vcc, 11, v0
	s_and_saveexec_b64 s[8:9], vcc
	s_cbranch_execz .LBB49_599
; %bb.596:
	v_mov_b32_e32 v106, 0
	v_add_u32_e32 v105, 0xd4, v1
	v_add3_u32 v106, v1, v106, 4
	s_mov_b64 s[10:11], 0
	v_mov_b32_e32 v107, v0
.LBB49_597:                             ; =>This Inner Loop Header: Depth=1
	buffer_load_dword v108, v106, s[0:3], 0 offen
	ds_read_b32 v109, v105
	v_add_u32_e32 v107, 1, v107
	v_cmp_lt_u32_e32 vcc, 10, v107
	v_add_u32_e32 v105, 4, v105
	v_add_u32_e32 v106, 4, v106
	s_or_b64 s[10:11], vcc, s[10:11]
	s_waitcnt vmcnt(0) lgkmcnt(0)
	v_fmac_f32_e32 v104, v108, v109
	s_andn2_b64 exec, exec, s[10:11]
	s_cbranch_execnz .LBB49_597
; %bb.598:
	s_or_b64 exec, exec, s[10:11]
.LBB49_599:
	s_or_b64 exec, exec, s[8:9]
	v_mov_b32_e32 v105, 0
	ds_read_b32 v105, v105 offset:48
	s_waitcnt lgkmcnt(0)
	v_mul_f32_e32 v104, v104, v105
	buffer_store_dword v104, off, s[0:3], 0 offset:48
.LBB49_600:
	s_or_b64 exec, exec, s[6:7]
	buffer_load_dword v104, off, s[0:3], 0 offset:52
	v_cmp_gt_u32_e32 vcc, 13, v0
	s_waitcnt vmcnt(0)
	ds_write_b32 v102, v104
	s_waitcnt lgkmcnt(0)
	; wave barrier
	s_waitcnt lgkmcnt(0)
	s_and_saveexec_b64 s[6:7], vcc
	s_cbranch_execz .LBB49_610
; %bb.601:
	s_and_b64 vcc, exec, s[4:5]
	s_cbranch_vccnz .LBB49_603
; %bb.602:
	buffer_load_dword v104, v103, s[0:3], 0 offen
	ds_read_b32 v105, v102
	s_waitcnt vmcnt(0) lgkmcnt(0)
	v_mul_f32_e32 v104, v104, v105
	s_cbranch_execz .LBB49_604
	s_branch .LBB49_605
.LBB49_603:
                                        ; implicit-def: $vgpr104
.LBB49_604:
	ds_read_b32 v104, v102
.LBB49_605:
	v_cmp_ne_u32_e32 vcc, 12, v0
	s_and_saveexec_b64 s[8:9], vcc
	s_cbranch_execz .LBB49_609
; %bb.606:
	v_mov_b32_e32 v106, 0
	v_add_u32_e32 v105, 0xd4, v1
	v_add3_u32 v106, v1, v106, 4
	s_mov_b64 s[10:11], 0
	v_mov_b32_e32 v107, v0
.LBB49_607:                             ; =>This Inner Loop Header: Depth=1
	buffer_load_dword v108, v106, s[0:3], 0 offen
	ds_read_b32 v109, v105
	v_add_u32_e32 v107, 1, v107
	v_cmp_lt_u32_e32 vcc, 11, v107
	v_add_u32_e32 v105, 4, v105
	v_add_u32_e32 v106, 4, v106
	s_or_b64 s[10:11], vcc, s[10:11]
	s_waitcnt vmcnt(0) lgkmcnt(0)
	v_fmac_f32_e32 v104, v108, v109
	s_andn2_b64 exec, exec, s[10:11]
	s_cbranch_execnz .LBB49_607
; %bb.608:
	s_or_b64 exec, exec, s[10:11]
.LBB49_609:
	s_or_b64 exec, exec, s[8:9]
	v_mov_b32_e32 v105, 0
	ds_read_b32 v105, v105 offset:52
	s_waitcnt lgkmcnt(0)
	v_mul_f32_e32 v104, v104, v105
	buffer_store_dword v104, off, s[0:3], 0 offset:52
.LBB49_610:
	s_or_b64 exec, exec, s[6:7]
	buffer_load_dword v104, off, s[0:3], 0 offset:56
	v_cmp_gt_u32_e32 vcc, 14, v0
	s_waitcnt vmcnt(0)
	ds_write_b32 v102, v104
	s_waitcnt lgkmcnt(0)
	; wave barrier
	s_waitcnt lgkmcnt(0)
	s_and_saveexec_b64 s[6:7], vcc
	s_cbranch_execz .LBB49_620
; %bb.611:
	s_and_b64 vcc, exec, s[4:5]
	s_cbranch_vccnz .LBB49_613
; %bb.612:
	buffer_load_dword v104, v103, s[0:3], 0 offen
	ds_read_b32 v105, v102
	s_waitcnt vmcnt(0) lgkmcnt(0)
	v_mul_f32_e32 v104, v104, v105
	s_cbranch_execz .LBB49_614
	s_branch .LBB49_615
.LBB49_613:
                                        ; implicit-def: $vgpr104
.LBB49_614:
	ds_read_b32 v104, v102
.LBB49_615:
	v_cmp_ne_u32_e32 vcc, 13, v0
	s_and_saveexec_b64 s[8:9], vcc
	s_cbranch_execz .LBB49_619
; %bb.616:
	v_mov_b32_e32 v106, 0
	v_add_u32_e32 v105, 0xd4, v1
	v_add3_u32 v106, v1, v106, 4
	s_mov_b64 s[10:11], 0
	v_mov_b32_e32 v107, v0
.LBB49_617:                             ; =>This Inner Loop Header: Depth=1
	buffer_load_dword v108, v106, s[0:3], 0 offen
	ds_read_b32 v109, v105
	v_add_u32_e32 v107, 1, v107
	v_cmp_lt_u32_e32 vcc, 12, v107
	v_add_u32_e32 v105, 4, v105
	v_add_u32_e32 v106, 4, v106
	s_or_b64 s[10:11], vcc, s[10:11]
	s_waitcnt vmcnt(0) lgkmcnt(0)
	v_fmac_f32_e32 v104, v108, v109
	s_andn2_b64 exec, exec, s[10:11]
	s_cbranch_execnz .LBB49_617
; %bb.618:
	s_or_b64 exec, exec, s[10:11]
.LBB49_619:
	s_or_b64 exec, exec, s[8:9]
	v_mov_b32_e32 v105, 0
	ds_read_b32 v105, v105 offset:56
	s_waitcnt lgkmcnt(0)
	v_mul_f32_e32 v104, v104, v105
	buffer_store_dword v104, off, s[0:3], 0 offset:56
.LBB49_620:
	s_or_b64 exec, exec, s[6:7]
	buffer_load_dword v104, off, s[0:3], 0 offset:60
	v_cmp_gt_u32_e32 vcc, 15, v0
	s_waitcnt vmcnt(0)
	ds_write_b32 v102, v104
	s_waitcnt lgkmcnt(0)
	; wave barrier
	s_waitcnt lgkmcnt(0)
	s_and_saveexec_b64 s[6:7], vcc
	s_cbranch_execz .LBB49_630
; %bb.621:
	s_and_b64 vcc, exec, s[4:5]
	s_cbranch_vccnz .LBB49_623
; %bb.622:
	buffer_load_dword v104, v103, s[0:3], 0 offen
	ds_read_b32 v105, v102
	s_waitcnt vmcnt(0) lgkmcnt(0)
	v_mul_f32_e32 v104, v104, v105
	s_cbranch_execz .LBB49_624
	s_branch .LBB49_625
.LBB49_623:
                                        ; implicit-def: $vgpr104
.LBB49_624:
	ds_read_b32 v104, v102
.LBB49_625:
	v_cmp_ne_u32_e32 vcc, 14, v0
	s_and_saveexec_b64 s[8:9], vcc
	s_cbranch_execz .LBB49_629
; %bb.626:
	v_mov_b32_e32 v106, 0
	v_add_u32_e32 v105, 0xd4, v1
	v_add3_u32 v106, v1, v106, 4
	s_mov_b64 s[10:11], 0
	v_mov_b32_e32 v107, v0
.LBB49_627:                             ; =>This Inner Loop Header: Depth=1
	buffer_load_dword v108, v106, s[0:3], 0 offen
	ds_read_b32 v109, v105
	v_add_u32_e32 v107, 1, v107
	v_cmp_lt_u32_e32 vcc, 13, v107
	v_add_u32_e32 v105, 4, v105
	v_add_u32_e32 v106, 4, v106
	s_or_b64 s[10:11], vcc, s[10:11]
	s_waitcnt vmcnt(0) lgkmcnt(0)
	v_fmac_f32_e32 v104, v108, v109
	s_andn2_b64 exec, exec, s[10:11]
	s_cbranch_execnz .LBB49_627
; %bb.628:
	s_or_b64 exec, exec, s[10:11]
.LBB49_629:
	s_or_b64 exec, exec, s[8:9]
	v_mov_b32_e32 v105, 0
	ds_read_b32 v105, v105 offset:60
	s_waitcnt lgkmcnt(0)
	v_mul_f32_e32 v104, v104, v105
	buffer_store_dword v104, off, s[0:3], 0 offset:60
.LBB49_630:
	s_or_b64 exec, exec, s[6:7]
	buffer_load_dword v104, off, s[0:3], 0 offset:64
	v_cmp_gt_u32_e32 vcc, 16, v0
	s_waitcnt vmcnt(0)
	ds_write_b32 v102, v104
	s_waitcnt lgkmcnt(0)
	; wave barrier
	s_waitcnt lgkmcnt(0)
	s_and_saveexec_b64 s[6:7], vcc
	s_cbranch_execz .LBB49_640
; %bb.631:
	s_and_b64 vcc, exec, s[4:5]
	s_cbranch_vccnz .LBB49_633
; %bb.632:
	buffer_load_dword v104, v103, s[0:3], 0 offen
	ds_read_b32 v105, v102
	s_waitcnt vmcnt(0) lgkmcnt(0)
	v_mul_f32_e32 v104, v104, v105
	s_cbranch_execz .LBB49_634
	s_branch .LBB49_635
.LBB49_633:
                                        ; implicit-def: $vgpr104
.LBB49_634:
	ds_read_b32 v104, v102
.LBB49_635:
	v_cmp_ne_u32_e32 vcc, 15, v0
	s_and_saveexec_b64 s[8:9], vcc
	s_cbranch_execz .LBB49_639
; %bb.636:
	v_mov_b32_e32 v106, 0
	v_add_u32_e32 v105, 0xd4, v1
	v_add3_u32 v106, v1, v106, 4
	s_mov_b64 s[10:11], 0
	v_mov_b32_e32 v107, v0
.LBB49_637:                             ; =>This Inner Loop Header: Depth=1
	buffer_load_dword v108, v106, s[0:3], 0 offen
	ds_read_b32 v109, v105
	v_add_u32_e32 v107, 1, v107
	v_cmp_lt_u32_e32 vcc, 14, v107
	v_add_u32_e32 v105, 4, v105
	v_add_u32_e32 v106, 4, v106
	s_or_b64 s[10:11], vcc, s[10:11]
	s_waitcnt vmcnt(0) lgkmcnt(0)
	v_fmac_f32_e32 v104, v108, v109
	s_andn2_b64 exec, exec, s[10:11]
	s_cbranch_execnz .LBB49_637
; %bb.638:
	s_or_b64 exec, exec, s[10:11]
.LBB49_639:
	s_or_b64 exec, exec, s[8:9]
	v_mov_b32_e32 v105, 0
	ds_read_b32 v105, v105 offset:64
	s_waitcnt lgkmcnt(0)
	v_mul_f32_e32 v104, v104, v105
	buffer_store_dword v104, off, s[0:3], 0 offset:64
.LBB49_640:
	s_or_b64 exec, exec, s[6:7]
	buffer_load_dword v104, off, s[0:3], 0 offset:68
	v_cmp_gt_u32_e32 vcc, 17, v0
	s_waitcnt vmcnt(0)
	ds_write_b32 v102, v104
	s_waitcnt lgkmcnt(0)
	; wave barrier
	s_waitcnt lgkmcnt(0)
	s_and_saveexec_b64 s[6:7], vcc
	s_cbranch_execz .LBB49_650
; %bb.641:
	s_and_b64 vcc, exec, s[4:5]
	s_cbranch_vccnz .LBB49_643
; %bb.642:
	buffer_load_dword v104, v103, s[0:3], 0 offen
	ds_read_b32 v105, v102
	s_waitcnt vmcnt(0) lgkmcnt(0)
	v_mul_f32_e32 v104, v104, v105
	s_cbranch_execz .LBB49_644
	s_branch .LBB49_645
.LBB49_643:
                                        ; implicit-def: $vgpr104
.LBB49_644:
	ds_read_b32 v104, v102
.LBB49_645:
	v_cmp_ne_u32_e32 vcc, 16, v0
	s_and_saveexec_b64 s[8:9], vcc
	s_cbranch_execz .LBB49_649
; %bb.646:
	v_mov_b32_e32 v106, 0
	v_add_u32_e32 v105, 0xd4, v1
	v_add3_u32 v106, v1, v106, 4
	s_mov_b64 s[10:11], 0
	v_mov_b32_e32 v107, v0
.LBB49_647:                             ; =>This Inner Loop Header: Depth=1
	buffer_load_dword v108, v106, s[0:3], 0 offen
	ds_read_b32 v109, v105
	v_add_u32_e32 v107, 1, v107
	v_cmp_lt_u32_e32 vcc, 15, v107
	v_add_u32_e32 v105, 4, v105
	v_add_u32_e32 v106, 4, v106
	s_or_b64 s[10:11], vcc, s[10:11]
	s_waitcnt vmcnt(0) lgkmcnt(0)
	v_fmac_f32_e32 v104, v108, v109
	s_andn2_b64 exec, exec, s[10:11]
	s_cbranch_execnz .LBB49_647
; %bb.648:
	s_or_b64 exec, exec, s[10:11]
.LBB49_649:
	s_or_b64 exec, exec, s[8:9]
	v_mov_b32_e32 v105, 0
	ds_read_b32 v105, v105 offset:68
	s_waitcnt lgkmcnt(0)
	v_mul_f32_e32 v104, v104, v105
	buffer_store_dword v104, off, s[0:3], 0 offset:68
.LBB49_650:
	s_or_b64 exec, exec, s[6:7]
	buffer_load_dword v104, off, s[0:3], 0 offset:72
	v_cmp_gt_u32_e32 vcc, 18, v0
	s_waitcnt vmcnt(0)
	ds_write_b32 v102, v104
	s_waitcnt lgkmcnt(0)
	; wave barrier
	s_waitcnt lgkmcnt(0)
	s_and_saveexec_b64 s[6:7], vcc
	s_cbranch_execz .LBB49_660
; %bb.651:
	s_and_b64 vcc, exec, s[4:5]
	s_cbranch_vccnz .LBB49_653
; %bb.652:
	buffer_load_dword v104, v103, s[0:3], 0 offen
	ds_read_b32 v105, v102
	s_waitcnt vmcnt(0) lgkmcnt(0)
	v_mul_f32_e32 v104, v104, v105
	s_cbranch_execz .LBB49_654
	s_branch .LBB49_655
.LBB49_653:
                                        ; implicit-def: $vgpr104
.LBB49_654:
	ds_read_b32 v104, v102
.LBB49_655:
	v_cmp_ne_u32_e32 vcc, 17, v0
	s_and_saveexec_b64 s[8:9], vcc
	s_cbranch_execz .LBB49_659
; %bb.656:
	v_mov_b32_e32 v106, 0
	v_add_u32_e32 v105, 0xd4, v1
	v_add3_u32 v106, v1, v106, 4
	s_mov_b64 s[10:11], 0
	v_mov_b32_e32 v107, v0
.LBB49_657:                             ; =>This Inner Loop Header: Depth=1
	buffer_load_dword v108, v106, s[0:3], 0 offen
	ds_read_b32 v109, v105
	v_add_u32_e32 v107, 1, v107
	v_cmp_lt_u32_e32 vcc, 16, v107
	v_add_u32_e32 v105, 4, v105
	v_add_u32_e32 v106, 4, v106
	s_or_b64 s[10:11], vcc, s[10:11]
	s_waitcnt vmcnt(0) lgkmcnt(0)
	v_fmac_f32_e32 v104, v108, v109
	s_andn2_b64 exec, exec, s[10:11]
	s_cbranch_execnz .LBB49_657
; %bb.658:
	s_or_b64 exec, exec, s[10:11]
.LBB49_659:
	s_or_b64 exec, exec, s[8:9]
	v_mov_b32_e32 v105, 0
	ds_read_b32 v105, v105 offset:72
	s_waitcnt lgkmcnt(0)
	v_mul_f32_e32 v104, v104, v105
	buffer_store_dword v104, off, s[0:3], 0 offset:72
.LBB49_660:
	s_or_b64 exec, exec, s[6:7]
	buffer_load_dword v104, off, s[0:3], 0 offset:76
	v_cmp_gt_u32_e32 vcc, 19, v0
	s_waitcnt vmcnt(0)
	ds_write_b32 v102, v104
	s_waitcnt lgkmcnt(0)
	; wave barrier
	s_waitcnt lgkmcnt(0)
	s_and_saveexec_b64 s[6:7], vcc
	s_cbranch_execz .LBB49_670
; %bb.661:
	s_and_b64 vcc, exec, s[4:5]
	s_cbranch_vccnz .LBB49_663
; %bb.662:
	buffer_load_dword v104, v103, s[0:3], 0 offen
	ds_read_b32 v105, v102
	s_waitcnt vmcnt(0) lgkmcnt(0)
	v_mul_f32_e32 v104, v104, v105
	s_cbranch_execz .LBB49_664
	s_branch .LBB49_665
.LBB49_663:
                                        ; implicit-def: $vgpr104
.LBB49_664:
	ds_read_b32 v104, v102
.LBB49_665:
	v_cmp_ne_u32_e32 vcc, 18, v0
	s_and_saveexec_b64 s[8:9], vcc
	s_cbranch_execz .LBB49_669
; %bb.666:
	v_mov_b32_e32 v106, 0
	v_add_u32_e32 v105, 0xd4, v1
	v_add3_u32 v106, v1, v106, 4
	s_mov_b64 s[10:11], 0
	v_mov_b32_e32 v107, v0
.LBB49_667:                             ; =>This Inner Loop Header: Depth=1
	buffer_load_dword v108, v106, s[0:3], 0 offen
	ds_read_b32 v109, v105
	v_add_u32_e32 v107, 1, v107
	v_cmp_lt_u32_e32 vcc, 17, v107
	v_add_u32_e32 v105, 4, v105
	v_add_u32_e32 v106, 4, v106
	s_or_b64 s[10:11], vcc, s[10:11]
	s_waitcnt vmcnt(0) lgkmcnt(0)
	v_fmac_f32_e32 v104, v108, v109
	s_andn2_b64 exec, exec, s[10:11]
	s_cbranch_execnz .LBB49_667
; %bb.668:
	s_or_b64 exec, exec, s[10:11]
.LBB49_669:
	s_or_b64 exec, exec, s[8:9]
	v_mov_b32_e32 v105, 0
	ds_read_b32 v105, v105 offset:76
	s_waitcnt lgkmcnt(0)
	v_mul_f32_e32 v104, v104, v105
	buffer_store_dword v104, off, s[0:3], 0 offset:76
.LBB49_670:
	s_or_b64 exec, exec, s[6:7]
	buffer_load_dword v104, off, s[0:3], 0 offset:80
	v_cmp_gt_u32_e32 vcc, 20, v0
	s_waitcnt vmcnt(0)
	ds_write_b32 v102, v104
	s_waitcnt lgkmcnt(0)
	; wave barrier
	s_waitcnt lgkmcnt(0)
	s_and_saveexec_b64 s[6:7], vcc
	s_cbranch_execz .LBB49_680
; %bb.671:
	s_and_b64 vcc, exec, s[4:5]
	s_cbranch_vccnz .LBB49_673
; %bb.672:
	buffer_load_dword v104, v103, s[0:3], 0 offen
	ds_read_b32 v105, v102
	s_waitcnt vmcnt(0) lgkmcnt(0)
	v_mul_f32_e32 v104, v104, v105
	s_cbranch_execz .LBB49_674
	s_branch .LBB49_675
.LBB49_673:
                                        ; implicit-def: $vgpr104
.LBB49_674:
	ds_read_b32 v104, v102
.LBB49_675:
	v_cmp_ne_u32_e32 vcc, 19, v0
	s_and_saveexec_b64 s[8:9], vcc
	s_cbranch_execz .LBB49_679
; %bb.676:
	v_mov_b32_e32 v106, 0
	v_add_u32_e32 v105, 0xd4, v1
	v_add3_u32 v106, v1, v106, 4
	s_mov_b64 s[10:11], 0
	v_mov_b32_e32 v107, v0
.LBB49_677:                             ; =>This Inner Loop Header: Depth=1
	buffer_load_dword v108, v106, s[0:3], 0 offen
	ds_read_b32 v109, v105
	v_add_u32_e32 v107, 1, v107
	v_cmp_lt_u32_e32 vcc, 18, v107
	v_add_u32_e32 v105, 4, v105
	v_add_u32_e32 v106, 4, v106
	s_or_b64 s[10:11], vcc, s[10:11]
	s_waitcnt vmcnt(0) lgkmcnt(0)
	v_fmac_f32_e32 v104, v108, v109
	s_andn2_b64 exec, exec, s[10:11]
	s_cbranch_execnz .LBB49_677
; %bb.678:
	s_or_b64 exec, exec, s[10:11]
.LBB49_679:
	s_or_b64 exec, exec, s[8:9]
	v_mov_b32_e32 v105, 0
	ds_read_b32 v105, v105 offset:80
	s_waitcnt lgkmcnt(0)
	v_mul_f32_e32 v104, v104, v105
	buffer_store_dword v104, off, s[0:3], 0 offset:80
.LBB49_680:
	s_or_b64 exec, exec, s[6:7]
	buffer_load_dword v104, off, s[0:3], 0 offset:84
	v_cmp_gt_u32_e32 vcc, 21, v0
	s_waitcnt vmcnt(0)
	ds_write_b32 v102, v104
	s_waitcnt lgkmcnt(0)
	; wave barrier
	s_waitcnt lgkmcnt(0)
	s_and_saveexec_b64 s[6:7], vcc
	s_cbranch_execz .LBB49_690
; %bb.681:
	s_and_b64 vcc, exec, s[4:5]
	s_cbranch_vccnz .LBB49_683
; %bb.682:
	buffer_load_dword v104, v103, s[0:3], 0 offen
	ds_read_b32 v105, v102
	s_waitcnt vmcnt(0) lgkmcnt(0)
	v_mul_f32_e32 v104, v104, v105
	s_cbranch_execz .LBB49_684
	s_branch .LBB49_685
.LBB49_683:
                                        ; implicit-def: $vgpr104
.LBB49_684:
	ds_read_b32 v104, v102
.LBB49_685:
	v_cmp_ne_u32_e32 vcc, 20, v0
	s_and_saveexec_b64 s[8:9], vcc
	s_cbranch_execz .LBB49_689
; %bb.686:
	v_mov_b32_e32 v106, 0
	v_add_u32_e32 v105, 0xd4, v1
	v_add3_u32 v106, v1, v106, 4
	s_mov_b64 s[10:11], 0
	v_mov_b32_e32 v107, v0
.LBB49_687:                             ; =>This Inner Loop Header: Depth=1
	buffer_load_dword v108, v106, s[0:3], 0 offen
	ds_read_b32 v109, v105
	v_add_u32_e32 v107, 1, v107
	v_cmp_lt_u32_e32 vcc, 19, v107
	v_add_u32_e32 v105, 4, v105
	v_add_u32_e32 v106, 4, v106
	s_or_b64 s[10:11], vcc, s[10:11]
	s_waitcnt vmcnt(0) lgkmcnt(0)
	v_fmac_f32_e32 v104, v108, v109
	s_andn2_b64 exec, exec, s[10:11]
	s_cbranch_execnz .LBB49_687
; %bb.688:
	s_or_b64 exec, exec, s[10:11]
.LBB49_689:
	s_or_b64 exec, exec, s[8:9]
	v_mov_b32_e32 v105, 0
	ds_read_b32 v105, v105 offset:84
	s_waitcnt lgkmcnt(0)
	v_mul_f32_e32 v104, v104, v105
	buffer_store_dword v104, off, s[0:3], 0 offset:84
.LBB49_690:
	s_or_b64 exec, exec, s[6:7]
	buffer_load_dword v104, off, s[0:3], 0 offset:88
	v_cmp_gt_u32_e32 vcc, 22, v0
	s_waitcnt vmcnt(0)
	ds_write_b32 v102, v104
	s_waitcnt lgkmcnt(0)
	; wave barrier
	s_waitcnt lgkmcnt(0)
	s_and_saveexec_b64 s[6:7], vcc
	s_cbranch_execz .LBB49_700
; %bb.691:
	s_and_b64 vcc, exec, s[4:5]
	s_cbranch_vccnz .LBB49_693
; %bb.692:
	buffer_load_dword v104, v103, s[0:3], 0 offen
	ds_read_b32 v105, v102
	s_waitcnt vmcnt(0) lgkmcnt(0)
	v_mul_f32_e32 v104, v104, v105
	s_cbranch_execz .LBB49_694
	s_branch .LBB49_695
.LBB49_693:
                                        ; implicit-def: $vgpr104
.LBB49_694:
	ds_read_b32 v104, v102
.LBB49_695:
	v_cmp_ne_u32_e32 vcc, 21, v0
	s_and_saveexec_b64 s[8:9], vcc
	s_cbranch_execz .LBB49_699
; %bb.696:
	v_mov_b32_e32 v106, 0
	v_add_u32_e32 v105, 0xd4, v1
	v_add3_u32 v106, v1, v106, 4
	s_mov_b64 s[10:11], 0
	v_mov_b32_e32 v107, v0
.LBB49_697:                             ; =>This Inner Loop Header: Depth=1
	buffer_load_dword v108, v106, s[0:3], 0 offen
	ds_read_b32 v109, v105
	v_add_u32_e32 v107, 1, v107
	v_cmp_lt_u32_e32 vcc, 20, v107
	v_add_u32_e32 v105, 4, v105
	v_add_u32_e32 v106, 4, v106
	s_or_b64 s[10:11], vcc, s[10:11]
	s_waitcnt vmcnt(0) lgkmcnt(0)
	v_fmac_f32_e32 v104, v108, v109
	s_andn2_b64 exec, exec, s[10:11]
	s_cbranch_execnz .LBB49_697
; %bb.698:
	s_or_b64 exec, exec, s[10:11]
.LBB49_699:
	s_or_b64 exec, exec, s[8:9]
	v_mov_b32_e32 v105, 0
	ds_read_b32 v105, v105 offset:88
	s_waitcnt lgkmcnt(0)
	v_mul_f32_e32 v104, v104, v105
	buffer_store_dword v104, off, s[0:3], 0 offset:88
.LBB49_700:
	s_or_b64 exec, exec, s[6:7]
	buffer_load_dword v104, off, s[0:3], 0 offset:92
	v_cmp_gt_u32_e32 vcc, 23, v0
	s_waitcnt vmcnt(0)
	ds_write_b32 v102, v104
	s_waitcnt lgkmcnt(0)
	; wave barrier
	s_waitcnt lgkmcnt(0)
	s_and_saveexec_b64 s[6:7], vcc
	s_cbranch_execz .LBB49_710
; %bb.701:
	s_and_b64 vcc, exec, s[4:5]
	s_cbranch_vccnz .LBB49_703
; %bb.702:
	buffer_load_dword v104, v103, s[0:3], 0 offen
	ds_read_b32 v105, v102
	s_waitcnt vmcnt(0) lgkmcnt(0)
	v_mul_f32_e32 v104, v104, v105
	s_cbranch_execz .LBB49_704
	s_branch .LBB49_705
.LBB49_703:
                                        ; implicit-def: $vgpr104
.LBB49_704:
	ds_read_b32 v104, v102
.LBB49_705:
	v_cmp_ne_u32_e32 vcc, 22, v0
	s_and_saveexec_b64 s[8:9], vcc
	s_cbranch_execz .LBB49_709
; %bb.706:
	v_mov_b32_e32 v106, 0
	v_add_u32_e32 v105, 0xd4, v1
	v_add3_u32 v106, v1, v106, 4
	s_mov_b64 s[10:11], 0
	v_mov_b32_e32 v107, v0
.LBB49_707:                             ; =>This Inner Loop Header: Depth=1
	buffer_load_dword v108, v106, s[0:3], 0 offen
	ds_read_b32 v109, v105
	v_add_u32_e32 v107, 1, v107
	v_cmp_lt_u32_e32 vcc, 21, v107
	v_add_u32_e32 v105, 4, v105
	v_add_u32_e32 v106, 4, v106
	s_or_b64 s[10:11], vcc, s[10:11]
	s_waitcnt vmcnt(0) lgkmcnt(0)
	v_fmac_f32_e32 v104, v108, v109
	s_andn2_b64 exec, exec, s[10:11]
	s_cbranch_execnz .LBB49_707
; %bb.708:
	s_or_b64 exec, exec, s[10:11]
.LBB49_709:
	s_or_b64 exec, exec, s[8:9]
	v_mov_b32_e32 v105, 0
	ds_read_b32 v105, v105 offset:92
	s_waitcnt lgkmcnt(0)
	v_mul_f32_e32 v104, v104, v105
	buffer_store_dword v104, off, s[0:3], 0 offset:92
.LBB49_710:
	s_or_b64 exec, exec, s[6:7]
	buffer_load_dword v104, off, s[0:3], 0 offset:96
	v_cmp_gt_u32_e32 vcc, 24, v0
	s_waitcnt vmcnt(0)
	ds_write_b32 v102, v104
	s_waitcnt lgkmcnt(0)
	; wave barrier
	s_waitcnt lgkmcnt(0)
	s_and_saveexec_b64 s[6:7], vcc
	s_cbranch_execz .LBB49_720
; %bb.711:
	s_and_b64 vcc, exec, s[4:5]
	s_cbranch_vccnz .LBB49_713
; %bb.712:
	buffer_load_dword v104, v103, s[0:3], 0 offen
	ds_read_b32 v105, v102
	s_waitcnt vmcnt(0) lgkmcnt(0)
	v_mul_f32_e32 v104, v104, v105
	s_cbranch_execz .LBB49_714
	s_branch .LBB49_715
.LBB49_713:
                                        ; implicit-def: $vgpr104
.LBB49_714:
	ds_read_b32 v104, v102
.LBB49_715:
	v_cmp_ne_u32_e32 vcc, 23, v0
	s_and_saveexec_b64 s[8:9], vcc
	s_cbranch_execz .LBB49_719
; %bb.716:
	v_mov_b32_e32 v106, 0
	v_add_u32_e32 v105, 0xd4, v1
	v_add3_u32 v106, v1, v106, 4
	s_mov_b64 s[10:11], 0
	v_mov_b32_e32 v107, v0
.LBB49_717:                             ; =>This Inner Loop Header: Depth=1
	buffer_load_dword v108, v106, s[0:3], 0 offen
	ds_read_b32 v109, v105
	v_add_u32_e32 v107, 1, v107
	v_cmp_lt_u32_e32 vcc, 22, v107
	v_add_u32_e32 v105, 4, v105
	v_add_u32_e32 v106, 4, v106
	s_or_b64 s[10:11], vcc, s[10:11]
	s_waitcnt vmcnt(0) lgkmcnt(0)
	v_fmac_f32_e32 v104, v108, v109
	s_andn2_b64 exec, exec, s[10:11]
	s_cbranch_execnz .LBB49_717
; %bb.718:
	s_or_b64 exec, exec, s[10:11]
.LBB49_719:
	s_or_b64 exec, exec, s[8:9]
	v_mov_b32_e32 v105, 0
	ds_read_b32 v105, v105 offset:96
	s_waitcnt lgkmcnt(0)
	v_mul_f32_e32 v104, v104, v105
	buffer_store_dword v104, off, s[0:3], 0 offset:96
.LBB49_720:
	s_or_b64 exec, exec, s[6:7]
	buffer_load_dword v104, off, s[0:3], 0 offset:100
	v_cmp_gt_u32_e32 vcc, 25, v0
	s_waitcnt vmcnt(0)
	ds_write_b32 v102, v104
	s_waitcnt lgkmcnt(0)
	; wave barrier
	s_waitcnt lgkmcnt(0)
	s_and_saveexec_b64 s[6:7], vcc
	s_cbranch_execz .LBB49_730
; %bb.721:
	s_and_b64 vcc, exec, s[4:5]
	s_cbranch_vccnz .LBB49_723
; %bb.722:
	buffer_load_dword v104, v103, s[0:3], 0 offen
	ds_read_b32 v105, v102
	s_waitcnt vmcnt(0) lgkmcnt(0)
	v_mul_f32_e32 v104, v104, v105
	s_cbranch_execz .LBB49_724
	s_branch .LBB49_725
.LBB49_723:
                                        ; implicit-def: $vgpr104
.LBB49_724:
	ds_read_b32 v104, v102
.LBB49_725:
	v_cmp_ne_u32_e32 vcc, 24, v0
	s_and_saveexec_b64 s[8:9], vcc
	s_cbranch_execz .LBB49_729
; %bb.726:
	v_mov_b32_e32 v106, 0
	v_add_u32_e32 v105, 0xd4, v1
	v_add3_u32 v106, v1, v106, 4
	s_mov_b64 s[10:11], 0
	v_mov_b32_e32 v107, v0
.LBB49_727:                             ; =>This Inner Loop Header: Depth=1
	buffer_load_dword v108, v106, s[0:3], 0 offen
	ds_read_b32 v109, v105
	v_add_u32_e32 v107, 1, v107
	v_cmp_lt_u32_e32 vcc, 23, v107
	v_add_u32_e32 v105, 4, v105
	v_add_u32_e32 v106, 4, v106
	s_or_b64 s[10:11], vcc, s[10:11]
	s_waitcnt vmcnt(0) lgkmcnt(0)
	v_fmac_f32_e32 v104, v108, v109
	s_andn2_b64 exec, exec, s[10:11]
	s_cbranch_execnz .LBB49_727
; %bb.728:
	s_or_b64 exec, exec, s[10:11]
.LBB49_729:
	s_or_b64 exec, exec, s[8:9]
	v_mov_b32_e32 v105, 0
	ds_read_b32 v105, v105 offset:100
	s_waitcnt lgkmcnt(0)
	v_mul_f32_e32 v104, v104, v105
	buffer_store_dword v104, off, s[0:3], 0 offset:100
.LBB49_730:
	s_or_b64 exec, exec, s[6:7]
	buffer_load_dword v104, off, s[0:3], 0 offset:104
	v_cmp_gt_u32_e32 vcc, 26, v0
	s_waitcnt vmcnt(0)
	ds_write_b32 v102, v104
	s_waitcnt lgkmcnt(0)
	; wave barrier
	s_waitcnt lgkmcnt(0)
	s_and_saveexec_b64 s[6:7], vcc
	s_cbranch_execz .LBB49_740
; %bb.731:
	s_and_b64 vcc, exec, s[4:5]
	s_cbranch_vccnz .LBB49_733
; %bb.732:
	buffer_load_dword v104, v103, s[0:3], 0 offen
	ds_read_b32 v105, v102
	s_waitcnt vmcnt(0) lgkmcnt(0)
	v_mul_f32_e32 v104, v104, v105
	s_cbranch_execz .LBB49_734
	s_branch .LBB49_735
.LBB49_733:
                                        ; implicit-def: $vgpr104
.LBB49_734:
	ds_read_b32 v104, v102
.LBB49_735:
	v_cmp_ne_u32_e32 vcc, 25, v0
	s_and_saveexec_b64 s[8:9], vcc
	s_cbranch_execz .LBB49_739
; %bb.736:
	v_mov_b32_e32 v106, 0
	v_add_u32_e32 v105, 0xd4, v1
	v_add3_u32 v106, v1, v106, 4
	s_mov_b64 s[10:11], 0
	v_mov_b32_e32 v107, v0
.LBB49_737:                             ; =>This Inner Loop Header: Depth=1
	buffer_load_dword v108, v106, s[0:3], 0 offen
	ds_read_b32 v109, v105
	v_add_u32_e32 v107, 1, v107
	v_cmp_lt_u32_e32 vcc, 24, v107
	v_add_u32_e32 v105, 4, v105
	v_add_u32_e32 v106, 4, v106
	s_or_b64 s[10:11], vcc, s[10:11]
	s_waitcnt vmcnt(0) lgkmcnt(0)
	v_fmac_f32_e32 v104, v108, v109
	s_andn2_b64 exec, exec, s[10:11]
	s_cbranch_execnz .LBB49_737
; %bb.738:
	s_or_b64 exec, exec, s[10:11]
.LBB49_739:
	s_or_b64 exec, exec, s[8:9]
	v_mov_b32_e32 v105, 0
	ds_read_b32 v105, v105 offset:104
	s_waitcnt lgkmcnt(0)
	v_mul_f32_e32 v104, v104, v105
	buffer_store_dword v104, off, s[0:3], 0 offset:104
.LBB49_740:
	s_or_b64 exec, exec, s[6:7]
	buffer_load_dword v104, off, s[0:3], 0 offset:108
	v_cmp_gt_u32_e32 vcc, 27, v0
	s_waitcnt vmcnt(0)
	ds_write_b32 v102, v104
	s_waitcnt lgkmcnt(0)
	; wave barrier
	s_waitcnt lgkmcnt(0)
	s_and_saveexec_b64 s[6:7], vcc
	s_cbranch_execz .LBB49_750
; %bb.741:
	s_and_b64 vcc, exec, s[4:5]
	s_cbranch_vccnz .LBB49_743
; %bb.742:
	buffer_load_dword v104, v103, s[0:3], 0 offen
	ds_read_b32 v105, v102
	s_waitcnt vmcnt(0) lgkmcnt(0)
	v_mul_f32_e32 v104, v104, v105
	s_cbranch_execz .LBB49_744
	s_branch .LBB49_745
.LBB49_743:
                                        ; implicit-def: $vgpr104
.LBB49_744:
	ds_read_b32 v104, v102
.LBB49_745:
	v_cmp_ne_u32_e32 vcc, 26, v0
	s_and_saveexec_b64 s[8:9], vcc
	s_cbranch_execz .LBB49_749
; %bb.746:
	v_mov_b32_e32 v106, 0
	v_add_u32_e32 v105, 0xd4, v1
	v_add3_u32 v106, v1, v106, 4
	s_mov_b64 s[10:11], 0
	v_mov_b32_e32 v107, v0
.LBB49_747:                             ; =>This Inner Loop Header: Depth=1
	buffer_load_dword v108, v106, s[0:3], 0 offen
	ds_read_b32 v109, v105
	v_add_u32_e32 v107, 1, v107
	v_cmp_lt_u32_e32 vcc, 25, v107
	v_add_u32_e32 v105, 4, v105
	v_add_u32_e32 v106, 4, v106
	s_or_b64 s[10:11], vcc, s[10:11]
	s_waitcnt vmcnt(0) lgkmcnt(0)
	v_fmac_f32_e32 v104, v108, v109
	s_andn2_b64 exec, exec, s[10:11]
	s_cbranch_execnz .LBB49_747
; %bb.748:
	s_or_b64 exec, exec, s[10:11]
.LBB49_749:
	s_or_b64 exec, exec, s[8:9]
	v_mov_b32_e32 v105, 0
	ds_read_b32 v105, v105 offset:108
	s_waitcnt lgkmcnt(0)
	v_mul_f32_e32 v104, v104, v105
	buffer_store_dword v104, off, s[0:3], 0 offset:108
.LBB49_750:
	s_or_b64 exec, exec, s[6:7]
	buffer_load_dword v104, off, s[0:3], 0 offset:112
	v_cmp_gt_u32_e32 vcc, 28, v0
	s_waitcnt vmcnt(0)
	ds_write_b32 v102, v104
	s_waitcnt lgkmcnt(0)
	; wave barrier
	s_waitcnt lgkmcnt(0)
	s_and_saveexec_b64 s[6:7], vcc
	s_cbranch_execz .LBB49_760
; %bb.751:
	s_and_b64 vcc, exec, s[4:5]
	s_cbranch_vccnz .LBB49_753
; %bb.752:
	buffer_load_dword v104, v103, s[0:3], 0 offen
	ds_read_b32 v105, v102
	s_waitcnt vmcnt(0) lgkmcnt(0)
	v_mul_f32_e32 v104, v104, v105
	s_cbranch_execz .LBB49_754
	s_branch .LBB49_755
.LBB49_753:
                                        ; implicit-def: $vgpr104
.LBB49_754:
	ds_read_b32 v104, v102
.LBB49_755:
	v_cmp_ne_u32_e32 vcc, 27, v0
	s_and_saveexec_b64 s[8:9], vcc
	s_cbranch_execz .LBB49_759
; %bb.756:
	v_mov_b32_e32 v106, 0
	v_add_u32_e32 v105, 0xd4, v1
	v_add3_u32 v106, v1, v106, 4
	s_mov_b64 s[10:11], 0
	v_mov_b32_e32 v107, v0
.LBB49_757:                             ; =>This Inner Loop Header: Depth=1
	buffer_load_dword v108, v106, s[0:3], 0 offen
	ds_read_b32 v109, v105
	v_add_u32_e32 v107, 1, v107
	v_cmp_lt_u32_e32 vcc, 26, v107
	v_add_u32_e32 v105, 4, v105
	v_add_u32_e32 v106, 4, v106
	s_or_b64 s[10:11], vcc, s[10:11]
	s_waitcnt vmcnt(0) lgkmcnt(0)
	v_fmac_f32_e32 v104, v108, v109
	s_andn2_b64 exec, exec, s[10:11]
	s_cbranch_execnz .LBB49_757
; %bb.758:
	s_or_b64 exec, exec, s[10:11]
.LBB49_759:
	s_or_b64 exec, exec, s[8:9]
	v_mov_b32_e32 v105, 0
	ds_read_b32 v105, v105 offset:112
	s_waitcnt lgkmcnt(0)
	v_mul_f32_e32 v104, v104, v105
	buffer_store_dword v104, off, s[0:3], 0 offset:112
.LBB49_760:
	s_or_b64 exec, exec, s[6:7]
	buffer_load_dword v104, off, s[0:3], 0 offset:116
	v_cmp_gt_u32_e32 vcc, 29, v0
	s_waitcnt vmcnt(0)
	ds_write_b32 v102, v104
	s_waitcnt lgkmcnt(0)
	; wave barrier
	s_waitcnt lgkmcnt(0)
	s_and_saveexec_b64 s[6:7], vcc
	s_cbranch_execz .LBB49_770
; %bb.761:
	s_and_b64 vcc, exec, s[4:5]
	s_cbranch_vccnz .LBB49_763
; %bb.762:
	buffer_load_dword v104, v103, s[0:3], 0 offen
	ds_read_b32 v105, v102
	s_waitcnt vmcnt(0) lgkmcnt(0)
	v_mul_f32_e32 v104, v104, v105
	s_cbranch_execz .LBB49_764
	s_branch .LBB49_765
.LBB49_763:
                                        ; implicit-def: $vgpr104
.LBB49_764:
	ds_read_b32 v104, v102
.LBB49_765:
	v_cmp_ne_u32_e32 vcc, 28, v0
	s_and_saveexec_b64 s[8:9], vcc
	s_cbranch_execz .LBB49_769
; %bb.766:
	v_mov_b32_e32 v106, 0
	v_add_u32_e32 v105, 0xd4, v1
	v_add3_u32 v106, v1, v106, 4
	s_mov_b64 s[10:11], 0
	v_mov_b32_e32 v107, v0
.LBB49_767:                             ; =>This Inner Loop Header: Depth=1
	buffer_load_dword v108, v106, s[0:3], 0 offen
	ds_read_b32 v109, v105
	v_add_u32_e32 v107, 1, v107
	v_cmp_lt_u32_e32 vcc, 27, v107
	v_add_u32_e32 v105, 4, v105
	v_add_u32_e32 v106, 4, v106
	s_or_b64 s[10:11], vcc, s[10:11]
	s_waitcnt vmcnt(0) lgkmcnt(0)
	v_fmac_f32_e32 v104, v108, v109
	s_andn2_b64 exec, exec, s[10:11]
	s_cbranch_execnz .LBB49_767
; %bb.768:
	s_or_b64 exec, exec, s[10:11]
.LBB49_769:
	s_or_b64 exec, exec, s[8:9]
	v_mov_b32_e32 v105, 0
	ds_read_b32 v105, v105 offset:116
	s_waitcnt lgkmcnt(0)
	v_mul_f32_e32 v104, v104, v105
	buffer_store_dword v104, off, s[0:3], 0 offset:116
.LBB49_770:
	s_or_b64 exec, exec, s[6:7]
	buffer_load_dword v104, off, s[0:3], 0 offset:120
	v_cmp_gt_u32_e32 vcc, 30, v0
	s_waitcnt vmcnt(0)
	ds_write_b32 v102, v104
	s_waitcnt lgkmcnt(0)
	; wave barrier
	s_waitcnt lgkmcnt(0)
	s_and_saveexec_b64 s[6:7], vcc
	s_cbranch_execz .LBB49_780
; %bb.771:
	s_and_b64 vcc, exec, s[4:5]
	s_cbranch_vccnz .LBB49_773
; %bb.772:
	buffer_load_dword v104, v103, s[0:3], 0 offen
	ds_read_b32 v105, v102
	s_waitcnt vmcnt(0) lgkmcnt(0)
	v_mul_f32_e32 v104, v104, v105
	s_cbranch_execz .LBB49_774
	s_branch .LBB49_775
.LBB49_773:
                                        ; implicit-def: $vgpr104
.LBB49_774:
	ds_read_b32 v104, v102
.LBB49_775:
	v_cmp_ne_u32_e32 vcc, 29, v0
	s_and_saveexec_b64 s[8:9], vcc
	s_cbranch_execz .LBB49_779
; %bb.776:
	v_mov_b32_e32 v106, 0
	v_add_u32_e32 v105, 0xd4, v1
	v_add3_u32 v106, v1, v106, 4
	s_mov_b64 s[10:11], 0
	v_mov_b32_e32 v107, v0
.LBB49_777:                             ; =>This Inner Loop Header: Depth=1
	buffer_load_dword v108, v106, s[0:3], 0 offen
	ds_read_b32 v109, v105
	v_add_u32_e32 v107, 1, v107
	v_cmp_lt_u32_e32 vcc, 28, v107
	v_add_u32_e32 v105, 4, v105
	v_add_u32_e32 v106, 4, v106
	s_or_b64 s[10:11], vcc, s[10:11]
	s_waitcnt vmcnt(0) lgkmcnt(0)
	v_fmac_f32_e32 v104, v108, v109
	s_andn2_b64 exec, exec, s[10:11]
	s_cbranch_execnz .LBB49_777
; %bb.778:
	s_or_b64 exec, exec, s[10:11]
.LBB49_779:
	s_or_b64 exec, exec, s[8:9]
	v_mov_b32_e32 v105, 0
	ds_read_b32 v105, v105 offset:120
	s_waitcnt lgkmcnt(0)
	v_mul_f32_e32 v104, v104, v105
	buffer_store_dword v104, off, s[0:3], 0 offset:120
.LBB49_780:
	s_or_b64 exec, exec, s[6:7]
	buffer_load_dword v104, off, s[0:3], 0 offset:124
	v_cmp_gt_u32_e32 vcc, 31, v0
	s_waitcnt vmcnt(0)
	ds_write_b32 v102, v104
	s_waitcnt lgkmcnt(0)
	; wave barrier
	s_waitcnt lgkmcnt(0)
	s_and_saveexec_b64 s[6:7], vcc
	s_cbranch_execz .LBB49_790
; %bb.781:
	s_and_b64 vcc, exec, s[4:5]
	s_cbranch_vccnz .LBB49_783
; %bb.782:
	buffer_load_dword v104, v103, s[0:3], 0 offen
	ds_read_b32 v105, v102
	s_waitcnt vmcnt(0) lgkmcnt(0)
	v_mul_f32_e32 v104, v104, v105
	s_cbranch_execz .LBB49_784
	s_branch .LBB49_785
.LBB49_783:
                                        ; implicit-def: $vgpr104
.LBB49_784:
	ds_read_b32 v104, v102
.LBB49_785:
	v_cmp_ne_u32_e32 vcc, 30, v0
	s_and_saveexec_b64 s[8:9], vcc
	s_cbranch_execz .LBB49_789
; %bb.786:
	v_mov_b32_e32 v106, 0
	v_add_u32_e32 v105, 0xd4, v1
	v_add3_u32 v106, v1, v106, 4
	s_mov_b64 s[10:11], 0
	v_mov_b32_e32 v107, v0
.LBB49_787:                             ; =>This Inner Loop Header: Depth=1
	buffer_load_dword v108, v106, s[0:3], 0 offen
	ds_read_b32 v109, v105
	v_add_u32_e32 v107, 1, v107
	v_cmp_lt_u32_e32 vcc, 29, v107
	v_add_u32_e32 v105, 4, v105
	v_add_u32_e32 v106, 4, v106
	s_or_b64 s[10:11], vcc, s[10:11]
	s_waitcnt vmcnt(0) lgkmcnt(0)
	v_fmac_f32_e32 v104, v108, v109
	s_andn2_b64 exec, exec, s[10:11]
	s_cbranch_execnz .LBB49_787
; %bb.788:
	s_or_b64 exec, exec, s[10:11]
.LBB49_789:
	s_or_b64 exec, exec, s[8:9]
	v_mov_b32_e32 v105, 0
	ds_read_b32 v105, v105 offset:124
	s_waitcnt lgkmcnt(0)
	v_mul_f32_e32 v104, v104, v105
	buffer_store_dword v104, off, s[0:3], 0 offset:124
.LBB49_790:
	s_or_b64 exec, exec, s[6:7]
	buffer_load_dword v104, off, s[0:3], 0 offset:128
	v_cmp_gt_u32_e32 vcc, 32, v0
	s_waitcnt vmcnt(0)
	ds_write_b32 v102, v104
	s_waitcnt lgkmcnt(0)
	; wave barrier
	s_waitcnt lgkmcnt(0)
	s_and_saveexec_b64 s[6:7], vcc
	s_cbranch_execz .LBB49_800
; %bb.791:
	s_and_b64 vcc, exec, s[4:5]
	s_cbranch_vccnz .LBB49_793
; %bb.792:
	buffer_load_dword v104, v103, s[0:3], 0 offen
	ds_read_b32 v105, v102
	s_waitcnt vmcnt(0) lgkmcnt(0)
	v_mul_f32_e32 v104, v104, v105
	s_cbranch_execz .LBB49_794
	s_branch .LBB49_795
.LBB49_793:
                                        ; implicit-def: $vgpr104
.LBB49_794:
	ds_read_b32 v104, v102
.LBB49_795:
	v_cmp_ne_u32_e32 vcc, 31, v0
	s_and_saveexec_b64 s[8:9], vcc
	s_cbranch_execz .LBB49_799
; %bb.796:
	v_mov_b32_e32 v106, 0
	v_add_u32_e32 v105, 0xd4, v1
	v_add3_u32 v106, v1, v106, 4
	s_mov_b64 s[10:11], 0
	v_mov_b32_e32 v107, v0
.LBB49_797:                             ; =>This Inner Loop Header: Depth=1
	buffer_load_dword v108, v106, s[0:3], 0 offen
	ds_read_b32 v109, v105
	v_add_u32_e32 v107, 1, v107
	v_cmp_lt_u32_e32 vcc, 30, v107
	v_add_u32_e32 v105, 4, v105
	v_add_u32_e32 v106, 4, v106
	s_or_b64 s[10:11], vcc, s[10:11]
	s_waitcnt vmcnt(0) lgkmcnt(0)
	v_fmac_f32_e32 v104, v108, v109
	s_andn2_b64 exec, exec, s[10:11]
	s_cbranch_execnz .LBB49_797
; %bb.798:
	s_or_b64 exec, exec, s[10:11]
.LBB49_799:
	s_or_b64 exec, exec, s[8:9]
	v_mov_b32_e32 v105, 0
	ds_read_b32 v105, v105 offset:128
	s_waitcnt lgkmcnt(0)
	v_mul_f32_e32 v104, v104, v105
	buffer_store_dword v104, off, s[0:3], 0 offset:128
.LBB49_800:
	s_or_b64 exec, exec, s[6:7]
	buffer_load_dword v104, off, s[0:3], 0 offset:132
	v_cmp_gt_u32_e32 vcc, 33, v0
	s_waitcnt vmcnt(0)
	ds_write_b32 v102, v104
	s_waitcnt lgkmcnt(0)
	; wave barrier
	s_waitcnt lgkmcnt(0)
	s_and_saveexec_b64 s[6:7], vcc
	s_cbranch_execz .LBB49_810
; %bb.801:
	s_and_b64 vcc, exec, s[4:5]
	s_cbranch_vccnz .LBB49_803
; %bb.802:
	buffer_load_dword v104, v103, s[0:3], 0 offen
	ds_read_b32 v105, v102
	s_waitcnt vmcnt(0) lgkmcnt(0)
	v_mul_f32_e32 v104, v104, v105
	s_cbranch_execz .LBB49_804
	s_branch .LBB49_805
.LBB49_803:
                                        ; implicit-def: $vgpr104
.LBB49_804:
	ds_read_b32 v104, v102
.LBB49_805:
	v_cmp_ne_u32_e32 vcc, 32, v0
	s_and_saveexec_b64 s[8:9], vcc
	s_cbranch_execz .LBB49_809
; %bb.806:
	v_mov_b32_e32 v106, 0
	v_add_u32_e32 v105, 0xd4, v1
	v_add3_u32 v106, v1, v106, 4
	s_mov_b64 s[10:11], 0
	v_mov_b32_e32 v107, v0
.LBB49_807:                             ; =>This Inner Loop Header: Depth=1
	buffer_load_dword v108, v106, s[0:3], 0 offen
	ds_read_b32 v109, v105
	v_add_u32_e32 v107, 1, v107
	v_cmp_lt_u32_e32 vcc, 31, v107
	v_add_u32_e32 v105, 4, v105
	v_add_u32_e32 v106, 4, v106
	s_or_b64 s[10:11], vcc, s[10:11]
	s_waitcnt vmcnt(0) lgkmcnt(0)
	v_fmac_f32_e32 v104, v108, v109
	s_andn2_b64 exec, exec, s[10:11]
	s_cbranch_execnz .LBB49_807
; %bb.808:
	s_or_b64 exec, exec, s[10:11]
.LBB49_809:
	s_or_b64 exec, exec, s[8:9]
	v_mov_b32_e32 v105, 0
	ds_read_b32 v105, v105 offset:132
	s_waitcnt lgkmcnt(0)
	v_mul_f32_e32 v104, v104, v105
	buffer_store_dword v104, off, s[0:3], 0 offset:132
.LBB49_810:
	s_or_b64 exec, exec, s[6:7]
	buffer_load_dword v104, off, s[0:3], 0 offset:136
	v_cmp_gt_u32_e32 vcc, 34, v0
	s_waitcnt vmcnt(0)
	ds_write_b32 v102, v104
	s_waitcnt lgkmcnt(0)
	; wave barrier
	s_waitcnt lgkmcnt(0)
	s_and_saveexec_b64 s[6:7], vcc
	s_cbranch_execz .LBB49_820
; %bb.811:
	s_and_b64 vcc, exec, s[4:5]
	s_cbranch_vccnz .LBB49_813
; %bb.812:
	buffer_load_dword v104, v103, s[0:3], 0 offen
	ds_read_b32 v105, v102
	s_waitcnt vmcnt(0) lgkmcnt(0)
	v_mul_f32_e32 v104, v104, v105
	s_cbranch_execz .LBB49_814
	s_branch .LBB49_815
.LBB49_813:
                                        ; implicit-def: $vgpr104
.LBB49_814:
	ds_read_b32 v104, v102
.LBB49_815:
	v_cmp_ne_u32_e32 vcc, 33, v0
	s_and_saveexec_b64 s[8:9], vcc
	s_cbranch_execz .LBB49_819
; %bb.816:
	v_mov_b32_e32 v106, 0
	v_add_u32_e32 v105, 0xd4, v1
	v_add3_u32 v106, v1, v106, 4
	s_mov_b64 s[10:11], 0
	v_mov_b32_e32 v107, v0
.LBB49_817:                             ; =>This Inner Loop Header: Depth=1
	buffer_load_dword v108, v106, s[0:3], 0 offen
	ds_read_b32 v109, v105
	v_add_u32_e32 v107, 1, v107
	v_cmp_lt_u32_e32 vcc, 32, v107
	v_add_u32_e32 v105, 4, v105
	v_add_u32_e32 v106, 4, v106
	s_or_b64 s[10:11], vcc, s[10:11]
	s_waitcnt vmcnt(0) lgkmcnt(0)
	v_fmac_f32_e32 v104, v108, v109
	s_andn2_b64 exec, exec, s[10:11]
	s_cbranch_execnz .LBB49_817
; %bb.818:
	s_or_b64 exec, exec, s[10:11]
.LBB49_819:
	s_or_b64 exec, exec, s[8:9]
	v_mov_b32_e32 v105, 0
	ds_read_b32 v105, v105 offset:136
	s_waitcnt lgkmcnt(0)
	v_mul_f32_e32 v104, v104, v105
	buffer_store_dword v104, off, s[0:3], 0 offset:136
.LBB49_820:
	s_or_b64 exec, exec, s[6:7]
	buffer_load_dword v104, off, s[0:3], 0 offset:140
	v_cmp_gt_u32_e32 vcc, 35, v0
	s_waitcnt vmcnt(0)
	ds_write_b32 v102, v104
	s_waitcnt lgkmcnt(0)
	; wave barrier
	s_waitcnt lgkmcnt(0)
	s_and_saveexec_b64 s[6:7], vcc
	s_cbranch_execz .LBB49_830
; %bb.821:
	s_and_b64 vcc, exec, s[4:5]
	s_cbranch_vccnz .LBB49_823
; %bb.822:
	buffer_load_dword v104, v103, s[0:3], 0 offen
	ds_read_b32 v105, v102
	s_waitcnt vmcnt(0) lgkmcnt(0)
	v_mul_f32_e32 v104, v104, v105
	s_cbranch_execz .LBB49_824
	s_branch .LBB49_825
.LBB49_823:
                                        ; implicit-def: $vgpr104
.LBB49_824:
	ds_read_b32 v104, v102
.LBB49_825:
	v_cmp_ne_u32_e32 vcc, 34, v0
	s_and_saveexec_b64 s[8:9], vcc
	s_cbranch_execz .LBB49_829
; %bb.826:
	v_mov_b32_e32 v106, 0
	v_add_u32_e32 v105, 0xd4, v1
	v_add3_u32 v106, v1, v106, 4
	s_mov_b64 s[10:11], 0
	v_mov_b32_e32 v107, v0
.LBB49_827:                             ; =>This Inner Loop Header: Depth=1
	buffer_load_dword v108, v106, s[0:3], 0 offen
	ds_read_b32 v109, v105
	v_add_u32_e32 v107, 1, v107
	v_cmp_lt_u32_e32 vcc, 33, v107
	v_add_u32_e32 v105, 4, v105
	v_add_u32_e32 v106, 4, v106
	s_or_b64 s[10:11], vcc, s[10:11]
	s_waitcnt vmcnt(0) lgkmcnt(0)
	v_fmac_f32_e32 v104, v108, v109
	s_andn2_b64 exec, exec, s[10:11]
	s_cbranch_execnz .LBB49_827
; %bb.828:
	s_or_b64 exec, exec, s[10:11]
.LBB49_829:
	s_or_b64 exec, exec, s[8:9]
	v_mov_b32_e32 v105, 0
	ds_read_b32 v105, v105 offset:140
	s_waitcnt lgkmcnt(0)
	v_mul_f32_e32 v104, v104, v105
	buffer_store_dword v104, off, s[0:3], 0 offset:140
.LBB49_830:
	s_or_b64 exec, exec, s[6:7]
	buffer_load_dword v104, off, s[0:3], 0 offset:144
	v_cmp_gt_u32_e32 vcc, 36, v0
	s_waitcnt vmcnt(0)
	ds_write_b32 v102, v104
	s_waitcnt lgkmcnt(0)
	; wave barrier
	s_waitcnt lgkmcnt(0)
	s_and_saveexec_b64 s[6:7], vcc
	s_cbranch_execz .LBB49_840
; %bb.831:
	s_and_b64 vcc, exec, s[4:5]
	s_cbranch_vccnz .LBB49_833
; %bb.832:
	buffer_load_dword v104, v103, s[0:3], 0 offen
	ds_read_b32 v105, v102
	s_waitcnt vmcnt(0) lgkmcnt(0)
	v_mul_f32_e32 v104, v104, v105
	s_cbranch_execz .LBB49_834
	s_branch .LBB49_835
.LBB49_833:
                                        ; implicit-def: $vgpr104
.LBB49_834:
	ds_read_b32 v104, v102
.LBB49_835:
	v_cmp_ne_u32_e32 vcc, 35, v0
	s_and_saveexec_b64 s[8:9], vcc
	s_cbranch_execz .LBB49_839
; %bb.836:
	v_mov_b32_e32 v106, 0
	v_add_u32_e32 v105, 0xd4, v1
	v_add3_u32 v106, v1, v106, 4
	s_mov_b64 s[10:11], 0
	v_mov_b32_e32 v107, v0
.LBB49_837:                             ; =>This Inner Loop Header: Depth=1
	buffer_load_dword v108, v106, s[0:3], 0 offen
	ds_read_b32 v109, v105
	v_add_u32_e32 v107, 1, v107
	v_cmp_lt_u32_e32 vcc, 34, v107
	v_add_u32_e32 v105, 4, v105
	v_add_u32_e32 v106, 4, v106
	s_or_b64 s[10:11], vcc, s[10:11]
	s_waitcnt vmcnt(0) lgkmcnt(0)
	v_fmac_f32_e32 v104, v108, v109
	s_andn2_b64 exec, exec, s[10:11]
	s_cbranch_execnz .LBB49_837
; %bb.838:
	s_or_b64 exec, exec, s[10:11]
.LBB49_839:
	s_or_b64 exec, exec, s[8:9]
	v_mov_b32_e32 v105, 0
	ds_read_b32 v105, v105 offset:144
	s_waitcnt lgkmcnt(0)
	v_mul_f32_e32 v104, v104, v105
	buffer_store_dword v104, off, s[0:3], 0 offset:144
.LBB49_840:
	s_or_b64 exec, exec, s[6:7]
	buffer_load_dword v104, off, s[0:3], 0 offset:148
	v_cmp_gt_u32_e32 vcc, 37, v0
	s_waitcnt vmcnt(0)
	ds_write_b32 v102, v104
	s_waitcnt lgkmcnt(0)
	; wave barrier
	s_waitcnt lgkmcnt(0)
	s_and_saveexec_b64 s[6:7], vcc
	s_cbranch_execz .LBB49_850
; %bb.841:
	s_and_b64 vcc, exec, s[4:5]
	s_cbranch_vccnz .LBB49_843
; %bb.842:
	buffer_load_dword v104, v103, s[0:3], 0 offen
	ds_read_b32 v105, v102
	s_waitcnt vmcnt(0) lgkmcnt(0)
	v_mul_f32_e32 v104, v104, v105
	s_cbranch_execz .LBB49_844
	s_branch .LBB49_845
.LBB49_843:
                                        ; implicit-def: $vgpr104
.LBB49_844:
	ds_read_b32 v104, v102
.LBB49_845:
	v_cmp_ne_u32_e32 vcc, 36, v0
	s_and_saveexec_b64 s[8:9], vcc
	s_cbranch_execz .LBB49_849
; %bb.846:
	v_mov_b32_e32 v106, 0
	v_add_u32_e32 v105, 0xd4, v1
	v_add3_u32 v106, v1, v106, 4
	s_mov_b64 s[10:11], 0
	v_mov_b32_e32 v107, v0
.LBB49_847:                             ; =>This Inner Loop Header: Depth=1
	buffer_load_dword v108, v106, s[0:3], 0 offen
	ds_read_b32 v109, v105
	v_add_u32_e32 v107, 1, v107
	v_cmp_lt_u32_e32 vcc, 35, v107
	v_add_u32_e32 v105, 4, v105
	v_add_u32_e32 v106, 4, v106
	s_or_b64 s[10:11], vcc, s[10:11]
	s_waitcnt vmcnt(0) lgkmcnt(0)
	v_fmac_f32_e32 v104, v108, v109
	s_andn2_b64 exec, exec, s[10:11]
	s_cbranch_execnz .LBB49_847
; %bb.848:
	s_or_b64 exec, exec, s[10:11]
.LBB49_849:
	s_or_b64 exec, exec, s[8:9]
	v_mov_b32_e32 v105, 0
	ds_read_b32 v105, v105 offset:148
	s_waitcnt lgkmcnt(0)
	v_mul_f32_e32 v104, v104, v105
	buffer_store_dword v104, off, s[0:3], 0 offset:148
.LBB49_850:
	s_or_b64 exec, exec, s[6:7]
	buffer_load_dword v104, off, s[0:3], 0 offset:152
	v_cmp_gt_u32_e32 vcc, 38, v0
	s_waitcnt vmcnt(0)
	ds_write_b32 v102, v104
	s_waitcnt lgkmcnt(0)
	; wave barrier
	s_waitcnt lgkmcnt(0)
	s_and_saveexec_b64 s[6:7], vcc
	s_cbranch_execz .LBB49_860
; %bb.851:
	s_and_b64 vcc, exec, s[4:5]
	s_cbranch_vccnz .LBB49_853
; %bb.852:
	buffer_load_dword v104, v103, s[0:3], 0 offen
	ds_read_b32 v105, v102
	s_waitcnt vmcnt(0) lgkmcnt(0)
	v_mul_f32_e32 v104, v104, v105
	s_cbranch_execz .LBB49_854
	s_branch .LBB49_855
.LBB49_853:
                                        ; implicit-def: $vgpr104
.LBB49_854:
	ds_read_b32 v104, v102
.LBB49_855:
	v_cmp_ne_u32_e32 vcc, 37, v0
	s_and_saveexec_b64 s[8:9], vcc
	s_cbranch_execz .LBB49_859
; %bb.856:
	v_mov_b32_e32 v106, 0
	v_add_u32_e32 v105, 0xd4, v1
	v_add3_u32 v106, v1, v106, 4
	s_mov_b64 s[10:11], 0
	v_mov_b32_e32 v107, v0
.LBB49_857:                             ; =>This Inner Loop Header: Depth=1
	buffer_load_dword v108, v106, s[0:3], 0 offen
	ds_read_b32 v109, v105
	v_add_u32_e32 v107, 1, v107
	v_cmp_lt_u32_e32 vcc, 36, v107
	v_add_u32_e32 v105, 4, v105
	v_add_u32_e32 v106, 4, v106
	s_or_b64 s[10:11], vcc, s[10:11]
	s_waitcnt vmcnt(0) lgkmcnt(0)
	v_fmac_f32_e32 v104, v108, v109
	s_andn2_b64 exec, exec, s[10:11]
	s_cbranch_execnz .LBB49_857
; %bb.858:
	s_or_b64 exec, exec, s[10:11]
.LBB49_859:
	s_or_b64 exec, exec, s[8:9]
	v_mov_b32_e32 v105, 0
	ds_read_b32 v105, v105 offset:152
	s_waitcnt lgkmcnt(0)
	v_mul_f32_e32 v104, v104, v105
	buffer_store_dword v104, off, s[0:3], 0 offset:152
.LBB49_860:
	s_or_b64 exec, exec, s[6:7]
	buffer_load_dword v104, off, s[0:3], 0 offset:156
	v_cmp_gt_u32_e32 vcc, 39, v0
	s_waitcnt vmcnt(0)
	ds_write_b32 v102, v104
	s_waitcnt lgkmcnt(0)
	; wave barrier
	s_waitcnt lgkmcnt(0)
	s_and_saveexec_b64 s[6:7], vcc
	s_cbranch_execz .LBB49_870
; %bb.861:
	s_and_b64 vcc, exec, s[4:5]
	s_cbranch_vccnz .LBB49_863
; %bb.862:
	buffer_load_dword v104, v103, s[0:3], 0 offen
	ds_read_b32 v105, v102
	s_waitcnt vmcnt(0) lgkmcnt(0)
	v_mul_f32_e32 v104, v104, v105
	s_cbranch_execz .LBB49_864
	s_branch .LBB49_865
.LBB49_863:
                                        ; implicit-def: $vgpr104
.LBB49_864:
	ds_read_b32 v104, v102
.LBB49_865:
	v_cmp_ne_u32_e32 vcc, 38, v0
	s_and_saveexec_b64 s[8:9], vcc
	s_cbranch_execz .LBB49_869
; %bb.866:
	v_mov_b32_e32 v106, 0
	v_add_u32_e32 v105, 0xd4, v1
	v_add3_u32 v106, v1, v106, 4
	s_mov_b64 s[10:11], 0
	v_mov_b32_e32 v107, v0
.LBB49_867:                             ; =>This Inner Loop Header: Depth=1
	buffer_load_dword v108, v106, s[0:3], 0 offen
	ds_read_b32 v109, v105
	v_add_u32_e32 v107, 1, v107
	v_cmp_lt_u32_e32 vcc, 37, v107
	v_add_u32_e32 v105, 4, v105
	v_add_u32_e32 v106, 4, v106
	s_or_b64 s[10:11], vcc, s[10:11]
	s_waitcnt vmcnt(0) lgkmcnt(0)
	v_fmac_f32_e32 v104, v108, v109
	s_andn2_b64 exec, exec, s[10:11]
	s_cbranch_execnz .LBB49_867
; %bb.868:
	s_or_b64 exec, exec, s[10:11]
.LBB49_869:
	s_or_b64 exec, exec, s[8:9]
	v_mov_b32_e32 v105, 0
	ds_read_b32 v105, v105 offset:156
	s_waitcnt lgkmcnt(0)
	v_mul_f32_e32 v104, v104, v105
	buffer_store_dword v104, off, s[0:3], 0 offset:156
.LBB49_870:
	s_or_b64 exec, exec, s[6:7]
	buffer_load_dword v104, off, s[0:3], 0 offset:160
	v_cmp_gt_u32_e32 vcc, 40, v0
	s_waitcnt vmcnt(0)
	ds_write_b32 v102, v104
	s_waitcnt lgkmcnt(0)
	; wave barrier
	s_waitcnt lgkmcnt(0)
	s_and_saveexec_b64 s[6:7], vcc
	s_cbranch_execz .LBB49_880
; %bb.871:
	s_and_b64 vcc, exec, s[4:5]
	s_cbranch_vccnz .LBB49_873
; %bb.872:
	buffer_load_dword v104, v103, s[0:3], 0 offen
	ds_read_b32 v105, v102
	s_waitcnt vmcnt(0) lgkmcnt(0)
	v_mul_f32_e32 v104, v104, v105
	s_cbranch_execz .LBB49_874
	s_branch .LBB49_875
.LBB49_873:
                                        ; implicit-def: $vgpr104
.LBB49_874:
	ds_read_b32 v104, v102
.LBB49_875:
	v_cmp_ne_u32_e32 vcc, 39, v0
	s_and_saveexec_b64 s[8:9], vcc
	s_cbranch_execz .LBB49_879
; %bb.876:
	v_mov_b32_e32 v106, 0
	v_add_u32_e32 v105, 0xd4, v1
	v_add3_u32 v106, v1, v106, 4
	s_mov_b64 s[10:11], 0
	v_mov_b32_e32 v107, v0
.LBB49_877:                             ; =>This Inner Loop Header: Depth=1
	buffer_load_dword v108, v106, s[0:3], 0 offen
	ds_read_b32 v109, v105
	v_add_u32_e32 v107, 1, v107
	v_cmp_lt_u32_e32 vcc, 38, v107
	v_add_u32_e32 v105, 4, v105
	v_add_u32_e32 v106, 4, v106
	s_or_b64 s[10:11], vcc, s[10:11]
	s_waitcnt vmcnt(0) lgkmcnt(0)
	v_fmac_f32_e32 v104, v108, v109
	s_andn2_b64 exec, exec, s[10:11]
	s_cbranch_execnz .LBB49_877
; %bb.878:
	s_or_b64 exec, exec, s[10:11]
.LBB49_879:
	s_or_b64 exec, exec, s[8:9]
	v_mov_b32_e32 v105, 0
	ds_read_b32 v105, v105 offset:160
	s_waitcnt lgkmcnt(0)
	v_mul_f32_e32 v104, v104, v105
	buffer_store_dword v104, off, s[0:3], 0 offset:160
.LBB49_880:
	s_or_b64 exec, exec, s[6:7]
	buffer_load_dword v104, off, s[0:3], 0 offset:164
	v_cmp_gt_u32_e32 vcc, 41, v0
	s_waitcnt vmcnt(0)
	ds_write_b32 v102, v104
	s_waitcnt lgkmcnt(0)
	; wave barrier
	s_waitcnt lgkmcnt(0)
	s_and_saveexec_b64 s[6:7], vcc
	s_cbranch_execz .LBB49_890
; %bb.881:
	s_and_b64 vcc, exec, s[4:5]
	s_cbranch_vccnz .LBB49_883
; %bb.882:
	buffer_load_dword v104, v103, s[0:3], 0 offen
	ds_read_b32 v105, v102
	s_waitcnt vmcnt(0) lgkmcnt(0)
	v_mul_f32_e32 v104, v104, v105
	s_cbranch_execz .LBB49_884
	s_branch .LBB49_885
.LBB49_883:
                                        ; implicit-def: $vgpr104
.LBB49_884:
	ds_read_b32 v104, v102
.LBB49_885:
	v_cmp_ne_u32_e32 vcc, 40, v0
	s_and_saveexec_b64 s[8:9], vcc
	s_cbranch_execz .LBB49_889
; %bb.886:
	v_mov_b32_e32 v106, 0
	v_add_u32_e32 v105, 0xd4, v1
	v_add3_u32 v106, v1, v106, 4
	s_mov_b64 s[10:11], 0
	v_mov_b32_e32 v107, v0
.LBB49_887:                             ; =>This Inner Loop Header: Depth=1
	buffer_load_dword v108, v106, s[0:3], 0 offen
	ds_read_b32 v109, v105
	v_add_u32_e32 v107, 1, v107
	v_cmp_lt_u32_e32 vcc, 39, v107
	v_add_u32_e32 v105, 4, v105
	v_add_u32_e32 v106, 4, v106
	s_or_b64 s[10:11], vcc, s[10:11]
	s_waitcnt vmcnt(0) lgkmcnt(0)
	v_fmac_f32_e32 v104, v108, v109
	s_andn2_b64 exec, exec, s[10:11]
	s_cbranch_execnz .LBB49_887
; %bb.888:
	s_or_b64 exec, exec, s[10:11]
.LBB49_889:
	s_or_b64 exec, exec, s[8:9]
	v_mov_b32_e32 v105, 0
	ds_read_b32 v105, v105 offset:164
	s_waitcnt lgkmcnt(0)
	v_mul_f32_e32 v104, v104, v105
	buffer_store_dword v104, off, s[0:3], 0 offset:164
.LBB49_890:
	s_or_b64 exec, exec, s[6:7]
	buffer_load_dword v104, off, s[0:3], 0 offset:168
	v_cmp_gt_u32_e32 vcc, 42, v0
	s_waitcnt vmcnt(0)
	ds_write_b32 v102, v104
	s_waitcnt lgkmcnt(0)
	; wave barrier
	s_waitcnt lgkmcnt(0)
	s_and_saveexec_b64 s[6:7], vcc
	s_cbranch_execz .LBB49_900
; %bb.891:
	s_and_b64 vcc, exec, s[4:5]
	s_cbranch_vccnz .LBB49_893
; %bb.892:
	buffer_load_dword v104, v103, s[0:3], 0 offen
	ds_read_b32 v105, v102
	s_waitcnt vmcnt(0) lgkmcnt(0)
	v_mul_f32_e32 v104, v104, v105
	s_cbranch_execz .LBB49_894
	s_branch .LBB49_895
.LBB49_893:
                                        ; implicit-def: $vgpr104
.LBB49_894:
	ds_read_b32 v104, v102
.LBB49_895:
	v_cmp_ne_u32_e32 vcc, 41, v0
	s_and_saveexec_b64 s[8:9], vcc
	s_cbranch_execz .LBB49_899
; %bb.896:
	v_mov_b32_e32 v106, 0
	v_add_u32_e32 v105, 0xd4, v1
	v_add3_u32 v106, v1, v106, 4
	s_mov_b64 s[10:11], 0
	v_mov_b32_e32 v107, v0
.LBB49_897:                             ; =>This Inner Loop Header: Depth=1
	buffer_load_dword v108, v106, s[0:3], 0 offen
	ds_read_b32 v109, v105
	v_add_u32_e32 v107, 1, v107
	v_cmp_lt_u32_e32 vcc, 40, v107
	v_add_u32_e32 v105, 4, v105
	v_add_u32_e32 v106, 4, v106
	s_or_b64 s[10:11], vcc, s[10:11]
	s_waitcnt vmcnt(0) lgkmcnt(0)
	v_fmac_f32_e32 v104, v108, v109
	s_andn2_b64 exec, exec, s[10:11]
	s_cbranch_execnz .LBB49_897
; %bb.898:
	s_or_b64 exec, exec, s[10:11]
.LBB49_899:
	s_or_b64 exec, exec, s[8:9]
	v_mov_b32_e32 v105, 0
	ds_read_b32 v105, v105 offset:168
	s_waitcnt lgkmcnt(0)
	v_mul_f32_e32 v104, v104, v105
	buffer_store_dword v104, off, s[0:3], 0 offset:168
.LBB49_900:
	s_or_b64 exec, exec, s[6:7]
	buffer_load_dword v104, off, s[0:3], 0 offset:172
	v_cmp_gt_u32_e32 vcc, 43, v0
	s_waitcnt vmcnt(0)
	ds_write_b32 v102, v104
	s_waitcnt lgkmcnt(0)
	; wave barrier
	s_waitcnt lgkmcnt(0)
	s_and_saveexec_b64 s[6:7], vcc
	s_cbranch_execz .LBB49_910
; %bb.901:
	s_and_b64 vcc, exec, s[4:5]
	s_cbranch_vccnz .LBB49_903
; %bb.902:
	buffer_load_dword v104, v103, s[0:3], 0 offen
	ds_read_b32 v105, v102
	s_waitcnt vmcnt(0) lgkmcnt(0)
	v_mul_f32_e32 v104, v104, v105
	s_cbranch_execz .LBB49_904
	s_branch .LBB49_905
.LBB49_903:
                                        ; implicit-def: $vgpr104
.LBB49_904:
	ds_read_b32 v104, v102
.LBB49_905:
	v_cmp_ne_u32_e32 vcc, 42, v0
	s_and_saveexec_b64 s[8:9], vcc
	s_cbranch_execz .LBB49_909
; %bb.906:
	v_mov_b32_e32 v106, 0
	v_add_u32_e32 v105, 0xd4, v1
	v_add3_u32 v106, v1, v106, 4
	s_mov_b64 s[10:11], 0
	v_mov_b32_e32 v107, v0
.LBB49_907:                             ; =>This Inner Loop Header: Depth=1
	buffer_load_dword v108, v106, s[0:3], 0 offen
	ds_read_b32 v109, v105
	v_add_u32_e32 v107, 1, v107
	v_cmp_lt_u32_e32 vcc, 41, v107
	v_add_u32_e32 v105, 4, v105
	v_add_u32_e32 v106, 4, v106
	s_or_b64 s[10:11], vcc, s[10:11]
	s_waitcnt vmcnt(0) lgkmcnt(0)
	v_fmac_f32_e32 v104, v108, v109
	s_andn2_b64 exec, exec, s[10:11]
	s_cbranch_execnz .LBB49_907
; %bb.908:
	s_or_b64 exec, exec, s[10:11]
.LBB49_909:
	s_or_b64 exec, exec, s[8:9]
	v_mov_b32_e32 v105, 0
	ds_read_b32 v105, v105 offset:172
	s_waitcnt lgkmcnt(0)
	v_mul_f32_e32 v104, v104, v105
	buffer_store_dword v104, off, s[0:3], 0 offset:172
.LBB49_910:
	s_or_b64 exec, exec, s[6:7]
	buffer_load_dword v104, off, s[0:3], 0 offset:176
	v_cmp_gt_u32_e32 vcc, 44, v0
	s_waitcnt vmcnt(0)
	ds_write_b32 v102, v104
	s_waitcnt lgkmcnt(0)
	; wave barrier
	s_waitcnt lgkmcnt(0)
	s_and_saveexec_b64 s[6:7], vcc
	s_cbranch_execz .LBB49_920
; %bb.911:
	s_and_b64 vcc, exec, s[4:5]
	s_cbranch_vccnz .LBB49_913
; %bb.912:
	buffer_load_dword v104, v103, s[0:3], 0 offen
	ds_read_b32 v105, v102
	s_waitcnt vmcnt(0) lgkmcnt(0)
	v_mul_f32_e32 v104, v104, v105
	s_cbranch_execz .LBB49_914
	s_branch .LBB49_915
.LBB49_913:
                                        ; implicit-def: $vgpr104
.LBB49_914:
	ds_read_b32 v104, v102
.LBB49_915:
	v_cmp_ne_u32_e32 vcc, 43, v0
	s_and_saveexec_b64 s[8:9], vcc
	s_cbranch_execz .LBB49_919
; %bb.916:
	v_mov_b32_e32 v106, 0
	v_add_u32_e32 v105, 0xd4, v1
	v_add3_u32 v106, v1, v106, 4
	s_mov_b64 s[10:11], 0
	v_mov_b32_e32 v107, v0
.LBB49_917:                             ; =>This Inner Loop Header: Depth=1
	buffer_load_dword v108, v106, s[0:3], 0 offen
	ds_read_b32 v109, v105
	v_add_u32_e32 v107, 1, v107
	v_cmp_lt_u32_e32 vcc, 42, v107
	v_add_u32_e32 v105, 4, v105
	v_add_u32_e32 v106, 4, v106
	s_or_b64 s[10:11], vcc, s[10:11]
	s_waitcnt vmcnt(0) lgkmcnt(0)
	v_fmac_f32_e32 v104, v108, v109
	s_andn2_b64 exec, exec, s[10:11]
	s_cbranch_execnz .LBB49_917
; %bb.918:
	s_or_b64 exec, exec, s[10:11]
.LBB49_919:
	s_or_b64 exec, exec, s[8:9]
	v_mov_b32_e32 v105, 0
	ds_read_b32 v105, v105 offset:176
	s_waitcnt lgkmcnt(0)
	v_mul_f32_e32 v104, v104, v105
	buffer_store_dword v104, off, s[0:3], 0 offset:176
.LBB49_920:
	s_or_b64 exec, exec, s[6:7]
	buffer_load_dword v104, off, s[0:3], 0 offset:180
	v_cmp_gt_u32_e32 vcc, 45, v0
	s_waitcnt vmcnt(0)
	ds_write_b32 v102, v104
	s_waitcnt lgkmcnt(0)
	; wave barrier
	s_waitcnt lgkmcnt(0)
	s_and_saveexec_b64 s[6:7], vcc
	s_cbranch_execz .LBB49_930
; %bb.921:
	s_and_b64 vcc, exec, s[4:5]
	s_cbranch_vccnz .LBB49_923
; %bb.922:
	buffer_load_dword v104, v103, s[0:3], 0 offen
	ds_read_b32 v105, v102
	s_waitcnt vmcnt(0) lgkmcnt(0)
	v_mul_f32_e32 v104, v104, v105
	s_cbranch_execz .LBB49_924
	s_branch .LBB49_925
.LBB49_923:
                                        ; implicit-def: $vgpr104
.LBB49_924:
	ds_read_b32 v104, v102
.LBB49_925:
	v_cmp_ne_u32_e32 vcc, 44, v0
	s_and_saveexec_b64 s[8:9], vcc
	s_cbranch_execz .LBB49_929
; %bb.926:
	v_mov_b32_e32 v106, 0
	v_add_u32_e32 v105, 0xd4, v1
	v_add3_u32 v106, v1, v106, 4
	s_mov_b64 s[10:11], 0
	v_mov_b32_e32 v107, v0
.LBB49_927:                             ; =>This Inner Loop Header: Depth=1
	buffer_load_dword v108, v106, s[0:3], 0 offen
	ds_read_b32 v109, v105
	v_add_u32_e32 v107, 1, v107
	v_cmp_lt_u32_e32 vcc, 43, v107
	v_add_u32_e32 v105, 4, v105
	v_add_u32_e32 v106, 4, v106
	s_or_b64 s[10:11], vcc, s[10:11]
	s_waitcnt vmcnt(0) lgkmcnt(0)
	v_fmac_f32_e32 v104, v108, v109
	s_andn2_b64 exec, exec, s[10:11]
	s_cbranch_execnz .LBB49_927
; %bb.928:
	s_or_b64 exec, exec, s[10:11]
.LBB49_929:
	s_or_b64 exec, exec, s[8:9]
	v_mov_b32_e32 v105, 0
	ds_read_b32 v105, v105 offset:180
	s_waitcnt lgkmcnt(0)
	v_mul_f32_e32 v104, v104, v105
	buffer_store_dword v104, off, s[0:3], 0 offset:180
.LBB49_930:
	s_or_b64 exec, exec, s[6:7]
	buffer_load_dword v104, off, s[0:3], 0 offset:184
	v_cmp_gt_u32_e32 vcc, 46, v0
	s_waitcnt vmcnt(0)
	ds_write_b32 v102, v104
	s_waitcnt lgkmcnt(0)
	; wave barrier
	s_waitcnt lgkmcnt(0)
	s_and_saveexec_b64 s[6:7], vcc
	s_cbranch_execz .LBB49_940
; %bb.931:
	s_and_b64 vcc, exec, s[4:5]
	s_cbranch_vccnz .LBB49_933
; %bb.932:
	buffer_load_dword v104, v103, s[0:3], 0 offen
	ds_read_b32 v105, v102
	s_waitcnt vmcnt(0) lgkmcnt(0)
	v_mul_f32_e32 v104, v104, v105
	s_cbranch_execz .LBB49_934
	s_branch .LBB49_935
.LBB49_933:
                                        ; implicit-def: $vgpr104
.LBB49_934:
	ds_read_b32 v104, v102
.LBB49_935:
	v_cmp_ne_u32_e32 vcc, 45, v0
	s_and_saveexec_b64 s[8:9], vcc
	s_cbranch_execz .LBB49_939
; %bb.936:
	v_mov_b32_e32 v106, 0
	v_add_u32_e32 v105, 0xd4, v1
	v_add3_u32 v106, v1, v106, 4
	s_mov_b64 s[10:11], 0
	v_mov_b32_e32 v107, v0
.LBB49_937:                             ; =>This Inner Loop Header: Depth=1
	buffer_load_dword v108, v106, s[0:3], 0 offen
	ds_read_b32 v109, v105
	v_add_u32_e32 v107, 1, v107
	v_cmp_lt_u32_e32 vcc, 44, v107
	v_add_u32_e32 v105, 4, v105
	v_add_u32_e32 v106, 4, v106
	s_or_b64 s[10:11], vcc, s[10:11]
	s_waitcnt vmcnt(0) lgkmcnt(0)
	v_fmac_f32_e32 v104, v108, v109
	s_andn2_b64 exec, exec, s[10:11]
	s_cbranch_execnz .LBB49_937
; %bb.938:
	s_or_b64 exec, exec, s[10:11]
.LBB49_939:
	s_or_b64 exec, exec, s[8:9]
	v_mov_b32_e32 v105, 0
	ds_read_b32 v105, v105 offset:184
	s_waitcnt lgkmcnt(0)
	v_mul_f32_e32 v104, v104, v105
	buffer_store_dword v104, off, s[0:3], 0 offset:184
.LBB49_940:
	s_or_b64 exec, exec, s[6:7]
	buffer_load_dword v104, off, s[0:3], 0 offset:188
	v_cmp_gt_u32_e32 vcc, 47, v0
	s_waitcnt vmcnt(0)
	ds_write_b32 v102, v104
	s_waitcnt lgkmcnt(0)
	; wave barrier
	s_waitcnt lgkmcnt(0)
	s_and_saveexec_b64 s[6:7], vcc
	s_cbranch_execz .LBB49_950
; %bb.941:
	s_and_b64 vcc, exec, s[4:5]
	s_cbranch_vccnz .LBB49_943
; %bb.942:
	buffer_load_dword v104, v103, s[0:3], 0 offen
	ds_read_b32 v105, v102
	s_waitcnt vmcnt(0) lgkmcnt(0)
	v_mul_f32_e32 v104, v104, v105
	s_cbranch_execz .LBB49_944
	s_branch .LBB49_945
.LBB49_943:
                                        ; implicit-def: $vgpr104
.LBB49_944:
	ds_read_b32 v104, v102
.LBB49_945:
	v_cmp_ne_u32_e32 vcc, 46, v0
	s_and_saveexec_b64 s[8:9], vcc
	s_cbranch_execz .LBB49_949
; %bb.946:
	v_mov_b32_e32 v106, 0
	v_add_u32_e32 v105, 0xd4, v1
	v_add3_u32 v106, v1, v106, 4
	s_mov_b64 s[10:11], 0
	v_mov_b32_e32 v107, v0
.LBB49_947:                             ; =>This Inner Loop Header: Depth=1
	buffer_load_dword v108, v106, s[0:3], 0 offen
	ds_read_b32 v109, v105
	v_add_u32_e32 v107, 1, v107
	v_cmp_lt_u32_e32 vcc, 45, v107
	v_add_u32_e32 v105, 4, v105
	v_add_u32_e32 v106, 4, v106
	s_or_b64 s[10:11], vcc, s[10:11]
	s_waitcnt vmcnt(0) lgkmcnt(0)
	v_fmac_f32_e32 v104, v108, v109
	s_andn2_b64 exec, exec, s[10:11]
	s_cbranch_execnz .LBB49_947
; %bb.948:
	s_or_b64 exec, exec, s[10:11]
.LBB49_949:
	s_or_b64 exec, exec, s[8:9]
	v_mov_b32_e32 v105, 0
	ds_read_b32 v105, v105 offset:188
	s_waitcnt lgkmcnt(0)
	v_mul_f32_e32 v104, v104, v105
	buffer_store_dword v104, off, s[0:3], 0 offset:188
.LBB49_950:
	s_or_b64 exec, exec, s[6:7]
	buffer_load_dword v104, off, s[0:3], 0 offset:192
	v_cmp_gt_u32_e64 s[6:7], 48, v0
	s_waitcnt vmcnt(0)
	ds_write_b32 v102, v104
	s_waitcnt lgkmcnt(0)
	; wave barrier
	s_waitcnt lgkmcnt(0)
	s_and_saveexec_b64 s[8:9], s[6:7]
	s_cbranch_execz .LBB49_960
; %bb.951:
	s_and_b64 vcc, exec, s[4:5]
	s_cbranch_vccnz .LBB49_953
; %bb.952:
	buffer_load_dword v104, v103, s[0:3], 0 offen
	ds_read_b32 v105, v102
	s_waitcnt vmcnt(0) lgkmcnt(0)
	v_mul_f32_e32 v104, v104, v105
	s_cbranch_execz .LBB49_954
	s_branch .LBB49_955
.LBB49_953:
                                        ; implicit-def: $vgpr104
.LBB49_954:
	ds_read_b32 v104, v102
.LBB49_955:
	v_cmp_ne_u32_e32 vcc, 47, v0
	s_and_saveexec_b64 s[10:11], vcc
	s_cbranch_execz .LBB49_959
; %bb.956:
	v_mov_b32_e32 v106, 0
	v_add_u32_e32 v105, 0xd4, v1
	v_add3_u32 v106, v1, v106, 4
	s_mov_b64 s[12:13], 0
	v_mov_b32_e32 v107, v0
.LBB49_957:                             ; =>This Inner Loop Header: Depth=1
	buffer_load_dword v108, v106, s[0:3], 0 offen
	ds_read_b32 v109, v105
	v_add_u32_e32 v107, 1, v107
	v_cmp_lt_u32_e32 vcc, 46, v107
	v_add_u32_e32 v105, 4, v105
	v_add_u32_e32 v106, 4, v106
	s_or_b64 s[12:13], vcc, s[12:13]
	s_waitcnt vmcnt(0) lgkmcnt(0)
	v_fmac_f32_e32 v104, v108, v109
	s_andn2_b64 exec, exec, s[12:13]
	s_cbranch_execnz .LBB49_957
; %bb.958:
	s_or_b64 exec, exec, s[12:13]
.LBB49_959:
	s_or_b64 exec, exec, s[10:11]
	v_mov_b32_e32 v105, 0
	ds_read_b32 v105, v105 offset:192
	s_waitcnt lgkmcnt(0)
	v_mul_f32_e32 v104, v104, v105
	buffer_store_dword v104, off, s[0:3], 0 offset:192
.LBB49_960:
	s_or_b64 exec, exec, s[8:9]
	buffer_load_dword v104, off, s[0:3], 0 offset:196
	v_cmp_ne_u32_e32 vcc, 49, v0
	s_waitcnt vmcnt(0)
	ds_write_b32 v102, v104
	s_waitcnt lgkmcnt(0)
	; wave barrier
	s_waitcnt lgkmcnt(0)
	s_and_saveexec_b64 s[8:9], vcc
	s_cbranch_execz .LBB49_970
; %bb.961:
	s_and_b64 vcc, exec, s[4:5]
	s_cbranch_vccnz .LBB49_963
; %bb.962:
	buffer_load_dword v103, v103, s[0:3], 0 offen
	ds_read_b32 v104, v102
	s_waitcnt vmcnt(0) lgkmcnt(0)
	v_mul_f32_e32 v103, v103, v104
	s_cbranch_execz .LBB49_964
	s_branch .LBB49_965
.LBB49_963:
                                        ; implicit-def: $vgpr103
.LBB49_964:
	ds_read_b32 v103, v102
.LBB49_965:
	s_and_saveexec_b64 s[4:5], s[6:7]
	s_cbranch_execz .LBB49_969
; %bb.966:
	v_mov_b32_e32 v104, 0
	v_add_u32_e32 v102, 0xd4, v1
	v_add3_u32 v1, v1, v104, 4
	s_mov_b64 s[6:7], 0
.LBB49_967:                             ; =>This Inner Loop Header: Depth=1
	buffer_load_dword v104, v1, s[0:3], 0 offen
	ds_read_b32 v105, v102
	v_add_u32_e32 v0, 1, v0
	v_cmp_lt_u32_e32 vcc, 47, v0
	v_add_u32_e32 v102, 4, v102
	v_add_u32_e32 v1, 4, v1
	s_or_b64 s[6:7], vcc, s[6:7]
	s_waitcnt vmcnt(0) lgkmcnt(0)
	v_fmac_f32_e32 v103, v104, v105
	s_andn2_b64 exec, exec, s[6:7]
	s_cbranch_execnz .LBB49_967
; %bb.968:
	s_or_b64 exec, exec, s[6:7]
.LBB49_969:
	s_or_b64 exec, exec, s[4:5]
	v_mov_b32_e32 v0, 0
	ds_read_b32 v0, v0 offset:196
	s_waitcnt lgkmcnt(0)
	v_mul_f32_e32 v0, v103, v0
	buffer_store_dword v0, off, s[0:3], 0 offset:196
.LBB49_970:
	s_or_b64 exec, exec, s[8:9]
.LBB49_971:
	buffer_load_dword v0, off, s[0:3], 0
	buffer_load_dword v1, off, s[0:3], 0 offset:4
	buffer_load_dword v102, off, s[0:3], 0 offset:8
	buffer_load_dword v103, off, s[0:3], 0 offset:12
	buffer_load_dword v104, off, s[0:3], 0 offset:16
	buffer_load_dword v105, off, s[0:3], 0 offset:20
	buffer_load_dword v106, off, s[0:3], 0 offset:24
	buffer_load_dword v107, off, s[0:3], 0 offset:28
	buffer_load_dword v108, off, s[0:3], 0 offset:32
	buffer_load_dword v109, off, s[0:3], 0 offset:36
	buffer_load_dword v110, off, s[0:3], 0 offset:40
	buffer_load_dword v111, off, s[0:3], 0 offset:44
	buffer_load_dword v112, off, s[0:3], 0 offset:48
	buffer_load_dword v113, off, s[0:3], 0 offset:52
	buffer_load_dword v114, off, s[0:3], 0 offset:56
	buffer_load_dword v115, off, s[0:3], 0 offset:60
	buffer_load_dword v116, off, s[0:3], 0 offset:64
	buffer_load_dword v117, off, s[0:3], 0 offset:68
	buffer_load_dword v118, off, s[0:3], 0 offset:72
	buffer_load_dword v119, off, s[0:3], 0 offset:76
	buffer_load_dword v120, off, s[0:3], 0 offset:80
	buffer_load_dword v121, off, s[0:3], 0 offset:84
	buffer_load_dword v122, off, s[0:3], 0 offset:88
	buffer_load_dword v123, off, s[0:3], 0 offset:92
	buffer_load_dword v124, off, s[0:3], 0 offset:96
	buffer_load_dword v125, off, s[0:3], 0 offset:100
	buffer_load_dword v126, off, s[0:3], 0 offset:104
	buffer_load_dword v127, off, s[0:3], 0 offset:108
	buffer_load_dword v128, off, s[0:3], 0 offset:112
	buffer_load_dword v129, off, s[0:3], 0 offset:116
	buffer_load_dword v130, off, s[0:3], 0 offset:120
	buffer_load_dword v131, off, s[0:3], 0 offset:124
	buffer_load_dword v132, off, s[0:3], 0 offset:128
	buffer_load_dword v133, off, s[0:3], 0 offset:132
	buffer_load_dword v134, off, s[0:3], 0 offset:136
	buffer_load_dword v135, off, s[0:3], 0 offset:140
	buffer_load_dword v136, off, s[0:3], 0 offset:144
	buffer_load_dword v137, off, s[0:3], 0 offset:148
	buffer_load_dword v138, off, s[0:3], 0 offset:152
	buffer_load_dword v139, off, s[0:3], 0 offset:156
	buffer_load_dword v140, off, s[0:3], 0 offset:160
	buffer_load_dword v141, off, s[0:3], 0 offset:164
	buffer_load_dword v142, off, s[0:3], 0 offset:168
	buffer_load_dword v143, off, s[0:3], 0 offset:172
	buffer_load_dword v144, off, s[0:3], 0 offset:176
	buffer_load_dword v145, off, s[0:3], 0 offset:180
	buffer_load_dword v146, off, s[0:3], 0 offset:184
	buffer_load_dword v147, off, s[0:3], 0 offset:188
	buffer_load_dword v148, off, s[0:3], 0 offset:192
	buffer_load_dword v149, off, s[0:3], 0 offset:196
	s_waitcnt vmcnt(49)
	global_store_dword v[96:97], v0, off
	s_waitcnt vmcnt(49)
	global_store_dword v[98:99], v1, off
	;; [unrolled: 2-line block ×50, first 2 shown]
.LBB49_972:
	s_endpgm
	.section	.rodata,"a",@progbits
	.p2align	6, 0x0
	.amdhsa_kernel _ZN9rocsolver6v33100L18trti2_kernel_smallILi50EfPfEEv13rocblas_fill_17rocblas_diagonal_T1_iil
		.amdhsa_group_segment_fixed_size 408
		.amdhsa_private_segment_fixed_size 208
		.amdhsa_kernarg_size 32
		.amdhsa_user_sgpr_count 8
		.amdhsa_user_sgpr_private_segment_buffer 1
		.amdhsa_user_sgpr_dispatch_ptr 0
		.amdhsa_user_sgpr_queue_ptr 0
		.amdhsa_user_sgpr_kernarg_segment_ptr 1
		.amdhsa_user_sgpr_dispatch_id 0
		.amdhsa_user_sgpr_flat_scratch_init 1
		.amdhsa_user_sgpr_kernarg_preload_length 0
		.amdhsa_user_sgpr_kernarg_preload_offset 0
		.amdhsa_user_sgpr_private_segment_size 0
		.amdhsa_uses_dynamic_stack 0
		.amdhsa_system_sgpr_private_segment_wavefront_offset 1
		.amdhsa_system_sgpr_workgroup_id_x 1
		.amdhsa_system_sgpr_workgroup_id_y 0
		.amdhsa_system_sgpr_workgroup_id_z 0
		.amdhsa_system_sgpr_workgroup_info 0
		.amdhsa_system_vgpr_workitem_id 0
		.amdhsa_next_free_vgpr 152
		.amdhsa_next_free_sgpr 20
		.amdhsa_accum_offset 152
		.amdhsa_reserve_vcc 1
		.amdhsa_reserve_flat_scratch 0
		.amdhsa_float_round_mode_32 0
		.amdhsa_float_round_mode_16_64 0
		.amdhsa_float_denorm_mode_32 3
		.amdhsa_float_denorm_mode_16_64 3
		.amdhsa_dx10_clamp 1
		.amdhsa_ieee_mode 1
		.amdhsa_fp16_overflow 0
		.amdhsa_tg_split 0
		.amdhsa_exception_fp_ieee_invalid_op 0
		.amdhsa_exception_fp_denorm_src 0
		.amdhsa_exception_fp_ieee_div_zero 0
		.amdhsa_exception_fp_ieee_overflow 0
		.amdhsa_exception_fp_ieee_underflow 0
		.amdhsa_exception_fp_ieee_inexact 0
		.amdhsa_exception_int_div_zero 0
	.end_amdhsa_kernel
	.section	.text._ZN9rocsolver6v33100L18trti2_kernel_smallILi50EfPfEEv13rocblas_fill_17rocblas_diagonal_T1_iil,"axG",@progbits,_ZN9rocsolver6v33100L18trti2_kernel_smallILi50EfPfEEv13rocblas_fill_17rocblas_diagonal_T1_iil,comdat
.Lfunc_end49:
	.size	_ZN9rocsolver6v33100L18trti2_kernel_smallILi50EfPfEEv13rocblas_fill_17rocblas_diagonal_T1_iil, .Lfunc_end49-_ZN9rocsolver6v33100L18trti2_kernel_smallILi50EfPfEEv13rocblas_fill_17rocblas_diagonal_T1_iil
                                        ; -- End function
	.section	.AMDGPU.csdata,"",@progbits
; Kernel info:
; codeLenInByte = 24428
; NumSgprs: 24
; NumVgprs: 152
; NumAgprs: 0
; TotalNumVgprs: 152
; ScratchSize: 208
; MemoryBound: 0
; FloatMode: 240
; IeeeMode: 1
; LDSByteSize: 408 bytes/workgroup (compile time only)
; SGPRBlocks: 2
; VGPRBlocks: 18
; NumSGPRsForWavesPerEU: 24
; NumVGPRsForWavesPerEU: 152
; AccumOffset: 152
; Occupancy: 3
; WaveLimiterHint : 0
; COMPUTE_PGM_RSRC2:SCRATCH_EN: 1
; COMPUTE_PGM_RSRC2:USER_SGPR: 8
; COMPUTE_PGM_RSRC2:TRAP_HANDLER: 0
; COMPUTE_PGM_RSRC2:TGID_X_EN: 1
; COMPUTE_PGM_RSRC2:TGID_Y_EN: 0
; COMPUTE_PGM_RSRC2:TGID_Z_EN: 0
; COMPUTE_PGM_RSRC2:TIDIG_COMP_CNT: 0
; COMPUTE_PGM_RSRC3_GFX90A:ACCUM_OFFSET: 37
; COMPUTE_PGM_RSRC3_GFX90A:TG_SPLIT: 0
	.section	.text._ZN9rocsolver6v33100L18trti2_kernel_smallILi51EfPfEEv13rocblas_fill_17rocblas_diagonal_T1_iil,"axG",@progbits,_ZN9rocsolver6v33100L18trti2_kernel_smallILi51EfPfEEv13rocblas_fill_17rocblas_diagonal_T1_iil,comdat
	.globl	_ZN9rocsolver6v33100L18trti2_kernel_smallILi51EfPfEEv13rocblas_fill_17rocblas_diagonal_T1_iil ; -- Begin function _ZN9rocsolver6v33100L18trti2_kernel_smallILi51EfPfEEv13rocblas_fill_17rocblas_diagonal_T1_iil
	.p2align	8
	.type	_ZN9rocsolver6v33100L18trti2_kernel_smallILi51EfPfEEv13rocblas_fill_17rocblas_diagonal_T1_iil,@function
_ZN9rocsolver6v33100L18trti2_kernel_smallILi51EfPfEEv13rocblas_fill_17rocblas_diagonal_T1_iil: ; @_ZN9rocsolver6v33100L18trti2_kernel_smallILi51EfPfEEv13rocblas_fill_17rocblas_diagonal_T1_iil
; %bb.0:
	s_add_u32 s0, s0, s9
	s_addc_u32 s1, s1, 0
	v_cmp_gt_u32_e32 vcc, 51, v0
	s_and_saveexec_b64 s[6:7], vcc
	s_cbranch_execz .LBB50_992
; %bb.1:
	s_load_dwordx8 s[12:19], s[4:5], 0x0
	s_ashr_i32 s6, s8, 31
	s_waitcnt lgkmcnt(0)
	s_mul_i32 s7, s8, s19
	s_mul_hi_u32 s9, s8, s18
	s_add_i32 s7, s9, s7
	s_mul_i32 s6, s6, s18
	s_add_i32 s7, s7, s6
	s_mul_i32 s6, s8, s18
	s_ashr_i32 s5, s16, 31
	s_lshl_b64 s[6:7], s[6:7], 2
	s_mov_b32 s4, s16
	s_add_u32 s6, s14, s6
	s_addc_u32 s7, s15, s7
	s_lshl_b64 s[4:5], s[4:5], 2
	s_add_u32 s4, s6, s4
	s_addc_u32 s5, s7, s5
	s_add_i32 s6, s17, s17
	v_add_u32_e32 v4, s6, v0
	v_ashrrev_i32_e32 v5, 31, v4
	v_lshlrev_b64 v[2:3], 2, v[4:5]
	v_add_u32_e32 v6, s17, v4
	v_mov_b32_e32 v1, s5
	v_add_co_u32_e32 v2, vcc, s4, v2
	v_ashrrev_i32_e32 v7, 31, v6
	v_addc_co_u32_e32 v3, vcc, v1, v3, vcc
	v_lshlrev_b64 v[4:5], 2, v[6:7]
	v_add_u32_e32 v8, s17, v6
	v_add_co_u32_e32 v4, vcc, s4, v4
	v_ashrrev_i32_e32 v9, 31, v8
	v_addc_co_u32_e32 v5, vcc, v1, v5, vcc
	v_lshlrev_b64 v[6:7], 2, v[8:9]
	v_add_u32_e32 v10, s17, v8
	;; [unrolled: 5-line block ×46, first 2 shown]
	v_add_co_u32_e32 v94, vcc, s4, v94
	v_ashrrev_i32_e32 v99, 31, v98
	v_addc_co_u32_e32 v95, vcc, v1, v95, vcc
	v_lshlrev_b64 v[96:97], 2, v[98:99]
	v_add_co_u32_e32 v96, vcc, s4, v96
	v_add_u32_e32 v98, s17, v98
	v_addc_co_u32_e32 v97, vcc, v1, v97, vcc
	v_ashrrev_i32_e32 v99, 31, v98
	v_lshlrev_b32_e32 v1, 2, v0
	v_lshlrev_b64 v[102:103], 2, v[98:99]
	v_mov_b32_e32 v99, s5
	v_add_co_u32_e32 v98, vcc, s4, v1
	s_ashr_i32 s7, s17, 31
	s_mov_b32 s6, s17
	v_addc_co_u32_e32 v99, vcc, 0, v99, vcc
	s_lshl_b64 s[6:7], s[6:7], 2
	v_mov_b32_e32 v101, s7
	v_add_co_u32_e32 v100, vcc, s6, v98
	v_addc_co_u32_e32 v101, vcc, v99, v101, vcc
	global_load_dword v104, v1, s[4:5]
	global_load_dword v105, v[100:101], off
	global_load_dword v106, v[6:7], off
	;; [unrolled: 1-line block ×48, first 2 shown]
	v_mov_b32_e32 v153, s5
	global_load_dword v154, v[96:97], off
	v_add_co_u32_e32 v102, vcc, s4, v102
	v_addc_co_u32_e32 v103, vcc, v153, v103, vcc
	global_load_dword v153, v[102:103], off
	s_cmpk_lg_i32 s13, 0x84
	s_waitcnt vmcnt(50)
	buffer_store_dword v104, off, s[0:3], 0
	s_waitcnt vmcnt(50)
	buffer_store_dword v105, off, s[0:3], 0 offset:4
	s_waitcnt vmcnt(45)
	buffer_store_dword v111, off, s[0:3], 0 offset:12
	;; [unrolled: 2-line block ×3, first 2 shown]
	buffer_store_dword v106, off, s[0:3], 0 offset:16
	buffer_store_dword v107, off, s[0:3], 0 offset:20
	;; [unrolled: 1-line block ×5, first 2 shown]
	s_waitcnt vmcnt(50)
	buffer_store_dword v113, off, s[0:3], 0 offset:36
	s_waitcnt vmcnt(45)
	buffer_store_dword v119, off, s[0:3], 0 offset:44
	;; [unrolled: 2-line block ×3, first 2 shown]
	buffer_store_dword v114, off, s[0:3], 0 offset:48
	buffer_store_dword v115, off, s[0:3], 0 offset:52
	;; [unrolled: 1-line block ×5, first 2 shown]
	s_waitcnt vmcnt(50)
	buffer_store_dword v121, off, s[0:3], 0 offset:68
	s_waitcnt vmcnt(50)
	buffer_store_dword v122, off, s[0:3], 0 offset:72
	;; [unrolled: 2-line block ×5, first 2 shown]
	buffer_store_dword v125, off, s[0:3], 0 offset:92
	buffer_store_dword v126, off, s[0:3], 0 offset:88
	s_waitcnt vmcnt(49)
	buffer_store_dword v129, off, s[0:3], 0 offset:100
	buffer_store_dword v124, off, s[0:3], 0 offset:96
	s_waitcnt vmcnt(45)
	buffer_store_dword v135, off, s[0:3], 0 offset:108
	s_waitcnt vmcnt(45)
	buffer_store_dword v136, off, s[0:3], 0 offset:104
	buffer_store_dword v133, off, s[0:3], 0 offset:116
	buffer_store_dword v134, off, s[0:3], 0 offset:112
	buffer_store_dword v131, off, s[0:3], 0 offset:124
	buffer_store_dword v132, off, s[0:3], 0 offset:120
	s_waitcnt vmcnt(49)
	buffer_store_dword v137, off, s[0:3], 0 offset:132
	buffer_store_dword v130, off, s[0:3], 0 offset:128
	s_waitcnt vmcnt(45)
	buffer_store_dword v143, off, s[0:3], 0 offset:140
	s_waitcnt vmcnt(45)
	buffer_store_dword v144, off, s[0:3], 0 offset:136
	buffer_store_dword v141, off, s[0:3], 0 offset:148
	buffer_store_dword v142, off, s[0:3], 0 offset:144
	;; [unrolled: 11-line block ×3, first 2 shown]
	buffer_store_dword v147, off, s[0:3], 0 offset:188
	buffer_store_dword v148, off, s[0:3], 0 offset:184
	s_waitcnt vmcnt(49)
	buffer_store_dword v154, off, s[0:3], 0 offset:196
	buffer_store_dword v146, off, s[0:3], 0 offset:192
	s_waitcnt vmcnt(50)
	buffer_store_dword v153, off, s[0:3], 0 offset:200
	s_cselect_b64 s[10:11], -1, 0
	s_cmpk_eq_i32 s13, 0x84
	v_mov_b32_e32 v129, 0
	v_mov_b32_e32 v104, -1.0
	s_cbranch_scc1 .LBB50_3
; %bb.2:
	v_lshl_add_u32 v104, v0, 2, v129
	buffer_load_dword v105, v104, s[0:3], 0 offen
	s_waitcnt vmcnt(0)
	v_div_scale_f32 v106, s[4:5], v105, v105, 1.0
	v_rcp_f32_e32 v107, v106
	v_div_scale_f32 v108, vcc, 1.0, v105, 1.0
	v_fma_f32 v109, -v106, v107, 1.0
	v_fmac_f32_e32 v107, v109, v107
	v_mul_f32_e32 v109, v108, v107
	v_fma_f32 v110, -v106, v109, v108
	v_fmac_f32_e32 v109, v110, v107
	v_fma_f32 v106, -v106, v109, v108
	v_div_fmas_f32 v106, v106, v107, v109
	v_div_fixup_f32 v105, v106, v105, 1.0
	buffer_store_dword v105, v104, s[0:3], 0 offen
	v_xor_b32_e32 v104, 0x80000000, v105
.LBB50_3:
	ds_write_b32 v1, v104
	s_cmpk_eq_i32 s12, 0x79
	v_add_u32_e32 v104, 0xd0, v1
	v_add_u32_e32 v105, 0, v1
	s_mov_b64 s[4:5], -1
	s_cbranch_scc1 .LBB50_497
; %bb.4:
	buffer_load_dword v106, off, s[0:3], 0 offset:196
	v_cmp_eq_u32_e64 s[4:5], 50, v0
	s_waitcnt vmcnt(0)
	ds_write_b32 v104, v106
	s_waitcnt lgkmcnt(0)
	; wave barrier
	s_waitcnt lgkmcnt(0)
	s_and_saveexec_b64 s[6:7], s[4:5]
	s_cbranch_execz .LBB50_10
; %bb.5:
	s_and_b64 vcc, exec, s[10:11]
	s_cbranch_vccz .LBB50_7
; %bb.6:
	buffer_load_dword v106, v105, s[0:3], 0 offen
	ds_read_b32 v107, v104
	s_waitcnt vmcnt(0) lgkmcnt(0)
	v_mul_f32_e32 v106, v106, v107
	s_cbranch_execz .LBB50_8
	s_branch .LBB50_9
.LBB50_7:
                                        ; implicit-def: $vgpr106
.LBB50_8:
	ds_read_b32 v106, v104
.LBB50_9:
	v_mov_b32_e32 v107, 0
	ds_read_b32 v107, v107 offset:196
	s_waitcnt lgkmcnt(0)
	v_mul_f32_e32 v106, v106, v107
	buffer_store_dword v106, off, s[0:3], 0 offset:196
.LBB50_10:
	s_or_b64 exec, exec, s[6:7]
	buffer_load_dword v130, off, s[0:3], 0 offset:192
	v_or_b32_e32 v106, 8, v129
	v_add_u32_e32 v107, 16, v129
	v_add_u32_e32 v108, 24, v129
	;; [unrolled: 1-line block ×23, first 2 shown]
	v_cmp_lt_u32_e64 s[8:9], 48, v0
	s_waitcnt vmcnt(0)
	ds_write_b32 v104, v130
	s_waitcnt lgkmcnt(0)
	; wave barrier
	s_waitcnt lgkmcnt(0)
	s_and_saveexec_b64 s[6:7], s[8:9]
	s_cbranch_execz .LBB50_16
; %bb.11:
	s_andn2_b64 vcc, exec, s[10:11]
	s_cbranch_vccnz .LBB50_13
; %bb.12:
	buffer_load_dword v130, v105, s[0:3], 0 offen
	ds_read_b32 v131, v104
	s_waitcnt vmcnt(0) lgkmcnt(0)
	v_mul_f32_e32 v130, v130, v131
	s_cbranch_execz .LBB50_14
	s_branch .LBB50_15
.LBB50_13:
                                        ; implicit-def: $vgpr130
.LBB50_14:
	ds_read_b32 v130, v104
.LBB50_15:
	buffer_load_dword v131, off, s[0:3], 0 offset:196
	v_mov_b32_e32 v132, 0
	ds_read2_b32 v[132:133], v132 offset0:48 offset1:101
	s_waitcnt vmcnt(0) lgkmcnt(0)
	v_fma_f32 v131, v131, v133, v130
	v_cndmask_b32_e64 v130, v130, v131, s[4:5]
	v_mul_f32_e32 v130, v130, v132
	buffer_store_dword v130, off, s[0:3], 0 offset:192
.LBB50_16:
	s_or_b64 exec, exec, s[6:7]
	buffer_load_dword v130, off, s[0:3], 0 offset:188
	v_cmp_lt_u32_e64 s[6:7], 47, v0
	s_waitcnt vmcnt(0)
	ds_write_b32 v104, v130
	s_waitcnt lgkmcnt(0)
	; wave barrier
	s_waitcnt lgkmcnt(0)
	s_and_saveexec_b64 s[4:5], s[6:7]
	s_cbranch_execz .LBB50_26
; %bb.17:
	s_andn2_b64 vcc, exec, s[10:11]
	s_cbranch_vccnz .LBB50_19
; %bb.18:
	buffer_load_dword v130, v105, s[0:3], 0 offen
	ds_read_b32 v131, v104
	s_waitcnt vmcnt(0) lgkmcnt(0)
	v_mul_f32_e32 v130, v130, v131
	s_cbranch_execz .LBB50_20
	s_branch .LBB50_21
.LBB50_19:
                                        ; implicit-def: $vgpr130
.LBB50_20:
	ds_read_b32 v130, v104
.LBB50_21:
	s_and_saveexec_b64 s[12:13], s[8:9]
	s_cbranch_execz .LBB50_25
; %bb.22:
	v_subrev_u32_e32 v131, 48, v0
	s_movk_i32 s14, 0x190
	s_mov_b64 s[8:9], 0
.LBB50_23:                              ; =>This Inner Loop Header: Depth=1
	buffer_load_dword v132, v129, s[0:3], 0 offen
	v_mov_b32_e32 v133, s14
	ds_read_b32 v133, v133
	v_add_u32_e32 v131, -1, v131
	s_add_i32 s14, s14, 4
	v_cmp_eq_u32_e32 vcc, 0, v131
	v_add_u32_e32 v129, 4, v129
	s_or_b64 s[8:9], vcc, s[8:9]
	s_waitcnt vmcnt(0) lgkmcnt(0)
	v_fmac_f32_e32 v130, v132, v133
	s_andn2_b64 exec, exec, s[8:9]
	s_cbranch_execnz .LBB50_23
; %bb.24:
	s_or_b64 exec, exec, s[8:9]
.LBB50_25:
	s_or_b64 exec, exec, s[12:13]
	v_mov_b32_e32 v129, 0
	ds_read_b32 v129, v129 offset:188
	s_waitcnt lgkmcnt(0)
	v_mul_f32_e32 v129, v130, v129
	buffer_store_dword v129, off, s[0:3], 0 offset:188
.LBB50_26:
	s_or_b64 exec, exec, s[4:5]
	buffer_load_dword v129, off, s[0:3], 0 offset:184
	v_cmp_lt_u32_e64 s[4:5], 46, v0
	s_waitcnt vmcnt(0)
	ds_write_b32 v104, v129
	s_waitcnt lgkmcnt(0)
	; wave barrier
	s_waitcnt lgkmcnt(0)
	s_and_saveexec_b64 s[8:9], s[4:5]
	s_cbranch_execz .LBB50_36
; %bb.27:
	s_andn2_b64 vcc, exec, s[10:11]
	s_cbranch_vccnz .LBB50_29
; %bb.28:
	buffer_load_dword v129, v105, s[0:3], 0 offen
	ds_read_b32 v130, v104
	s_waitcnt vmcnt(0) lgkmcnt(0)
	v_mul_f32_e32 v129, v129, v130
	s_cbranch_execz .LBB50_30
	s_branch .LBB50_31
.LBB50_29:
                                        ; implicit-def: $vgpr129
.LBB50_30:
	ds_read_b32 v129, v104
.LBB50_31:
	s_and_saveexec_b64 s[12:13], s[6:7]
	s_cbranch_execz .LBB50_35
; %bb.32:
	v_mov_b32_e32 v130, 0
	v_add_u32_e32 v130, 0xbc, v130
	v_subrev_u32_e32 v131, 47, v0
	s_movk_i32 s14, 0x18c
	s_mov_b64 s[6:7], 0
.LBB50_33:                              ; =>This Inner Loop Header: Depth=1
	buffer_load_dword v132, v130, s[0:3], 0 offen
	v_mov_b32_e32 v133, s14
	ds_read_b32 v133, v133
	v_add_u32_e32 v131, -1, v131
	s_add_i32 s14, s14, 4
	v_cmp_eq_u32_e32 vcc, 0, v131
	v_add_u32_e32 v130, 4, v130
	s_or_b64 s[6:7], vcc, s[6:7]
	s_waitcnt vmcnt(0) lgkmcnt(0)
	v_fmac_f32_e32 v129, v132, v133
	s_andn2_b64 exec, exec, s[6:7]
	s_cbranch_execnz .LBB50_33
; %bb.34:
	s_or_b64 exec, exec, s[6:7]
.LBB50_35:
	s_or_b64 exec, exec, s[12:13]
	v_mov_b32_e32 v130, 0
	ds_read_b32 v130, v130 offset:184
	s_waitcnt lgkmcnt(0)
	v_mul_f32_e32 v129, v129, v130
	buffer_store_dword v129, off, s[0:3], 0 offset:184
.LBB50_36:
	s_or_b64 exec, exec, s[8:9]
	buffer_load_dword v129, off, s[0:3], 0 offset:180
	v_cmp_lt_u32_e64 s[6:7], 45, v0
	s_waitcnt vmcnt(0)
	ds_write_b32 v104, v129
	s_waitcnt lgkmcnt(0)
	; wave barrier
	s_waitcnt lgkmcnt(0)
	s_and_saveexec_b64 s[8:9], s[6:7]
	s_cbranch_execz .LBB50_46
; %bb.37:
	s_andn2_b64 vcc, exec, s[10:11]
	s_cbranch_vccnz .LBB50_39
; %bb.38:
	buffer_load_dword v129, v105, s[0:3], 0 offen
	ds_read_b32 v130, v104
	s_waitcnt vmcnt(0) lgkmcnt(0)
	v_mul_f32_e32 v129, v129, v130
	s_cbranch_execz .LBB50_40
	s_branch .LBB50_41
.LBB50_39:
                                        ; implicit-def: $vgpr129
.LBB50_40:
	ds_read_b32 v129, v104
.LBB50_41:
	s_and_saveexec_b64 s[12:13], s[4:5]
	s_cbranch_execz .LBB50_45
; %bb.42:
	v_subrev_u32_e32 v130, 46, v0
	s_movk_i32 s14, 0x188
	s_mov_b64 s[4:5], 0
.LBB50_43:                              ; =>This Inner Loop Header: Depth=1
	buffer_load_dword v131, v128, s[0:3], 0 offen
	v_mov_b32_e32 v132, s14
	ds_read_b32 v132, v132
	v_add_u32_e32 v130, -1, v130
	s_add_i32 s14, s14, 4
	v_cmp_eq_u32_e32 vcc, 0, v130
	v_add_u32_e32 v128, 4, v128
	s_or_b64 s[4:5], vcc, s[4:5]
	s_waitcnt vmcnt(0) lgkmcnt(0)
	v_fmac_f32_e32 v129, v131, v132
	s_andn2_b64 exec, exec, s[4:5]
	s_cbranch_execnz .LBB50_43
; %bb.44:
	s_or_b64 exec, exec, s[4:5]
.LBB50_45:
	s_or_b64 exec, exec, s[12:13]
	v_mov_b32_e32 v128, 0
	ds_read_b32 v128, v128 offset:180
	s_waitcnt lgkmcnt(0)
	v_mul_f32_e32 v128, v129, v128
	buffer_store_dword v128, off, s[0:3], 0 offset:180
.LBB50_46:
	s_or_b64 exec, exec, s[8:9]
	buffer_load_dword v128, off, s[0:3], 0 offset:176
	v_cmp_lt_u32_e64 s[4:5], 44, v0
	s_waitcnt vmcnt(0)
	ds_write_b32 v104, v128
	s_waitcnt lgkmcnt(0)
	; wave barrier
	s_waitcnt lgkmcnt(0)
	s_and_saveexec_b64 s[8:9], s[4:5]
	s_cbranch_execz .LBB50_56
; %bb.47:
	s_andn2_b64 vcc, exec, s[10:11]
	s_cbranch_vccnz .LBB50_49
; %bb.48:
	buffer_load_dword v128, v105, s[0:3], 0 offen
	ds_read_b32 v129, v104
	s_waitcnt vmcnt(0) lgkmcnt(0)
	v_mul_f32_e32 v128, v128, v129
	s_cbranch_execz .LBB50_50
	s_branch .LBB50_51
.LBB50_49:
                                        ; implicit-def: $vgpr128
.LBB50_50:
	ds_read_b32 v128, v104
.LBB50_51:
	s_and_saveexec_b64 s[12:13], s[6:7]
	s_cbranch_execz .LBB50_55
; %bb.52:
	v_mov_b32_e32 v129, 0
	v_add_u32_e32 v129, 0xb4, v129
	v_subrev_u32_e32 v130, 45, v0
	s_movk_i32 s14, 0x184
	s_mov_b64 s[6:7], 0
.LBB50_53:                              ; =>This Inner Loop Header: Depth=1
	buffer_load_dword v131, v129, s[0:3], 0 offen
	v_mov_b32_e32 v132, s14
	ds_read_b32 v132, v132
	v_add_u32_e32 v130, -1, v130
	s_add_i32 s14, s14, 4
	v_cmp_eq_u32_e32 vcc, 0, v130
	v_add_u32_e32 v129, 4, v129
	s_or_b64 s[6:7], vcc, s[6:7]
	s_waitcnt vmcnt(0) lgkmcnt(0)
	v_fmac_f32_e32 v128, v131, v132
	s_andn2_b64 exec, exec, s[6:7]
	s_cbranch_execnz .LBB50_53
; %bb.54:
	s_or_b64 exec, exec, s[6:7]
.LBB50_55:
	s_or_b64 exec, exec, s[12:13]
	v_mov_b32_e32 v129, 0
	ds_read_b32 v129, v129 offset:176
	s_waitcnt lgkmcnt(0)
	v_mul_f32_e32 v128, v128, v129
	buffer_store_dword v128, off, s[0:3], 0 offset:176
.LBB50_56:
	s_or_b64 exec, exec, s[8:9]
	buffer_load_dword v128, off, s[0:3], 0 offset:172
	v_cmp_lt_u32_e64 s[6:7], 43, v0
	s_waitcnt vmcnt(0)
	ds_write_b32 v104, v128
	s_waitcnt lgkmcnt(0)
	; wave barrier
	s_waitcnt lgkmcnt(0)
	s_and_saveexec_b64 s[8:9], s[6:7]
	s_cbranch_execz .LBB50_66
; %bb.57:
	s_andn2_b64 vcc, exec, s[10:11]
	s_cbranch_vccnz .LBB50_59
; %bb.58:
	buffer_load_dword v128, v105, s[0:3], 0 offen
	ds_read_b32 v129, v104
	s_waitcnt vmcnt(0) lgkmcnt(0)
	v_mul_f32_e32 v128, v128, v129
	s_cbranch_execz .LBB50_60
	s_branch .LBB50_61
.LBB50_59:
                                        ; implicit-def: $vgpr128
.LBB50_60:
	ds_read_b32 v128, v104
.LBB50_61:
	s_and_saveexec_b64 s[12:13], s[4:5]
	s_cbranch_execz .LBB50_65
; %bb.62:
	v_subrev_u32_e32 v129, 44, v0
	s_movk_i32 s14, 0x180
	s_mov_b64 s[4:5], 0
.LBB50_63:                              ; =>This Inner Loop Header: Depth=1
	buffer_load_dword v130, v127, s[0:3], 0 offen
	v_mov_b32_e32 v131, s14
	ds_read_b32 v131, v131
	v_add_u32_e32 v129, -1, v129
	s_add_i32 s14, s14, 4
	v_cmp_eq_u32_e32 vcc, 0, v129
	v_add_u32_e32 v127, 4, v127
	s_or_b64 s[4:5], vcc, s[4:5]
	s_waitcnt vmcnt(0) lgkmcnt(0)
	v_fmac_f32_e32 v128, v130, v131
	s_andn2_b64 exec, exec, s[4:5]
	s_cbranch_execnz .LBB50_63
; %bb.64:
	s_or_b64 exec, exec, s[4:5]
.LBB50_65:
	s_or_b64 exec, exec, s[12:13]
	v_mov_b32_e32 v127, 0
	ds_read_b32 v127, v127 offset:172
	s_waitcnt lgkmcnt(0)
	v_mul_f32_e32 v127, v128, v127
	buffer_store_dword v127, off, s[0:3], 0 offset:172
.LBB50_66:
	s_or_b64 exec, exec, s[8:9]
	buffer_load_dword v127, off, s[0:3], 0 offset:168
	v_cmp_lt_u32_e64 s[4:5], 42, v0
	s_waitcnt vmcnt(0)
	ds_write_b32 v104, v127
	s_waitcnt lgkmcnt(0)
	; wave barrier
	s_waitcnt lgkmcnt(0)
	s_and_saveexec_b64 s[8:9], s[4:5]
	s_cbranch_execz .LBB50_76
; %bb.67:
	s_andn2_b64 vcc, exec, s[10:11]
	s_cbranch_vccnz .LBB50_69
; %bb.68:
	buffer_load_dword v127, v105, s[0:3], 0 offen
	ds_read_b32 v128, v104
	s_waitcnt vmcnt(0) lgkmcnt(0)
	v_mul_f32_e32 v127, v127, v128
	s_cbranch_execz .LBB50_70
	s_branch .LBB50_71
.LBB50_69:
                                        ; implicit-def: $vgpr127
.LBB50_70:
	ds_read_b32 v127, v104
.LBB50_71:
	s_and_saveexec_b64 s[12:13], s[6:7]
	s_cbranch_execz .LBB50_75
; %bb.72:
	v_mov_b32_e32 v128, 0
	v_add_u32_e32 v128, 0xac, v128
	v_subrev_u32_e32 v129, 43, v0
	s_movk_i32 s14, 0x17c
	s_mov_b64 s[6:7], 0
.LBB50_73:                              ; =>This Inner Loop Header: Depth=1
	buffer_load_dword v130, v128, s[0:3], 0 offen
	v_mov_b32_e32 v131, s14
	ds_read_b32 v131, v131
	v_add_u32_e32 v129, -1, v129
	s_add_i32 s14, s14, 4
	v_cmp_eq_u32_e32 vcc, 0, v129
	v_add_u32_e32 v128, 4, v128
	s_or_b64 s[6:7], vcc, s[6:7]
	s_waitcnt vmcnt(0) lgkmcnt(0)
	v_fmac_f32_e32 v127, v130, v131
	s_andn2_b64 exec, exec, s[6:7]
	s_cbranch_execnz .LBB50_73
; %bb.74:
	s_or_b64 exec, exec, s[6:7]
.LBB50_75:
	s_or_b64 exec, exec, s[12:13]
	v_mov_b32_e32 v128, 0
	ds_read_b32 v128, v128 offset:168
	s_waitcnt lgkmcnt(0)
	v_mul_f32_e32 v127, v127, v128
	buffer_store_dword v127, off, s[0:3], 0 offset:168
.LBB50_76:
	s_or_b64 exec, exec, s[8:9]
	buffer_load_dword v127, off, s[0:3], 0 offset:164
	v_cmp_lt_u32_e64 s[6:7], 41, v0
	s_waitcnt vmcnt(0)
	ds_write_b32 v104, v127
	s_waitcnt lgkmcnt(0)
	; wave barrier
	s_waitcnt lgkmcnt(0)
	s_and_saveexec_b64 s[8:9], s[6:7]
	s_cbranch_execz .LBB50_86
; %bb.77:
	s_andn2_b64 vcc, exec, s[10:11]
	s_cbranch_vccnz .LBB50_79
; %bb.78:
	buffer_load_dword v127, v105, s[0:3], 0 offen
	ds_read_b32 v128, v104
	s_waitcnt vmcnt(0) lgkmcnt(0)
	v_mul_f32_e32 v127, v127, v128
	s_cbranch_execz .LBB50_80
	s_branch .LBB50_81
.LBB50_79:
                                        ; implicit-def: $vgpr127
.LBB50_80:
	ds_read_b32 v127, v104
.LBB50_81:
	s_and_saveexec_b64 s[12:13], s[4:5]
	s_cbranch_execz .LBB50_85
; %bb.82:
	v_subrev_u32_e32 v128, 42, v0
	s_movk_i32 s14, 0x178
	s_mov_b64 s[4:5], 0
.LBB50_83:                              ; =>This Inner Loop Header: Depth=1
	buffer_load_dword v129, v126, s[0:3], 0 offen
	v_mov_b32_e32 v130, s14
	ds_read_b32 v130, v130
	v_add_u32_e32 v128, -1, v128
	s_add_i32 s14, s14, 4
	v_cmp_eq_u32_e32 vcc, 0, v128
	v_add_u32_e32 v126, 4, v126
	s_or_b64 s[4:5], vcc, s[4:5]
	s_waitcnt vmcnt(0) lgkmcnt(0)
	v_fmac_f32_e32 v127, v129, v130
	s_andn2_b64 exec, exec, s[4:5]
	s_cbranch_execnz .LBB50_83
; %bb.84:
	s_or_b64 exec, exec, s[4:5]
.LBB50_85:
	s_or_b64 exec, exec, s[12:13]
	v_mov_b32_e32 v126, 0
	ds_read_b32 v126, v126 offset:164
	s_waitcnt lgkmcnt(0)
	v_mul_f32_e32 v126, v127, v126
	buffer_store_dword v126, off, s[0:3], 0 offset:164
.LBB50_86:
	s_or_b64 exec, exec, s[8:9]
	buffer_load_dword v126, off, s[0:3], 0 offset:160
	v_cmp_lt_u32_e64 s[4:5], 40, v0
	s_waitcnt vmcnt(0)
	ds_write_b32 v104, v126
	s_waitcnt lgkmcnt(0)
	; wave barrier
	s_waitcnt lgkmcnt(0)
	s_and_saveexec_b64 s[8:9], s[4:5]
	s_cbranch_execz .LBB50_96
; %bb.87:
	s_andn2_b64 vcc, exec, s[10:11]
	s_cbranch_vccnz .LBB50_89
; %bb.88:
	buffer_load_dword v126, v105, s[0:3], 0 offen
	ds_read_b32 v127, v104
	s_waitcnt vmcnt(0) lgkmcnt(0)
	v_mul_f32_e32 v126, v126, v127
	s_cbranch_execz .LBB50_90
	s_branch .LBB50_91
.LBB50_89:
                                        ; implicit-def: $vgpr126
.LBB50_90:
	ds_read_b32 v126, v104
.LBB50_91:
	s_and_saveexec_b64 s[12:13], s[6:7]
	s_cbranch_execz .LBB50_95
; %bb.92:
	v_mov_b32_e32 v127, 0
	v_add_u32_e32 v127, 0xa4, v127
	v_subrev_u32_e32 v128, 41, v0
	s_movk_i32 s14, 0x174
	s_mov_b64 s[6:7], 0
.LBB50_93:                              ; =>This Inner Loop Header: Depth=1
	buffer_load_dword v129, v127, s[0:3], 0 offen
	v_mov_b32_e32 v130, s14
	ds_read_b32 v130, v130
	v_add_u32_e32 v128, -1, v128
	s_add_i32 s14, s14, 4
	v_cmp_eq_u32_e32 vcc, 0, v128
	v_add_u32_e32 v127, 4, v127
	s_or_b64 s[6:7], vcc, s[6:7]
	s_waitcnt vmcnt(0) lgkmcnt(0)
	v_fmac_f32_e32 v126, v129, v130
	s_andn2_b64 exec, exec, s[6:7]
	s_cbranch_execnz .LBB50_93
; %bb.94:
	s_or_b64 exec, exec, s[6:7]
.LBB50_95:
	s_or_b64 exec, exec, s[12:13]
	v_mov_b32_e32 v127, 0
	ds_read_b32 v127, v127 offset:160
	s_waitcnt lgkmcnt(0)
	v_mul_f32_e32 v126, v126, v127
	buffer_store_dword v126, off, s[0:3], 0 offset:160
.LBB50_96:
	s_or_b64 exec, exec, s[8:9]
	buffer_load_dword v126, off, s[0:3], 0 offset:156
	v_cmp_lt_u32_e64 s[6:7], 39, v0
	s_waitcnt vmcnt(0)
	ds_write_b32 v104, v126
	s_waitcnt lgkmcnt(0)
	; wave barrier
	s_waitcnt lgkmcnt(0)
	s_and_saveexec_b64 s[8:9], s[6:7]
	s_cbranch_execz .LBB50_106
; %bb.97:
	s_andn2_b64 vcc, exec, s[10:11]
	s_cbranch_vccnz .LBB50_99
; %bb.98:
	buffer_load_dword v126, v105, s[0:3], 0 offen
	ds_read_b32 v127, v104
	s_waitcnt vmcnt(0) lgkmcnt(0)
	v_mul_f32_e32 v126, v126, v127
	s_cbranch_execz .LBB50_100
	s_branch .LBB50_101
.LBB50_99:
                                        ; implicit-def: $vgpr126
.LBB50_100:
	ds_read_b32 v126, v104
.LBB50_101:
	s_and_saveexec_b64 s[12:13], s[4:5]
	s_cbranch_execz .LBB50_105
; %bb.102:
	v_subrev_u32_e32 v127, 40, v0
	s_movk_i32 s14, 0x170
	s_mov_b64 s[4:5], 0
.LBB50_103:                             ; =>This Inner Loop Header: Depth=1
	buffer_load_dword v128, v125, s[0:3], 0 offen
	v_mov_b32_e32 v129, s14
	ds_read_b32 v129, v129
	v_add_u32_e32 v127, -1, v127
	s_add_i32 s14, s14, 4
	v_cmp_eq_u32_e32 vcc, 0, v127
	v_add_u32_e32 v125, 4, v125
	s_or_b64 s[4:5], vcc, s[4:5]
	s_waitcnt vmcnt(0) lgkmcnt(0)
	v_fmac_f32_e32 v126, v128, v129
	s_andn2_b64 exec, exec, s[4:5]
	s_cbranch_execnz .LBB50_103
; %bb.104:
	s_or_b64 exec, exec, s[4:5]
.LBB50_105:
	s_or_b64 exec, exec, s[12:13]
	v_mov_b32_e32 v125, 0
	ds_read_b32 v125, v125 offset:156
	s_waitcnt lgkmcnt(0)
	v_mul_f32_e32 v125, v126, v125
	buffer_store_dword v125, off, s[0:3], 0 offset:156
.LBB50_106:
	s_or_b64 exec, exec, s[8:9]
	buffer_load_dword v125, off, s[0:3], 0 offset:152
	v_cmp_lt_u32_e64 s[4:5], 38, v0
	s_waitcnt vmcnt(0)
	ds_write_b32 v104, v125
	s_waitcnt lgkmcnt(0)
	; wave barrier
	s_waitcnt lgkmcnt(0)
	s_and_saveexec_b64 s[8:9], s[4:5]
	s_cbranch_execz .LBB50_116
; %bb.107:
	s_andn2_b64 vcc, exec, s[10:11]
	s_cbranch_vccnz .LBB50_109
; %bb.108:
	buffer_load_dword v125, v105, s[0:3], 0 offen
	ds_read_b32 v126, v104
	s_waitcnt vmcnt(0) lgkmcnt(0)
	v_mul_f32_e32 v125, v125, v126
	s_cbranch_execz .LBB50_110
	s_branch .LBB50_111
.LBB50_109:
                                        ; implicit-def: $vgpr125
.LBB50_110:
	ds_read_b32 v125, v104
.LBB50_111:
	s_and_saveexec_b64 s[12:13], s[6:7]
	s_cbranch_execz .LBB50_115
; %bb.112:
	v_mov_b32_e32 v126, 0
	v_add_u32_e32 v126, 0x9c, v126
	v_subrev_u32_e32 v127, 39, v0
	s_movk_i32 s14, 0x16c
	s_mov_b64 s[6:7], 0
.LBB50_113:                             ; =>This Inner Loop Header: Depth=1
	buffer_load_dword v128, v126, s[0:3], 0 offen
	v_mov_b32_e32 v129, s14
	ds_read_b32 v129, v129
	v_add_u32_e32 v127, -1, v127
	s_add_i32 s14, s14, 4
	v_cmp_eq_u32_e32 vcc, 0, v127
	v_add_u32_e32 v126, 4, v126
	s_or_b64 s[6:7], vcc, s[6:7]
	s_waitcnt vmcnt(0) lgkmcnt(0)
	v_fmac_f32_e32 v125, v128, v129
	s_andn2_b64 exec, exec, s[6:7]
	s_cbranch_execnz .LBB50_113
; %bb.114:
	s_or_b64 exec, exec, s[6:7]
.LBB50_115:
	s_or_b64 exec, exec, s[12:13]
	v_mov_b32_e32 v126, 0
	ds_read_b32 v126, v126 offset:152
	s_waitcnt lgkmcnt(0)
	v_mul_f32_e32 v125, v125, v126
	buffer_store_dword v125, off, s[0:3], 0 offset:152
.LBB50_116:
	s_or_b64 exec, exec, s[8:9]
	buffer_load_dword v125, off, s[0:3], 0 offset:148
	v_cmp_lt_u32_e64 s[6:7], 37, v0
	s_waitcnt vmcnt(0)
	ds_write_b32 v104, v125
	s_waitcnt lgkmcnt(0)
	; wave barrier
	s_waitcnt lgkmcnt(0)
	s_and_saveexec_b64 s[8:9], s[6:7]
	s_cbranch_execz .LBB50_126
; %bb.117:
	s_andn2_b64 vcc, exec, s[10:11]
	s_cbranch_vccnz .LBB50_119
; %bb.118:
	buffer_load_dword v125, v105, s[0:3], 0 offen
	ds_read_b32 v126, v104
	s_waitcnt vmcnt(0) lgkmcnt(0)
	v_mul_f32_e32 v125, v125, v126
	s_cbranch_execz .LBB50_120
	s_branch .LBB50_121
.LBB50_119:
                                        ; implicit-def: $vgpr125
.LBB50_120:
	ds_read_b32 v125, v104
.LBB50_121:
	s_and_saveexec_b64 s[12:13], s[4:5]
	s_cbranch_execz .LBB50_125
; %bb.122:
	v_subrev_u32_e32 v126, 38, v0
	s_movk_i32 s14, 0x168
	s_mov_b64 s[4:5], 0
.LBB50_123:                             ; =>This Inner Loop Header: Depth=1
	buffer_load_dword v127, v124, s[0:3], 0 offen
	v_mov_b32_e32 v128, s14
	ds_read_b32 v128, v128
	v_add_u32_e32 v126, -1, v126
	s_add_i32 s14, s14, 4
	v_cmp_eq_u32_e32 vcc, 0, v126
	v_add_u32_e32 v124, 4, v124
	s_or_b64 s[4:5], vcc, s[4:5]
	s_waitcnt vmcnt(0) lgkmcnt(0)
	v_fmac_f32_e32 v125, v127, v128
	s_andn2_b64 exec, exec, s[4:5]
	s_cbranch_execnz .LBB50_123
; %bb.124:
	s_or_b64 exec, exec, s[4:5]
.LBB50_125:
	s_or_b64 exec, exec, s[12:13]
	v_mov_b32_e32 v124, 0
	ds_read_b32 v124, v124 offset:148
	s_waitcnt lgkmcnt(0)
	v_mul_f32_e32 v124, v125, v124
	buffer_store_dword v124, off, s[0:3], 0 offset:148
.LBB50_126:
	s_or_b64 exec, exec, s[8:9]
	buffer_load_dword v124, off, s[0:3], 0 offset:144
	v_cmp_lt_u32_e64 s[4:5], 36, v0
	s_waitcnt vmcnt(0)
	ds_write_b32 v104, v124
	s_waitcnt lgkmcnt(0)
	; wave barrier
	s_waitcnt lgkmcnt(0)
	s_and_saveexec_b64 s[8:9], s[4:5]
	s_cbranch_execz .LBB50_136
; %bb.127:
	s_andn2_b64 vcc, exec, s[10:11]
	s_cbranch_vccnz .LBB50_129
; %bb.128:
	buffer_load_dword v124, v105, s[0:3], 0 offen
	ds_read_b32 v125, v104
	s_waitcnt vmcnt(0) lgkmcnt(0)
	v_mul_f32_e32 v124, v124, v125
	s_cbranch_execz .LBB50_130
	s_branch .LBB50_131
.LBB50_129:
                                        ; implicit-def: $vgpr124
.LBB50_130:
	ds_read_b32 v124, v104
.LBB50_131:
	s_and_saveexec_b64 s[12:13], s[6:7]
	s_cbranch_execz .LBB50_135
; %bb.132:
	v_mov_b32_e32 v125, 0
	v_add_u32_e32 v125, 0x94, v125
	v_subrev_u32_e32 v126, 37, v0
	s_movk_i32 s14, 0x164
	s_mov_b64 s[6:7], 0
.LBB50_133:                             ; =>This Inner Loop Header: Depth=1
	buffer_load_dword v127, v125, s[0:3], 0 offen
	v_mov_b32_e32 v128, s14
	ds_read_b32 v128, v128
	v_add_u32_e32 v126, -1, v126
	s_add_i32 s14, s14, 4
	v_cmp_eq_u32_e32 vcc, 0, v126
	v_add_u32_e32 v125, 4, v125
	s_or_b64 s[6:7], vcc, s[6:7]
	s_waitcnt vmcnt(0) lgkmcnt(0)
	v_fmac_f32_e32 v124, v127, v128
	s_andn2_b64 exec, exec, s[6:7]
	s_cbranch_execnz .LBB50_133
; %bb.134:
	s_or_b64 exec, exec, s[6:7]
.LBB50_135:
	s_or_b64 exec, exec, s[12:13]
	v_mov_b32_e32 v125, 0
	ds_read_b32 v125, v125 offset:144
	s_waitcnt lgkmcnt(0)
	v_mul_f32_e32 v124, v124, v125
	buffer_store_dword v124, off, s[0:3], 0 offset:144
.LBB50_136:
	s_or_b64 exec, exec, s[8:9]
	buffer_load_dword v124, off, s[0:3], 0 offset:140
	v_cmp_lt_u32_e64 s[6:7], 35, v0
	s_waitcnt vmcnt(0)
	ds_write_b32 v104, v124
	s_waitcnt lgkmcnt(0)
	; wave barrier
	s_waitcnt lgkmcnt(0)
	s_and_saveexec_b64 s[8:9], s[6:7]
	s_cbranch_execz .LBB50_146
; %bb.137:
	s_andn2_b64 vcc, exec, s[10:11]
	s_cbranch_vccnz .LBB50_139
; %bb.138:
	buffer_load_dword v124, v105, s[0:3], 0 offen
	ds_read_b32 v125, v104
	s_waitcnt vmcnt(0) lgkmcnt(0)
	v_mul_f32_e32 v124, v124, v125
	s_cbranch_execz .LBB50_140
	s_branch .LBB50_141
.LBB50_139:
                                        ; implicit-def: $vgpr124
.LBB50_140:
	ds_read_b32 v124, v104
.LBB50_141:
	s_and_saveexec_b64 s[12:13], s[4:5]
	s_cbranch_execz .LBB50_145
; %bb.142:
	v_subrev_u32_e32 v125, 36, v0
	s_movk_i32 s14, 0x160
	s_mov_b64 s[4:5], 0
.LBB50_143:                             ; =>This Inner Loop Header: Depth=1
	buffer_load_dword v126, v123, s[0:3], 0 offen
	v_mov_b32_e32 v127, s14
	ds_read_b32 v127, v127
	v_add_u32_e32 v125, -1, v125
	s_add_i32 s14, s14, 4
	v_cmp_eq_u32_e32 vcc, 0, v125
	v_add_u32_e32 v123, 4, v123
	s_or_b64 s[4:5], vcc, s[4:5]
	s_waitcnt vmcnt(0) lgkmcnt(0)
	v_fmac_f32_e32 v124, v126, v127
	s_andn2_b64 exec, exec, s[4:5]
	s_cbranch_execnz .LBB50_143
; %bb.144:
	s_or_b64 exec, exec, s[4:5]
.LBB50_145:
	s_or_b64 exec, exec, s[12:13]
	v_mov_b32_e32 v123, 0
	ds_read_b32 v123, v123 offset:140
	s_waitcnt lgkmcnt(0)
	v_mul_f32_e32 v123, v124, v123
	buffer_store_dword v123, off, s[0:3], 0 offset:140
.LBB50_146:
	s_or_b64 exec, exec, s[8:9]
	buffer_load_dword v123, off, s[0:3], 0 offset:136
	v_cmp_lt_u32_e64 s[4:5], 34, v0
	s_waitcnt vmcnt(0)
	ds_write_b32 v104, v123
	s_waitcnt lgkmcnt(0)
	; wave barrier
	s_waitcnt lgkmcnt(0)
	s_and_saveexec_b64 s[8:9], s[4:5]
	s_cbranch_execz .LBB50_156
; %bb.147:
	s_andn2_b64 vcc, exec, s[10:11]
	s_cbranch_vccnz .LBB50_149
; %bb.148:
	buffer_load_dword v123, v105, s[0:3], 0 offen
	ds_read_b32 v124, v104
	s_waitcnt vmcnt(0) lgkmcnt(0)
	v_mul_f32_e32 v123, v123, v124
	s_cbranch_execz .LBB50_150
	s_branch .LBB50_151
.LBB50_149:
                                        ; implicit-def: $vgpr123
.LBB50_150:
	ds_read_b32 v123, v104
.LBB50_151:
	s_and_saveexec_b64 s[12:13], s[6:7]
	s_cbranch_execz .LBB50_155
; %bb.152:
	v_mov_b32_e32 v124, 0
	v_add_u32_e32 v124, 0x8c, v124
	v_subrev_u32_e32 v125, 35, v0
	s_movk_i32 s14, 0x15c
	s_mov_b64 s[6:7], 0
.LBB50_153:                             ; =>This Inner Loop Header: Depth=1
	buffer_load_dword v126, v124, s[0:3], 0 offen
	v_mov_b32_e32 v127, s14
	ds_read_b32 v127, v127
	v_add_u32_e32 v125, -1, v125
	s_add_i32 s14, s14, 4
	v_cmp_eq_u32_e32 vcc, 0, v125
	v_add_u32_e32 v124, 4, v124
	s_or_b64 s[6:7], vcc, s[6:7]
	s_waitcnt vmcnt(0) lgkmcnt(0)
	v_fmac_f32_e32 v123, v126, v127
	s_andn2_b64 exec, exec, s[6:7]
	s_cbranch_execnz .LBB50_153
; %bb.154:
	s_or_b64 exec, exec, s[6:7]
.LBB50_155:
	s_or_b64 exec, exec, s[12:13]
	v_mov_b32_e32 v124, 0
	ds_read_b32 v124, v124 offset:136
	s_waitcnt lgkmcnt(0)
	v_mul_f32_e32 v123, v123, v124
	buffer_store_dword v123, off, s[0:3], 0 offset:136
.LBB50_156:
	s_or_b64 exec, exec, s[8:9]
	buffer_load_dword v123, off, s[0:3], 0 offset:132
	v_cmp_lt_u32_e64 s[6:7], 33, v0
	s_waitcnt vmcnt(0)
	ds_write_b32 v104, v123
	s_waitcnt lgkmcnt(0)
	; wave barrier
	s_waitcnt lgkmcnt(0)
	s_and_saveexec_b64 s[8:9], s[6:7]
	s_cbranch_execz .LBB50_166
; %bb.157:
	s_andn2_b64 vcc, exec, s[10:11]
	s_cbranch_vccnz .LBB50_159
; %bb.158:
	buffer_load_dword v123, v105, s[0:3], 0 offen
	ds_read_b32 v124, v104
	s_waitcnt vmcnt(0) lgkmcnt(0)
	v_mul_f32_e32 v123, v123, v124
	s_cbranch_execz .LBB50_160
	s_branch .LBB50_161
.LBB50_159:
                                        ; implicit-def: $vgpr123
.LBB50_160:
	ds_read_b32 v123, v104
.LBB50_161:
	s_and_saveexec_b64 s[12:13], s[4:5]
	s_cbranch_execz .LBB50_165
; %bb.162:
	v_subrev_u32_e32 v124, 34, v0
	s_movk_i32 s14, 0x158
	s_mov_b64 s[4:5], 0
.LBB50_163:                             ; =>This Inner Loop Header: Depth=1
	buffer_load_dword v125, v122, s[0:3], 0 offen
	v_mov_b32_e32 v126, s14
	ds_read_b32 v126, v126
	v_add_u32_e32 v124, -1, v124
	s_add_i32 s14, s14, 4
	v_cmp_eq_u32_e32 vcc, 0, v124
	v_add_u32_e32 v122, 4, v122
	s_or_b64 s[4:5], vcc, s[4:5]
	s_waitcnt vmcnt(0) lgkmcnt(0)
	v_fmac_f32_e32 v123, v125, v126
	s_andn2_b64 exec, exec, s[4:5]
	s_cbranch_execnz .LBB50_163
; %bb.164:
	s_or_b64 exec, exec, s[4:5]
.LBB50_165:
	s_or_b64 exec, exec, s[12:13]
	v_mov_b32_e32 v122, 0
	ds_read_b32 v122, v122 offset:132
	s_waitcnt lgkmcnt(0)
	v_mul_f32_e32 v122, v123, v122
	buffer_store_dword v122, off, s[0:3], 0 offset:132
.LBB50_166:
	s_or_b64 exec, exec, s[8:9]
	buffer_load_dword v122, off, s[0:3], 0 offset:128
	v_cmp_lt_u32_e64 s[4:5], 32, v0
	s_waitcnt vmcnt(0)
	ds_write_b32 v104, v122
	s_waitcnt lgkmcnt(0)
	; wave barrier
	s_waitcnt lgkmcnt(0)
	s_and_saveexec_b64 s[8:9], s[4:5]
	s_cbranch_execz .LBB50_176
; %bb.167:
	s_andn2_b64 vcc, exec, s[10:11]
	s_cbranch_vccnz .LBB50_169
; %bb.168:
	buffer_load_dword v122, v105, s[0:3], 0 offen
	ds_read_b32 v123, v104
	s_waitcnt vmcnt(0) lgkmcnt(0)
	v_mul_f32_e32 v122, v122, v123
	s_cbranch_execz .LBB50_170
	s_branch .LBB50_171
.LBB50_169:
                                        ; implicit-def: $vgpr122
.LBB50_170:
	ds_read_b32 v122, v104
.LBB50_171:
	s_and_saveexec_b64 s[12:13], s[6:7]
	s_cbranch_execz .LBB50_175
; %bb.172:
	v_mov_b32_e32 v123, 0
	v_add_u32_e32 v123, 0x84, v123
	v_subrev_u32_e32 v124, 33, v0
	s_movk_i32 s14, 0x154
	s_mov_b64 s[6:7], 0
.LBB50_173:                             ; =>This Inner Loop Header: Depth=1
	buffer_load_dword v125, v123, s[0:3], 0 offen
	v_mov_b32_e32 v126, s14
	ds_read_b32 v126, v126
	v_add_u32_e32 v124, -1, v124
	s_add_i32 s14, s14, 4
	v_cmp_eq_u32_e32 vcc, 0, v124
	v_add_u32_e32 v123, 4, v123
	s_or_b64 s[6:7], vcc, s[6:7]
	s_waitcnt vmcnt(0) lgkmcnt(0)
	v_fmac_f32_e32 v122, v125, v126
	s_andn2_b64 exec, exec, s[6:7]
	s_cbranch_execnz .LBB50_173
; %bb.174:
	s_or_b64 exec, exec, s[6:7]
.LBB50_175:
	s_or_b64 exec, exec, s[12:13]
	v_mov_b32_e32 v123, 0
	ds_read_b32 v123, v123 offset:128
	s_waitcnt lgkmcnt(0)
	v_mul_f32_e32 v122, v122, v123
	buffer_store_dword v122, off, s[0:3], 0 offset:128
.LBB50_176:
	s_or_b64 exec, exec, s[8:9]
	buffer_load_dword v122, off, s[0:3], 0 offset:124
	v_cmp_lt_u32_e64 s[6:7], 31, v0
	s_waitcnt vmcnt(0)
	ds_write_b32 v104, v122
	s_waitcnt lgkmcnt(0)
	; wave barrier
	s_waitcnt lgkmcnt(0)
	s_and_saveexec_b64 s[8:9], s[6:7]
	s_cbranch_execz .LBB50_186
; %bb.177:
	s_andn2_b64 vcc, exec, s[10:11]
	s_cbranch_vccnz .LBB50_179
; %bb.178:
	buffer_load_dword v122, v105, s[0:3], 0 offen
	ds_read_b32 v123, v104
	s_waitcnt vmcnt(0) lgkmcnt(0)
	v_mul_f32_e32 v122, v122, v123
	s_cbranch_execz .LBB50_180
	s_branch .LBB50_181
.LBB50_179:
                                        ; implicit-def: $vgpr122
.LBB50_180:
	ds_read_b32 v122, v104
.LBB50_181:
	s_and_saveexec_b64 s[12:13], s[4:5]
	s_cbranch_execz .LBB50_185
; %bb.182:
	v_subrev_u32_e32 v123, 32, v0
	s_movk_i32 s14, 0x150
	s_mov_b64 s[4:5], 0
.LBB50_183:                             ; =>This Inner Loop Header: Depth=1
	buffer_load_dword v124, v121, s[0:3], 0 offen
	v_mov_b32_e32 v125, s14
	ds_read_b32 v125, v125
	v_add_u32_e32 v123, -1, v123
	s_add_i32 s14, s14, 4
	v_cmp_eq_u32_e32 vcc, 0, v123
	v_add_u32_e32 v121, 4, v121
	s_or_b64 s[4:5], vcc, s[4:5]
	s_waitcnt vmcnt(0) lgkmcnt(0)
	v_fmac_f32_e32 v122, v124, v125
	s_andn2_b64 exec, exec, s[4:5]
	s_cbranch_execnz .LBB50_183
; %bb.184:
	s_or_b64 exec, exec, s[4:5]
.LBB50_185:
	s_or_b64 exec, exec, s[12:13]
	v_mov_b32_e32 v121, 0
	ds_read_b32 v121, v121 offset:124
	s_waitcnt lgkmcnt(0)
	v_mul_f32_e32 v121, v122, v121
	buffer_store_dword v121, off, s[0:3], 0 offset:124
.LBB50_186:
	s_or_b64 exec, exec, s[8:9]
	buffer_load_dword v121, off, s[0:3], 0 offset:120
	v_cmp_lt_u32_e64 s[4:5], 30, v0
	s_waitcnt vmcnt(0)
	ds_write_b32 v104, v121
	s_waitcnt lgkmcnt(0)
	; wave barrier
	s_waitcnt lgkmcnt(0)
	s_and_saveexec_b64 s[8:9], s[4:5]
	s_cbranch_execz .LBB50_196
; %bb.187:
	s_andn2_b64 vcc, exec, s[10:11]
	s_cbranch_vccnz .LBB50_189
; %bb.188:
	buffer_load_dword v121, v105, s[0:3], 0 offen
	ds_read_b32 v122, v104
	s_waitcnt vmcnt(0) lgkmcnt(0)
	v_mul_f32_e32 v121, v121, v122
	s_cbranch_execz .LBB50_190
	s_branch .LBB50_191
.LBB50_189:
                                        ; implicit-def: $vgpr121
.LBB50_190:
	ds_read_b32 v121, v104
.LBB50_191:
	s_and_saveexec_b64 s[12:13], s[6:7]
	s_cbranch_execz .LBB50_195
; %bb.192:
	v_mov_b32_e32 v122, 0
	v_add_u32_e32 v122, 0x7c, v122
	v_subrev_u32_e32 v123, 31, v0
	s_movk_i32 s14, 0x14c
	s_mov_b64 s[6:7], 0
.LBB50_193:                             ; =>This Inner Loop Header: Depth=1
	buffer_load_dword v124, v122, s[0:3], 0 offen
	v_mov_b32_e32 v125, s14
	ds_read_b32 v125, v125
	v_add_u32_e32 v123, -1, v123
	s_add_i32 s14, s14, 4
	v_cmp_eq_u32_e32 vcc, 0, v123
	v_add_u32_e32 v122, 4, v122
	s_or_b64 s[6:7], vcc, s[6:7]
	s_waitcnt vmcnt(0) lgkmcnt(0)
	v_fmac_f32_e32 v121, v124, v125
	s_andn2_b64 exec, exec, s[6:7]
	s_cbranch_execnz .LBB50_193
; %bb.194:
	s_or_b64 exec, exec, s[6:7]
.LBB50_195:
	s_or_b64 exec, exec, s[12:13]
	v_mov_b32_e32 v122, 0
	ds_read_b32 v122, v122 offset:120
	s_waitcnt lgkmcnt(0)
	v_mul_f32_e32 v121, v121, v122
	buffer_store_dword v121, off, s[0:3], 0 offset:120
.LBB50_196:
	s_or_b64 exec, exec, s[8:9]
	buffer_load_dword v121, off, s[0:3], 0 offset:116
	v_cmp_lt_u32_e64 s[6:7], 29, v0
	s_waitcnt vmcnt(0)
	ds_write_b32 v104, v121
	s_waitcnt lgkmcnt(0)
	; wave barrier
	s_waitcnt lgkmcnt(0)
	s_and_saveexec_b64 s[8:9], s[6:7]
	s_cbranch_execz .LBB50_206
; %bb.197:
	s_andn2_b64 vcc, exec, s[10:11]
	s_cbranch_vccnz .LBB50_199
; %bb.198:
	buffer_load_dword v121, v105, s[0:3], 0 offen
	ds_read_b32 v122, v104
	s_waitcnt vmcnt(0) lgkmcnt(0)
	v_mul_f32_e32 v121, v121, v122
	s_cbranch_execz .LBB50_200
	s_branch .LBB50_201
.LBB50_199:
                                        ; implicit-def: $vgpr121
.LBB50_200:
	ds_read_b32 v121, v104
.LBB50_201:
	s_and_saveexec_b64 s[12:13], s[4:5]
	s_cbranch_execz .LBB50_205
; %bb.202:
	v_subrev_u32_e32 v122, 30, v0
	s_movk_i32 s14, 0x148
	s_mov_b64 s[4:5], 0
.LBB50_203:                             ; =>This Inner Loop Header: Depth=1
	buffer_load_dword v123, v120, s[0:3], 0 offen
	v_mov_b32_e32 v124, s14
	ds_read_b32 v124, v124
	v_add_u32_e32 v122, -1, v122
	s_add_i32 s14, s14, 4
	v_cmp_eq_u32_e32 vcc, 0, v122
	v_add_u32_e32 v120, 4, v120
	s_or_b64 s[4:5], vcc, s[4:5]
	s_waitcnt vmcnt(0) lgkmcnt(0)
	v_fmac_f32_e32 v121, v123, v124
	s_andn2_b64 exec, exec, s[4:5]
	s_cbranch_execnz .LBB50_203
; %bb.204:
	s_or_b64 exec, exec, s[4:5]
.LBB50_205:
	s_or_b64 exec, exec, s[12:13]
	v_mov_b32_e32 v120, 0
	ds_read_b32 v120, v120 offset:116
	s_waitcnt lgkmcnt(0)
	v_mul_f32_e32 v120, v121, v120
	buffer_store_dword v120, off, s[0:3], 0 offset:116
.LBB50_206:
	s_or_b64 exec, exec, s[8:9]
	buffer_load_dword v120, off, s[0:3], 0 offset:112
	v_cmp_lt_u32_e64 s[4:5], 28, v0
	s_waitcnt vmcnt(0)
	ds_write_b32 v104, v120
	s_waitcnt lgkmcnt(0)
	; wave barrier
	s_waitcnt lgkmcnt(0)
	s_and_saveexec_b64 s[8:9], s[4:5]
	s_cbranch_execz .LBB50_216
; %bb.207:
	s_andn2_b64 vcc, exec, s[10:11]
	s_cbranch_vccnz .LBB50_209
; %bb.208:
	buffer_load_dword v120, v105, s[0:3], 0 offen
	ds_read_b32 v121, v104
	s_waitcnt vmcnt(0) lgkmcnt(0)
	v_mul_f32_e32 v120, v120, v121
	s_cbranch_execz .LBB50_210
	s_branch .LBB50_211
.LBB50_209:
                                        ; implicit-def: $vgpr120
.LBB50_210:
	ds_read_b32 v120, v104
.LBB50_211:
	s_and_saveexec_b64 s[12:13], s[6:7]
	s_cbranch_execz .LBB50_215
; %bb.212:
	v_mov_b32_e32 v121, 0
	v_add_u32_e32 v121, 0x74, v121
	v_subrev_u32_e32 v122, 29, v0
	s_movk_i32 s14, 0x144
	s_mov_b64 s[6:7], 0
.LBB50_213:                             ; =>This Inner Loop Header: Depth=1
	buffer_load_dword v123, v121, s[0:3], 0 offen
	v_mov_b32_e32 v124, s14
	ds_read_b32 v124, v124
	v_add_u32_e32 v122, -1, v122
	s_add_i32 s14, s14, 4
	v_cmp_eq_u32_e32 vcc, 0, v122
	v_add_u32_e32 v121, 4, v121
	s_or_b64 s[6:7], vcc, s[6:7]
	s_waitcnt vmcnt(0) lgkmcnt(0)
	v_fmac_f32_e32 v120, v123, v124
	s_andn2_b64 exec, exec, s[6:7]
	s_cbranch_execnz .LBB50_213
; %bb.214:
	s_or_b64 exec, exec, s[6:7]
.LBB50_215:
	s_or_b64 exec, exec, s[12:13]
	v_mov_b32_e32 v121, 0
	ds_read_b32 v121, v121 offset:112
	s_waitcnt lgkmcnt(0)
	v_mul_f32_e32 v120, v120, v121
	buffer_store_dword v120, off, s[0:3], 0 offset:112
.LBB50_216:
	s_or_b64 exec, exec, s[8:9]
	buffer_load_dword v120, off, s[0:3], 0 offset:108
	v_cmp_lt_u32_e64 s[6:7], 27, v0
	s_waitcnt vmcnt(0)
	ds_write_b32 v104, v120
	s_waitcnt lgkmcnt(0)
	; wave barrier
	s_waitcnt lgkmcnt(0)
	s_and_saveexec_b64 s[8:9], s[6:7]
	s_cbranch_execz .LBB50_226
; %bb.217:
	s_andn2_b64 vcc, exec, s[10:11]
	s_cbranch_vccnz .LBB50_219
; %bb.218:
	buffer_load_dword v120, v105, s[0:3], 0 offen
	ds_read_b32 v121, v104
	s_waitcnt vmcnt(0) lgkmcnt(0)
	v_mul_f32_e32 v120, v120, v121
	s_cbranch_execz .LBB50_220
	s_branch .LBB50_221
.LBB50_219:
                                        ; implicit-def: $vgpr120
.LBB50_220:
	ds_read_b32 v120, v104
.LBB50_221:
	s_and_saveexec_b64 s[12:13], s[4:5]
	s_cbranch_execz .LBB50_225
; %bb.222:
	v_subrev_u32_e32 v121, 28, v0
	s_movk_i32 s14, 0x140
	s_mov_b64 s[4:5], 0
.LBB50_223:                             ; =>This Inner Loop Header: Depth=1
	buffer_load_dword v122, v119, s[0:3], 0 offen
	v_mov_b32_e32 v123, s14
	ds_read_b32 v123, v123
	v_add_u32_e32 v121, -1, v121
	s_add_i32 s14, s14, 4
	v_cmp_eq_u32_e32 vcc, 0, v121
	v_add_u32_e32 v119, 4, v119
	s_or_b64 s[4:5], vcc, s[4:5]
	s_waitcnt vmcnt(0) lgkmcnt(0)
	v_fmac_f32_e32 v120, v122, v123
	s_andn2_b64 exec, exec, s[4:5]
	s_cbranch_execnz .LBB50_223
; %bb.224:
	s_or_b64 exec, exec, s[4:5]
.LBB50_225:
	s_or_b64 exec, exec, s[12:13]
	v_mov_b32_e32 v119, 0
	ds_read_b32 v119, v119 offset:108
	s_waitcnt lgkmcnt(0)
	v_mul_f32_e32 v119, v120, v119
	buffer_store_dword v119, off, s[0:3], 0 offset:108
.LBB50_226:
	s_or_b64 exec, exec, s[8:9]
	buffer_load_dword v119, off, s[0:3], 0 offset:104
	v_cmp_lt_u32_e64 s[4:5], 26, v0
	s_waitcnt vmcnt(0)
	ds_write_b32 v104, v119
	s_waitcnt lgkmcnt(0)
	; wave barrier
	s_waitcnt lgkmcnt(0)
	s_and_saveexec_b64 s[8:9], s[4:5]
	s_cbranch_execz .LBB50_236
; %bb.227:
	s_andn2_b64 vcc, exec, s[10:11]
	s_cbranch_vccnz .LBB50_229
; %bb.228:
	buffer_load_dword v119, v105, s[0:3], 0 offen
	ds_read_b32 v120, v104
	s_waitcnt vmcnt(0) lgkmcnt(0)
	v_mul_f32_e32 v119, v119, v120
	s_cbranch_execz .LBB50_230
	s_branch .LBB50_231
.LBB50_229:
                                        ; implicit-def: $vgpr119
.LBB50_230:
	ds_read_b32 v119, v104
.LBB50_231:
	s_and_saveexec_b64 s[12:13], s[6:7]
	s_cbranch_execz .LBB50_235
; %bb.232:
	v_mov_b32_e32 v120, 0
	v_add_u32_e32 v120, 0x6c, v120
	v_subrev_u32_e32 v121, 27, v0
	s_movk_i32 s14, 0x13c
	s_mov_b64 s[6:7], 0
.LBB50_233:                             ; =>This Inner Loop Header: Depth=1
	buffer_load_dword v122, v120, s[0:3], 0 offen
	v_mov_b32_e32 v123, s14
	ds_read_b32 v123, v123
	v_add_u32_e32 v121, -1, v121
	s_add_i32 s14, s14, 4
	v_cmp_eq_u32_e32 vcc, 0, v121
	v_add_u32_e32 v120, 4, v120
	s_or_b64 s[6:7], vcc, s[6:7]
	s_waitcnt vmcnt(0) lgkmcnt(0)
	v_fmac_f32_e32 v119, v122, v123
	s_andn2_b64 exec, exec, s[6:7]
	s_cbranch_execnz .LBB50_233
; %bb.234:
	s_or_b64 exec, exec, s[6:7]
.LBB50_235:
	s_or_b64 exec, exec, s[12:13]
	v_mov_b32_e32 v120, 0
	ds_read_b32 v120, v120 offset:104
	s_waitcnt lgkmcnt(0)
	v_mul_f32_e32 v119, v119, v120
	buffer_store_dword v119, off, s[0:3], 0 offset:104
.LBB50_236:
	s_or_b64 exec, exec, s[8:9]
	buffer_load_dword v119, off, s[0:3], 0 offset:100
	v_cmp_lt_u32_e64 s[6:7], 25, v0
	s_waitcnt vmcnt(0)
	ds_write_b32 v104, v119
	s_waitcnt lgkmcnt(0)
	; wave barrier
	s_waitcnt lgkmcnt(0)
	s_and_saveexec_b64 s[8:9], s[6:7]
	s_cbranch_execz .LBB50_246
; %bb.237:
	s_andn2_b64 vcc, exec, s[10:11]
	s_cbranch_vccnz .LBB50_239
; %bb.238:
	buffer_load_dword v119, v105, s[0:3], 0 offen
	ds_read_b32 v120, v104
	s_waitcnt vmcnt(0) lgkmcnt(0)
	v_mul_f32_e32 v119, v119, v120
	s_cbranch_execz .LBB50_240
	s_branch .LBB50_241
.LBB50_239:
                                        ; implicit-def: $vgpr119
.LBB50_240:
	ds_read_b32 v119, v104
.LBB50_241:
	s_and_saveexec_b64 s[12:13], s[4:5]
	s_cbranch_execz .LBB50_245
; %bb.242:
	v_subrev_u32_e32 v120, 26, v0
	s_movk_i32 s14, 0x138
	s_mov_b64 s[4:5], 0
.LBB50_243:                             ; =>This Inner Loop Header: Depth=1
	buffer_load_dword v121, v118, s[0:3], 0 offen
	v_mov_b32_e32 v122, s14
	ds_read_b32 v122, v122
	v_add_u32_e32 v120, -1, v120
	s_add_i32 s14, s14, 4
	v_cmp_eq_u32_e32 vcc, 0, v120
	v_add_u32_e32 v118, 4, v118
	s_or_b64 s[4:5], vcc, s[4:5]
	s_waitcnt vmcnt(0) lgkmcnt(0)
	v_fmac_f32_e32 v119, v121, v122
	s_andn2_b64 exec, exec, s[4:5]
	s_cbranch_execnz .LBB50_243
; %bb.244:
	s_or_b64 exec, exec, s[4:5]
.LBB50_245:
	s_or_b64 exec, exec, s[12:13]
	v_mov_b32_e32 v118, 0
	ds_read_b32 v118, v118 offset:100
	s_waitcnt lgkmcnt(0)
	v_mul_f32_e32 v118, v119, v118
	buffer_store_dword v118, off, s[0:3], 0 offset:100
.LBB50_246:
	s_or_b64 exec, exec, s[8:9]
	buffer_load_dword v118, off, s[0:3], 0 offset:96
	v_cmp_lt_u32_e64 s[4:5], 24, v0
	s_waitcnt vmcnt(0)
	ds_write_b32 v104, v118
	s_waitcnt lgkmcnt(0)
	; wave barrier
	s_waitcnt lgkmcnt(0)
	s_and_saveexec_b64 s[8:9], s[4:5]
	s_cbranch_execz .LBB50_256
; %bb.247:
	s_andn2_b64 vcc, exec, s[10:11]
	s_cbranch_vccnz .LBB50_249
; %bb.248:
	buffer_load_dword v118, v105, s[0:3], 0 offen
	ds_read_b32 v119, v104
	s_waitcnt vmcnt(0) lgkmcnt(0)
	v_mul_f32_e32 v118, v118, v119
	s_cbranch_execz .LBB50_250
	s_branch .LBB50_251
.LBB50_249:
                                        ; implicit-def: $vgpr118
.LBB50_250:
	ds_read_b32 v118, v104
.LBB50_251:
	s_and_saveexec_b64 s[12:13], s[6:7]
	s_cbranch_execz .LBB50_255
; %bb.252:
	v_mov_b32_e32 v119, 0
	v_add_u32_e32 v119, 0x64, v119
	v_subrev_u32_e32 v120, 25, v0
	s_movk_i32 s14, 0x134
	s_mov_b64 s[6:7], 0
.LBB50_253:                             ; =>This Inner Loop Header: Depth=1
	buffer_load_dword v121, v119, s[0:3], 0 offen
	v_mov_b32_e32 v122, s14
	ds_read_b32 v122, v122
	v_add_u32_e32 v120, -1, v120
	s_add_i32 s14, s14, 4
	v_cmp_eq_u32_e32 vcc, 0, v120
	v_add_u32_e32 v119, 4, v119
	s_or_b64 s[6:7], vcc, s[6:7]
	s_waitcnt vmcnt(0) lgkmcnt(0)
	v_fmac_f32_e32 v118, v121, v122
	s_andn2_b64 exec, exec, s[6:7]
	s_cbranch_execnz .LBB50_253
; %bb.254:
	s_or_b64 exec, exec, s[6:7]
.LBB50_255:
	s_or_b64 exec, exec, s[12:13]
	v_mov_b32_e32 v119, 0
	ds_read_b32 v119, v119 offset:96
	s_waitcnt lgkmcnt(0)
	v_mul_f32_e32 v118, v118, v119
	buffer_store_dword v118, off, s[0:3], 0 offset:96
.LBB50_256:
	s_or_b64 exec, exec, s[8:9]
	buffer_load_dword v118, off, s[0:3], 0 offset:92
	v_cmp_lt_u32_e64 s[6:7], 23, v0
	s_waitcnt vmcnt(0)
	ds_write_b32 v104, v118
	s_waitcnt lgkmcnt(0)
	; wave barrier
	s_waitcnt lgkmcnt(0)
	s_and_saveexec_b64 s[8:9], s[6:7]
	s_cbranch_execz .LBB50_266
; %bb.257:
	s_andn2_b64 vcc, exec, s[10:11]
	s_cbranch_vccnz .LBB50_259
; %bb.258:
	buffer_load_dword v118, v105, s[0:3], 0 offen
	ds_read_b32 v119, v104
	s_waitcnt vmcnt(0) lgkmcnt(0)
	v_mul_f32_e32 v118, v118, v119
	s_cbranch_execz .LBB50_260
	s_branch .LBB50_261
.LBB50_259:
                                        ; implicit-def: $vgpr118
.LBB50_260:
	ds_read_b32 v118, v104
.LBB50_261:
	s_and_saveexec_b64 s[12:13], s[4:5]
	s_cbranch_execz .LBB50_265
; %bb.262:
	v_subrev_u32_e32 v119, 24, v0
	s_movk_i32 s14, 0x130
	s_mov_b64 s[4:5], 0
.LBB50_263:                             ; =>This Inner Loop Header: Depth=1
	buffer_load_dword v120, v117, s[0:3], 0 offen
	v_mov_b32_e32 v121, s14
	ds_read_b32 v121, v121
	v_add_u32_e32 v119, -1, v119
	s_add_i32 s14, s14, 4
	v_cmp_eq_u32_e32 vcc, 0, v119
	v_add_u32_e32 v117, 4, v117
	s_or_b64 s[4:5], vcc, s[4:5]
	s_waitcnt vmcnt(0) lgkmcnt(0)
	v_fmac_f32_e32 v118, v120, v121
	s_andn2_b64 exec, exec, s[4:5]
	s_cbranch_execnz .LBB50_263
; %bb.264:
	s_or_b64 exec, exec, s[4:5]
.LBB50_265:
	s_or_b64 exec, exec, s[12:13]
	v_mov_b32_e32 v117, 0
	ds_read_b32 v117, v117 offset:92
	s_waitcnt lgkmcnt(0)
	v_mul_f32_e32 v117, v118, v117
	buffer_store_dword v117, off, s[0:3], 0 offset:92
.LBB50_266:
	s_or_b64 exec, exec, s[8:9]
	buffer_load_dword v117, off, s[0:3], 0 offset:88
	v_cmp_lt_u32_e64 s[4:5], 22, v0
	s_waitcnt vmcnt(0)
	ds_write_b32 v104, v117
	s_waitcnt lgkmcnt(0)
	; wave barrier
	s_waitcnt lgkmcnt(0)
	s_and_saveexec_b64 s[8:9], s[4:5]
	s_cbranch_execz .LBB50_276
; %bb.267:
	s_andn2_b64 vcc, exec, s[10:11]
	s_cbranch_vccnz .LBB50_269
; %bb.268:
	buffer_load_dword v117, v105, s[0:3], 0 offen
	ds_read_b32 v118, v104
	s_waitcnt vmcnt(0) lgkmcnt(0)
	v_mul_f32_e32 v117, v117, v118
	s_cbranch_execz .LBB50_270
	s_branch .LBB50_271
.LBB50_269:
                                        ; implicit-def: $vgpr117
.LBB50_270:
	ds_read_b32 v117, v104
.LBB50_271:
	s_and_saveexec_b64 s[12:13], s[6:7]
	s_cbranch_execz .LBB50_275
; %bb.272:
	v_mov_b32_e32 v118, 0
	v_add_u32_e32 v118, 0x5c, v118
	v_subrev_u32_e32 v119, 23, v0
	s_movk_i32 s14, 0x12c
	s_mov_b64 s[6:7], 0
.LBB50_273:                             ; =>This Inner Loop Header: Depth=1
	buffer_load_dword v120, v118, s[0:3], 0 offen
	v_mov_b32_e32 v121, s14
	ds_read_b32 v121, v121
	v_add_u32_e32 v119, -1, v119
	s_add_i32 s14, s14, 4
	v_cmp_eq_u32_e32 vcc, 0, v119
	v_add_u32_e32 v118, 4, v118
	s_or_b64 s[6:7], vcc, s[6:7]
	s_waitcnt vmcnt(0) lgkmcnt(0)
	v_fmac_f32_e32 v117, v120, v121
	s_andn2_b64 exec, exec, s[6:7]
	s_cbranch_execnz .LBB50_273
; %bb.274:
	s_or_b64 exec, exec, s[6:7]
.LBB50_275:
	s_or_b64 exec, exec, s[12:13]
	v_mov_b32_e32 v118, 0
	ds_read_b32 v118, v118 offset:88
	s_waitcnt lgkmcnt(0)
	v_mul_f32_e32 v117, v117, v118
	buffer_store_dword v117, off, s[0:3], 0 offset:88
.LBB50_276:
	s_or_b64 exec, exec, s[8:9]
	buffer_load_dword v117, off, s[0:3], 0 offset:84
	v_cmp_lt_u32_e64 s[6:7], 21, v0
	s_waitcnt vmcnt(0)
	ds_write_b32 v104, v117
	s_waitcnt lgkmcnt(0)
	; wave barrier
	s_waitcnt lgkmcnt(0)
	s_and_saveexec_b64 s[8:9], s[6:7]
	s_cbranch_execz .LBB50_286
; %bb.277:
	s_andn2_b64 vcc, exec, s[10:11]
	s_cbranch_vccnz .LBB50_279
; %bb.278:
	buffer_load_dword v117, v105, s[0:3], 0 offen
	ds_read_b32 v118, v104
	s_waitcnt vmcnt(0) lgkmcnt(0)
	v_mul_f32_e32 v117, v117, v118
	s_cbranch_execz .LBB50_280
	s_branch .LBB50_281
.LBB50_279:
                                        ; implicit-def: $vgpr117
.LBB50_280:
	ds_read_b32 v117, v104
.LBB50_281:
	s_and_saveexec_b64 s[12:13], s[4:5]
	s_cbranch_execz .LBB50_285
; %bb.282:
	v_subrev_u32_e32 v118, 22, v0
	s_movk_i32 s14, 0x128
	s_mov_b64 s[4:5], 0
.LBB50_283:                             ; =>This Inner Loop Header: Depth=1
	buffer_load_dword v119, v116, s[0:3], 0 offen
	v_mov_b32_e32 v120, s14
	ds_read_b32 v120, v120
	v_add_u32_e32 v118, -1, v118
	s_add_i32 s14, s14, 4
	v_cmp_eq_u32_e32 vcc, 0, v118
	v_add_u32_e32 v116, 4, v116
	s_or_b64 s[4:5], vcc, s[4:5]
	s_waitcnt vmcnt(0) lgkmcnt(0)
	v_fmac_f32_e32 v117, v119, v120
	s_andn2_b64 exec, exec, s[4:5]
	s_cbranch_execnz .LBB50_283
; %bb.284:
	s_or_b64 exec, exec, s[4:5]
.LBB50_285:
	s_or_b64 exec, exec, s[12:13]
	v_mov_b32_e32 v116, 0
	ds_read_b32 v116, v116 offset:84
	s_waitcnt lgkmcnt(0)
	v_mul_f32_e32 v116, v117, v116
	buffer_store_dword v116, off, s[0:3], 0 offset:84
.LBB50_286:
	s_or_b64 exec, exec, s[8:9]
	buffer_load_dword v116, off, s[0:3], 0 offset:80
	v_cmp_lt_u32_e64 s[4:5], 20, v0
	s_waitcnt vmcnt(0)
	ds_write_b32 v104, v116
	s_waitcnt lgkmcnt(0)
	; wave barrier
	s_waitcnt lgkmcnt(0)
	s_and_saveexec_b64 s[8:9], s[4:5]
	s_cbranch_execz .LBB50_296
; %bb.287:
	s_andn2_b64 vcc, exec, s[10:11]
	s_cbranch_vccnz .LBB50_289
; %bb.288:
	buffer_load_dword v116, v105, s[0:3], 0 offen
	ds_read_b32 v117, v104
	s_waitcnt vmcnt(0) lgkmcnt(0)
	v_mul_f32_e32 v116, v116, v117
	s_cbranch_execz .LBB50_290
	s_branch .LBB50_291
.LBB50_289:
                                        ; implicit-def: $vgpr116
.LBB50_290:
	ds_read_b32 v116, v104
.LBB50_291:
	s_and_saveexec_b64 s[12:13], s[6:7]
	s_cbranch_execz .LBB50_295
; %bb.292:
	v_mov_b32_e32 v117, 0
	v_add_u32_e32 v117, 0x54, v117
	v_subrev_u32_e32 v118, 21, v0
	s_movk_i32 s14, 0x124
	s_mov_b64 s[6:7], 0
.LBB50_293:                             ; =>This Inner Loop Header: Depth=1
	buffer_load_dword v119, v117, s[0:3], 0 offen
	v_mov_b32_e32 v120, s14
	ds_read_b32 v120, v120
	v_add_u32_e32 v118, -1, v118
	s_add_i32 s14, s14, 4
	v_cmp_eq_u32_e32 vcc, 0, v118
	v_add_u32_e32 v117, 4, v117
	s_or_b64 s[6:7], vcc, s[6:7]
	s_waitcnt vmcnt(0) lgkmcnt(0)
	v_fmac_f32_e32 v116, v119, v120
	s_andn2_b64 exec, exec, s[6:7]
	s_cbranch_execnz .LBB50_293
; %bb.294:
	s_or_b64 exec, exec, s[6:7]
.LBB50_295:
	s_or_b64 exec, exec, s[12:13]
	v_mov_b32_e32 v117, 0
	ds_read_b32 v117, v117 offset:80
	s_waitcnt lgkmcnt(0)
	v_mul_f32_e32 v116, v116, v117
	buffer_store_dword v116, off, s[0:3], 0 offset:80
.LBB50_296:
	s_or_b64 exec, exec, s[8:9]
	buffer_load_dword v116, off, s[0:3], 0 offset:76
	v_cmp_lt_u32_e64 s[6:7], 19, v0
	s_waitcnt vmcnt(0)
	ds_write_b32 v104, v116
	s_waitcnt lgkmcnt(0)
	; wave barrier
	s_waitcnt lgkmcnt(0)
	s_and_saveexec_b64 s[8:9], s[6:7]
	s_cbranch_execz .LBB50_306
; %bb.297:
	s_andn2_b64 vcc, exec, s[10:11]
	s_cbranch_vccnz .LBB50_299
; %bb.298:
	buffer_load_dword v116, v105, s[0:3], 0 offen
	ds_read_b32 v117, v104
	s_waitcnt vmcnt(0) lgkmcnt(0)
	v_mul_f32_e32 v116, v116, v117
	s_cbranch_execz .LBB50_300
	s_branch .LBB50_301
.LBB50_299:
                                        ; implicit-def: $vgpr116
.LBB50_300:
	ds_read_b32 v116, v104
.LBB50_301:
	s_and_saveexec_b64 s[12:13], s[4:5]
	s_cbranch_execz .LBB50_305
; %bb.302:
	v_subrev_u32_e32 v117, 20, v0
	s_movk_i32 s14, 0x120
	s_mov_b64 s[4:5], 0
.LBB50_303:                             ; =>This Inner Loop Header: Depth=1
	buffer_load_dword v118, v115, s[0:3], 0 offen
	v_mov_b32_e32 v119, s14
	ds_read_b32 v119, v119
	v_add_u32_e32 v117, -1, v117
	s_add_i32 s14, s14, 4
	v_cmp_eq_u32_e32 vcc, 0, v117
	v_add_u32_e32 v115, 4, v115
	s_or_b64 s[4:5], vcc, s[4:5]
	s_waitcnt vmcnt(0) lgkmcnt(0)
	v_fmac_f32_e32 v116, v118, v119
	s_andn2_b64 exec, exec, s[4:5]
	s_cbranch_execnz .LBB50_303
; %bb.304:
	s_or_b64 exec, exec, s[4:5]
.LBB50_305:
	s_or_b64 exec, exec, s[12:13]
	v_mov_b32_e32 v115, 0
	ds_read_b32 v115, v115 offset:76
	s_waitcnt lgkmcnt(0)
	v_mul_f32_e32 v115, v116, v115
	buffer_store_dword v115, off, s[0:3], 0 offset:76
.LBB50_306:
	s_or_b64 exec, exec, s[8:9]
	buffer_load_dword v115, off, s[0:3], 0 offset:72
	v_cmp_lt_u32_e64 s[4:5], 18, v0
	s_waitcnt vmcnt(0)
	ds_write_b32 v104, v115
	s_waitcnt lgkmcnt(0)
	; wave barrier
	s_waitcnt lgkmcnt(0)
	s_and_saveexec_b64 s[8:9], s[4:5]
	s_cbranch_execz .LBB50_316
; %bb.307:
	s_andn2_b64 vcc, exec, s[10:11]
	s_cbranch_vccnz .LBB50_309
; %bb.308:
	buffer_load_dword v115, v105, s[0:3], 0 offen
	ds_read_b32 v116, v104
	s_waitcnt vmcnt(0) lgkmcnt(0)
	v_mul_f32_e32 v115, v115, v116
	s_cbranch_execz .LBB50_310
	s_branch .LBB50_311
.LBB50_309:
                                        ; implicit-def: $vgpr115
.LBB50_310:
	ds_read_b32 v115, v104
.LBB50_311:
	s_and_saveexec_b64 s[12:13], s[6:7]
	s_cbranch_execz .LBB50_315
; %bb.312:
	v_mov_b32_e32 v116, 0
	v_add_u32_e32 v116, 0x4c, v116
	v_subrev_u32_e32 v117, 19, v0
	s_movk_i32 s14, 0x11c
	s_mov_b64 s[6:7], 0
.LBB50_313:                             ; =>This Inner Loop Header: Depth=1
	buffer_load_dword v118, v116, s[0:3], 0 offen
	v_mov_b32_e32 v119, s14
	ds_read_b32 v119, v119
	v_add_u32_e32 v117, -1, v117
	s_add_i32 s14, s14, 4
	v_cmp_eq_u32_e32 vcc, 0, v117
	v_add_u32_e32 v116, 4, v116
	s_or_b64 s[6:7], vcc, s[6:7]
	s_waitcnt vmcnt(0) lgkmcnt(0)
	v_fmac_f32_e32 v115, v118, v119
	s_andn2_b64 exec, exec, s[6:7]
	s_cbranch_execnz .LBB50_313
; %bb.314:
	s_or_b64 exec, exec, s[6:7]
.LBB50_315:
	s_or_b64 exec, exec, s[12:13]
	v_mov_b32_e32 v116, 0
	ds_read_b32 v116, v116 offset:72
	s_waitcnt lgkmcnt(0)
	v_mul_f32_e32 v115, v115, v116
	buffer_store_dword v115, off, s[0:3], 0 offset:72
.LBB50_316:
	s_or_b64 exec, exec, s[8:9]
	buffer_load_dword v115, off, s[0:3], 0 offset:68
	v_cmp_lt_u32_e64 s[6:7], 17, v0
	s_waitcnt vmcnt(0)
	ds_write_b32 v104, v115
	s_waitcnt lgkmcnt(0)
	; wave barrier
	s_waitcnt lgkmcnt(0)
	s_and_saveexec_b64 s[8:9], s[6:7]
	s_cbranch_execz .LBB50_326
; %bb.317:
	s_andn2_b64 vcc, exec, s[10:11]
	s_cbranch_vccnz .LBB50_319
; %bb.318:
	buffer_load_dword v115, v105, s[0:3], 0 offen
	ds_read_b32 v116, v104
	s_waitcnt vmcnt(0) lgkmcnt(0)
	v_mul_f32_e32 v115, v115, v116
	s_cbranch_execz .LBB50_320
	s_branch .LBB50_321
.LBB50_319:
                                        ; implicit-def: $vgpr115
.LBB50_320:
	ds_read_b32 v115, v104
.LBB50_321:
	s_and_saveexec_b64 s[12:13], s[4:5]
	s_cbranch_execz .LBB50_325
; %bb.322:
	v_subrev_u32_e32 v116, 18, v0
	s_movk_i32 s14, 0x118
	s_mov_b64 s[4:5], 0
.LBB50_323:                             ; =>This Inner Loop Header: Depth=1
	buffer_load_dword v117, v114, s[0:3], 0 offen
	v_mov_b32_e32 v118, s14
	ds_read_b32 v118, v118
	v_add_u32_e32 v116, -1, v116
	s_add_i32 s14, s14, 4
	v_cmp_eq_u32_e32 vcc, 0, v116
	v_add_u32_e32 v114, 4, v114
	s_or_b64 s[4:5], vcc, s[4:5]
	s_waitcnt vmcnt(0) lgkmcnt(0)
	v_fmac_f32_e32 v115, v117, v118
	s_andn2_b64 exec, exec, s[4:5]
	s_cbranch_execnz .LBB50_323
; %bb.324:
	s_or_b64 exec, exec, s[4:5]
.LBB50_325:
	s_or_b64 exec, exec, s[12:13]
	v_mov_b32_e32 v114, 0
	ds_read_b32 v114, v114 offset:68
	s_waitcnt lgkmcnt(0)
	v_mul_f32_e32 v114, v115, v114
	buffer_store_dword v114, off, s[0:3], 0 offset:68
.LBB50_326:
	s_or_b64 exec, exec, s[8:9]
	buffer_load_dword v114, off, s[0:3], 0 offset:64
	v_cmp_lt_u32_e64 s[4:5], 16, v0
	s_waitcnt vmcnt(0)
	ds_write_b32 v104, v114
	s_waitcnt lgkmcnt(0)
	; wave barrier
	s_waitcnt lgkmcnt(0)
	s_and_saveexec_b64 s[8:9], s[4:5]
	s_cbranch_execz .LBB50_336
; %bb.327:
	s_andn2_b64 vcc, exec, s[10:11]
	s_cbranch_vccnz .LBB50_329
; %bb.328:
	buffer_load_dword v114, v105, s[0:3], 0 offen
	ds_read_b32 v115, v104
	s_waitcnt vmcnt(0) lgkmcnt(0)
	v_mul_f32_e32 v114, v114, v115
	s_cbranch_execz .LBB50_330
	s_branch .LBB50_331
.LBB50_329:
                                        ; implicit-def: $vgpr114
.LBB50_330:
	ds_read_b32 v114, v104
.LBB50_331:
	s_and_saveexec_b64 s[12:13], s[6:7]
	s_cbranch_execz .LBB50_335
; %bb.332:
	v_mov_b32_e32 v115, 0
	v_add_u32_e32 v115, 0x44, v115
	v_subrev_u32_e32 v116, 17, v0
	s_movk_i32 s14, 0x114
	s_mov_b64 s[6:7], 0
.LBB50_333:                             ; =>This Inner Loop Header: Depth=1
	buffer_load_dword v117, v115, s[0:3], 0 offen
	v_mov_b32_e32 v118, s14
	ds_read_b32 v118, v118
	v_add_u32_e32 v116, -1, v116
	s_add_i32 s14, s14, 4
	v_cmp_eq_u32_e32 vcc, 0, v116
	v_add_u32_e32 v115, 4, v115
	s_or_b64 s[6:7], vcc, s[6:7]
	s_waitcnt vmcnt(0) lgkmcnt(0)
	v_fmac_f32_e32 v114, v117, v118
	s_andn2_b64 exec, exec, s[6:7]
	s_cbranch_execnz .LBB50_333
; %bb.334:
	s_or_b64 exec, exec, s[6:7]
.LBB50_335:
	s_or_b64 exec, exec, s[12:13]
	v_mov_b32_e32 v115, 0
	ds_read_b32 v115, v115 offset:64
	s_waitcnt lgkmcnt(0)
	v_mul_f32_e32 v114, v114, v115
	buffer_store_dword v114, off, s[0:3], 0 offset:64
.LBB50_336:
	s_or_b64 exec, exec, s[8:9]
	buffer_load_dword v114, off, s[0:3], 0 offset:60
	v_cmp_lt_u32_e64 s[6:7], 15, v0
	s_waitcnt vmcnt(0)
	ds_write_b32 v104, v114
	s_waitcnt lgkmcnt(0)
	; wave barrier
	s_waitcnt lgkmcnt(0)
	s_and_saveexec_b64 s[8:9], s[6:7]
	s_cbranch_execz .LBB50_346
; %bb.337:
	s_andn2_b64 vcc, exec, s[10:11]
	s_cbranch_vccnz .LBB50_339
; %bb.338:
	buffer_load_dword v114, v105, s[0:3], 0 offen
	ds_read_b32 v115, v104
	s_waitcnt vmcnt(0) lgkmcnt(0)
	v_mul_f32_e32 v114, v114, v115
	s_cbranch_execz .LBB50_340
	s_branch .LBB50_341
.LBB50_339:
                                        ; implicit-def: $vgpr114
.LBB50_340:
	ds_read_b32 v114, v104
.LBB50_341:
	s_and_saveexec_b64 s[12:13], s[4:5]
	s_cbranch_execz .LBB50_345
; %bb.342:
	v_add_u32_e32 v115, -16, v0
	s_movk_i32 s14, 0x110
	s_mov_b64 s[4:5], 0
.LBB50_343:                             ; =>This Inner Loop Header: Depth=1
	buffer_load_dword v116, v113, s[0:3], 0 offen
	v_mov_b32_e32 v117, s14
	ds_read_b32 v117, v117
	v_add_u32_e32 v115, -1, v115
	s_add_i32 s14, s14, 4
	v_cmp_eq_u32_e32 vcc, 0, v115
	v_add_u32_e32 v113, 4, v113
	s_or_b64 s[4:5], vcc, s[4:5]
	s_waitcnt vmcnt(0) lgkmcnt(0)
	v_fmac_f32_e32 v114, v116, v117
	s_andn2_b64 exec, exec, s[4:5]
	s_cbranch_execnz .LBB50_343
; %bb.344:
	s_or_b64 exec, exec, s[4:5]
.LBB50_345:
	s_or_b64 exec, exec, s[12:13]
	v_mov_b32_e32 v113, 0
	ds_read_b32 v113, v113 offset:60
	s_waitcnt lgkmcnt(0)
	v_mul_f32_e32 v113, v114, v113
	buffer_store_dword v113, off, s[0:3], 0 offset:60
.LBB50_346:
	s_or_b64 exec, exec, s[8:9]
	buffer_load_dword v113, off, s[0:3], 0 offset:56
	v_cmp_lt_u32_e64 s[4:5], 14, v0
	s_waitcnt vmcnt(0)
	ds_write_b32 v104, v113
	s_waitcnt lgkmcnt(0)
	; wave barrier
	s_waitcnt lgkmcnt(0)
	s_and_saveexec_b64 s[8:9], s[4:5]
	s_cbranch_execz .LBB50_356
; %bb.347:
	s_andn2_b64 vcc, exec, s[10:11]
	s_cbranch_vccnz .LBB50_349
; %bb.348:
	buffer_load_dword v113, v105, s[0:3], 0 offen
	ds_read_b32 v114, v104
	s_waitcnt vmcnt(0) lgkmcnt(0)
	v_mul_f32_e32 v113, v113, v114
	s_cbranch_execz .LBB50_350
	s_branch .LBB50_351
.LBB50_349:
                                        ; implicit-def: $vgpr113
.LBB50_350:
	ds_read_b32 v113, v104
.LBB50_351:
	s_and_saveexec_b64 s[12:13], s[6:7]
	s_cbranch_execz .LBB50_355
; %bb.352:
	v_mov_b32_e32 v114, 0
	v_add_u32_e32 v114, 60, v114
	v_add_u32_e32 v115, -15, v0
	s_movk_i32 s14, 0x10c
	s_mov_b64 s[6:7], 0
.LBB50_353:                             ; =>This Inner Loop Header: Depth=1
	buffer_load_dword v116, v114, s[0:3], 0 offen
	v_mov_b32_e32 v117, s14
	ds_read_b32 v117, v117
	v_add_u32_e32 v115, -1, v115
	s_add_i32 s14, s14, 4
	v_cmp_eq_u32_e32 vcc, 0, v115
	v_add_u32_e32 v114, 4, v114
	s_or_b64 s[6:7], vcc, s[6:7]
	s_waitcnt vmcnt(0) lgkmcnt(0)
	v_fmac_f32_e32 v113, v116, v117
	s_andn2_b64 exec, exec, s[6:7]
	s_cbranch_execnz .LBB50_353
; %bb.354:
	s_or_b64 exec, exec, s[6:7]
.LBB50_355:
	s_or_b64 exec, exec, s[12:13]
	v_mov_b32_e32 v114, 0
	ds_read_b32 v114, v114 offset:56
	s_waitcnt lgkmcnt(0)
	v_mul_f32_e32 v113, v113, v114
	buffer_store_dword v113, off, s[0:3], 0 offset:56
.LBB50_356:
	s_or_b64 exec, exec, s[8:9]
	buffer_load_dword v113, off, s[0:3], 0 offset:52
	v_cmp_lt_u32_e64 s[6:7], 13, v0
	s_waitcnt vmcnt(0)
	ds_write_b32 v104, v113
	s_waitcnt lgkmcnt(0)
	; wave barrier
	s_waitcnt lgkmcnt(0)
	s_and_saveexec_b64 s[8:9], s[6:7]
	s_cbranch_execz .LBB50_366
; %bb.357:
	s_andn2_b64 vcc, exec, s[10:11]
	s_cbranch_vccnz .LBB50_359
; %bb.358:
	buffer_load_dword v113, v105, s[0:3], 0 offen
	ds_read_b32 v114, v104
	s_waitcnt vmcnt(0) lgkmcnt(0)
	v_mul_f32_e32 v113, v113, v114
	s_cbranch_execz .LBB50_360
	s_branch .LBB50_361
.LBB50_359:
                                        ; implicit-def: $vgpr113
.LBB50_360:
	ds_read_b32 v113, v104
.LBB50_361:
	s_and_saveexec_b64 s[12:13], s[4:5]
	s_cbranch_execz .LBB50_365
; %bb.362:
	v_add_u32_e32 v114, -14, v0
	s_movk_i32 s14, 0x108
	s_mov_b64 s[4:5], 0
.LBB50_363:                             ; =>This Inner Loop Header: Depth=1
	buffer_load_dword v115, v112, s[0:3], 0 offen
	v_mov_b32_e32 v116, s14
	ds_read_b32 v116, v116
	v_add_u32_e32 v114, -1, v114
	s_add_i32 s14, s14, 4
	v_cmp_eq_u32_e32 vcc, 0, v114
	v_add_u32_e32 v112, 4, v112
	s_or_b64 s[4:5], vcc, s[4:5]
	s_waitcnt vmcnt(0) lgkmcnt(0)
	v_fmac_f32_e32 v113, v115, v116
	s_andn2_b64 exec, exec, s[4:5]
	s_cbranch_execnz .LBB50_363
; %bb.364:
	s_or_b64 exec, exec, s[4:5]
.LBB50_365:
	s_or_b64 exec, exec, s[12:13]
	v_mov_b32_e32 v112, 0
	ds_read_b32 v112, v112 offset:52
	s_waitcnt lgkmcnt(0)
	v_mul_f32_e32 v112, v113, v112
	buffer_store_dword v112, off, s[0:3], 0 offset:52
.LBB50_366:
	s_or_b64 exec, exec, s[8:9]
	buffer_load_dword v112, off, s[0:3], 0 offset:48
	v_cmp_lt_u32_e64 s[4:5], 12, v0
	s_waitcnt vmcnt(0)
	ds_write_b32 v104, v112
	s_waitcnt lgkmcnt(0)
	; wave barrier
	s_waitcnt lgkmcnt(0)
	s_and_saveexec_b64 s[8:9], s[4:5]
	s_cbranch_execz .LBB50_376
; %bb.367:
	s_andn2_b64 vcc, exec, s[10:11]
	s_cbranch_vccnz .LBB50_369
; %bb.368:
	buffer_load_dword v112, v105, s[0:3], 0 offen
	ds_read_b32 v113, v104
	s_waitcnt vmcnt(0) lgkmcnt(0)
	v_mul_f32_e32 v112, v112, v113
	s_cbranch_execz .LBB50_370
	s_branch .LBB50_371
.LBB50_369:
                                        ; implicit-def: $vgpr112
.LBB50_370:
	ds_read_b32 v112, v104
.LBB50_371:
	s_and_saveexec_b64 s[12:13], s[6:7]
	s_cbranch_execz .LBB50_375
; %bb.372:
	v_mov_b32_e32 v113, 0
	v_add_u32_e32 v113, 52, v113
	v_add_u32_e32 v114, -13, v0
	s_movk_i32 s14, 0x104
	s_mov_b64 s[6:7], 0
.LBB50_373:                             ; =>This Inner Loop Header: Depth=1
	buffer_load_dword v115, v113, s[0:3], 0 offen
	v_mov_b32_e32 v116, s14
	ds_read_b32 v116, v116
	v_add_u32_e32 v114, -1, v114
	s_add_i32 s14, s14, 4
	v_cmp_eq_u32_e32 vcc, 0, v114
	v_add_u32_e32 v113, 4, v113
	s_or_b64 s[6:7], vcc, s[6:7]
	s_waitcnt vmcnt(0) lgkmcnt(0)
	v_fmac_f32_e32 v112, v115, v116
	s_andn2_b64 exec, exec, s[6:7]
	s_cbranch_execnz .LBB50_373
; %bb.374:
	s_or_b64 exec, exec, s[6:7]
.LBB50_375:
	s_or_b64 exec, exec, s[12:13]
	v_mov_b32_e32 v113, 0
	ds_read_b32 v113, v113 offset:48
	s_waitcnt lgkmcnt(0)
	v_mul_f32_e32 v112, v112, v113
	buffer_store_dword v112, off, s[0:3], 0 offset:48
.LBB50_376:
	s_or_b64 exec, exec, s[8:9]
	buffer_load_dword v112, off, s[0:3], 0 offset:44
	v_cmp_lt_u32_e64 s[6:7], 11, v0
	s_waitcnt vmcnt(0)
	ds_write_b32 v104, v112
	s_waitcnt lgkmcnt(0)
	; wave barrier
	s_waitcnt lgkmcnt(0)
	s_and_saveexec_b64 s[8:9], s[6:7]
	s_cbranch_execz .LBB50_386
; %bb.377:
	s_andn2_b64 vcc, exec, s[10:11]
	s_cbranch_vccnz .LBB50_379
; %bb.378:
	buffer_load_dword v112, v105, s[0:3], 0 offen
	ds_read_b32 v113, v104
	s_waitcnt vmcnt(0) lgkmcnt(0)
	v_mul_f32_e32 v112, v112, v113
	s_cbranch_execz .LBB50_380
	s_branch .LBB50_381
.LBB50_379:
                                        ; implicit-def: $vgpr112
.LBB50_380:
	ds_read_b32 v112, v104
.LBB50_381:
	s_and_saveexec_b64 s[12:13], s[4:5]
	s_cbranch_execz .LBB50_385
; %bb.382:
	v_add_u32_e32 v113, -12, v0
	s_movk_i32 s14, 0x100
	s_mov_b64 s[4:5], 0
.LBB50_383:                             ; =>This Inner Loop Header: Depth=1
	buffer_load_dword v114, v111, s[0:3], 0 offen
	v_mov_b32_e32 v115, s14
	ds_read_b32 v115, v115
	v_add_u32_e32 v113, -1, v113
	s_add_i32 s14, s14, 4
	v_cmp_eq_u32_e32 vcc, 0, v113
	v_add_u32_e32 v111, 4, v111
	s_or_b64 s[4:5], vcc, s[4:5]
	s_waitcnt vmcnt(0) lgkmcnt(0)
	v_fmac_f32_e32 v112, v114, v115
	s_andn2_b64 exec, exec, s[4:5]
	s_cbranch_execnz .LBB50_383
; %bb.384:
	s_or_b64 exec, exec, s[4:5]
.LBB50_385:
	s_or_b64 exec, exec, s[12:13]
	v_mov_b32_e32 v111, 0
	ds_read_b32 v111, v111 offset:44
	s_waitcnt lgkmcnt(0)
	v_mul_f32_e32 v111, v112, v111
	buffer_store_dword v111, off, s[0:3], 0 offset:44
.LBB50_386:
	s_or_b64 exec, exec, s[8:9]
	buffer_load_dword v111, off, s[0:3], 0 offset:40
	v_cmp_lt_u32_e64 s[4:5], 10, v0
	s_waitcnt vmcnt(0)
	ds_write_b32 v104, v111
	s_waitcnt lgkmcnt(0)
	; wave barrier
	s_waitcnt lgkmcnt(0)
	s_and_saveexec_b64 s[8:9], s[4:5]
	s_cbranch_execz .LBB50_396
; %bb.387:
	s_andn2_b64 vcc, exec, s[10:11]
	s_cbranch_vccnz .LBB50_389
; %bb.388:
	buffer_load_dword v111, v105, s[0:3], 0 offen
	ds_read_b32 v112, v104
	s_waitcnt vmcnt(0) lgkmcnt(0)
	v_mul_f32_e32 v111, v111, v112
	s_cbranch_execz .LBB50_390
	s_branch .LBB50_391
.LBB50_389:
                                        ; implicit-def: $vgpr111
.LBB50_390:
	ds_read_b32 v111, v104
.LBB50_391:
	s_and_saveexec_b64 s[12:13], s[6:7]
	s_cbranch_execz .LBB50_395
; %bb.392:
	v_mov_b32_e32 v112, 0
	v_add_u32_e32 v112, 44, v112
	v_add_u32_e32 v113, -11, v0
	s_movk_i32 s14, 0xfc
	s_mov_b64 s[6:7], 0
.LBB50_393:                             ; =>This Inner Loop Header: Depth=1
	buffer_load_dword v114, v112, s[0:3], 0 offen
	v_mov_b32_e32 v115, s14
	ds_read_b32 v115, v115
	v_add_u32_e32 v113, -1, v113
	s_add_i32 s14, s14, 4
	v_cmp_eq_u32_e32 vcc, 0, v113
	v_add_u32_e32 v112, 4, v112
	s_or_b64 s[6:7], vcc, s[6:7]
	s_waitcnt vmcnt(0) lgkmcnt(0)
	v_fmac_f32_e32 v111, v114, v115
	s_andn2_b64 exec, exec, s[6:7]
	s_cbranch_execnz .LBB50_393
; %bb.394:
	s_or_b64 exec, exec, s[6:7]
.LBB50_395:
	s_or_b64 exec, exec, s[12:13]
	v_mov_b32_e32 v112, 0
	ds_read_b32 v112, v112 offset:40
	s_waitcnt lgkmcnt(0)
	v_mul_f32_e32 v111, v111, v112
	buffer_store_dword v111, off, s[0:3], 0 offset:40
.LBB50_396:
	s_or_b64 exec, exec, s[8:9]
	buffer_load_dword v111, off, s[0:3], 0 offset:36
	v_cmp_lt_u32_e64 s[6:7], 9, v0
	s_waitcnt vmcnt(0)
	ds_write_b32 v104, v111
	s_waitcnt lgkmcnt(0)
	; wave barrier
	s_waitcnt lgkmcnt(0)
	s_and_saveexec_b64 s[8:9], s[6:7]
	s_cbranch_execz .LBB50_406
; %bb.397:
	s_andn2_b64 vcc, exec, s[10:11]
	s_cbranch_vccnz .LBB50_399
; %bb.398:
	buffer_load_dword v111, v105, s[0:3], 0 offen
	ds_read_b32 v112, v104
	s_waitcnt vmcnt(0) lgkmcnt(0)
	v_mul_f32_e32 v111, v111, v112
	s_cbranch_execz .LBB50_400
	s_branch .LBB50_401
.LBB50_399:
                                        ; implicit-def: $vgpr111
.LBB50_400:
	ds_read_b32 v111, v104
.LBB50_401:
	s_and_saveexec_b64 s[12:13], s[4:5]
	s_cbranch_execz .LBB50_405
; %bb.402:
	v_add_u32_e32 v112, -10, v0
	s_movk_i32 s14, 0xf8
	s_mov_b64 s[4:5], 0
.LBB50_403:                             ; =>This Inner Loop Header: Depth=1
	buffer_load_dword v113, v110, s[0:3], 0 offen
	v_mov_b32_e32 v114, s14
	ds_read_b32 v114, v114
	v_add_u32_e32 v112, -1, v112
	s_add_i32 s14, s14, 4
	v_cmp_eq_u32_e32 vcc, 0, v112
	v_add_u32_e32 v110, 4, v110
	s_or_b64 s[4:5], vcc, s[4:5]
	s_waitcnt vmcnt(0) lgkmcnt(0)
	v_fmac_f32_e32 v111, v113, v114
	s_andn2_b64 exec, exec, s[4:5]
	s_cbranch_execnz .LBB50_403
; %bb.404:
	s_or_b64 exec, exec, s[4:5]
.LBB50_405:
	s_or_b64 exec, exec, s[12:13]
	v_mov_b32_e32 v110, 0
	ds_read_b32 v110, v110 offset:36
	s_waitcnt lgkmcnt(0)
	v_mul_f32_e32 v110, v111, v110
	buffer_store_dword v110, off, s[0:3], 0 offset:36
.LBB50_406:
	s_or_b64 exec, exec, s[8:9]
	buffer_load_dword v110, off, s[0:3], 0 offset:32
	v_cmp_lt_u32_e64 s[4:5], 8, v0
	s_waitcnt vmcnt(0)
	ds_write_b32 v104, v110
	s_waitcnt lgkmcnt(0)
	; wave barrier
	s_waitcnt lgkmcnt(0)
	s_and_saveexec_b64 s[8:9], s[4:5]
	s_cbranch_execz .LBB50_416
; %bb.407:
	s_andn2_b64 vcc, exec, s[10:11]
	s_cbranch_vccnz .LBB50_409
; %bb.408:
	buffer_load_dword v110, v105, s[0:3], 0 offen
	ds_read_b32 v111, v104
	s_waitcnt vmcnt(0) lgkmcnt(0)
	v_mul_f32_e32 v110, v110, v111
	s_cbranch_execz .LBB50_410
	s_branch .LBB50_411
.LBB50_409:
                                        ; implicit-def: $vgpr110
.LBB50_410:
	ds_read_b32 v110, v104
.LBB50_411:
	s_and_saveexec_b64 s[12:13], s[6:7]
	s_cbranch_execz .LBB50_415
; %bb.412:
	v_mov_b32_e32 v111, 0
	v_add_u32_e32 v111, 36, v111
	v_add_u32_e32 v112, -9, v0
	s_movk_i32 s14, 0xf4
	s_mov_b64 s[6:7], 0
.LBB50_413:                             ; =>This Inner Loop Header: Depth=1
	buffer_load_dword v113, v111, s[0:3], 0 offen
	v_mov_b32_e32 v114, s14
	ds_read_b32 v114, v114
	v_add_u32_e32 v112, -1, v112
	s_add_i32 s14, s14, 4
	v_cmp_eq_u32_e32 vcc, 0, v112
	v_add_u32_e32 v111, 4, v111
	s_or_b64 s[6:7], vcc, s[6:7]
	s_waitcnt vmcnt(0) lgkmcnt(0)
	v_fmac_f32_e32 v110, v113, v114
	s_andn2_b64 exec, exec, s[6:7]
	s_cbranch_execnz .LBB50_413
; %bb.414:
	s_or_b64 exec, exec, s[6:7]
.LBB50_415:
	s_or_b64 exec, exec, s[12:13]
	v_mov_b32_e32 v111, 0
	ds_read_b32 v111, v111 offset:32
	s_waitcnt lgkmcnt(0)
	v_mul_f32_e32 v110, v110, v111
	buffer_store_dword v110, off, s[0:3], 0 offset:32
.LBB50_416:
	s_or_b64 exec, exec, s[8:9]
	buffer_load_dword v110, off, s[0:3], 0 offset:28
	v_cmp_lt_u32_e64 s[6:7], 7, v0
	s_waitcnt vmcnt(0)
	ds_write_b32 v104, v110
	s_waitcnt lgkmcnt(0)
	; wave barrier
	s_waitcnt lgkmcnt(0)
	s_and_saveexec_b64 s[8:9], s[6:7]
	s_cbranch_execz .LBB50_426
; %bb.417:
	s_andn2_b64 vcc, exec, s[10:11]
	s_cbranch_vccnz .LBB50_419
; %bb.418:
	buffer_load_dword v110, v105, s[0:3], 0 offen
	ds_read_b32 v111, v104
	s_waitcnt vmcnt(0) lgkmcnt(0)
	v_mul_f32_e32 v110, v110, v111
	s_cbranch_execz .LBB50_420
	s_branch .LBB50_421
.LBB50_419:
                                        ; implicit-def: $vgpr110
.LBB50_420:
	ds_read_b32 v110, v104
.LBB50_421:
	s_and_saveexec_b64 s[12:13], s[4:5]
	s_cbranch_execz .LBB50_425
; %bb.422:
	v_add_u32_e32 v111, -8, v0
	s_movk_i32 s14, 0xf0
	s_mov_b64 s[4:5], 0
.LBB50_423:                             ; =>This Inner Loop Header: Depth=1
	buffer_load_dword v112, v109, s[0:3], 0 offen
	v_mov_b32_e32 v113, s14
	ds_read_b32 v113, v113
	v_add_u32_e32 v111, -1, v111
	s_add_i32 s14, s14, 4
	v_cmp_eq_u32_e32 vcc, 0, v111
	v_add_u32_e32 v109, 4, v109
	s_or_b64 s[4:5], vcc, s[4:5]
	s_waitcnt vmcnt(0) lgkmcnt(0)
	v_fmac_f32_e32 v110, v112, v113
	s_andn2_b64 exec, exec, s[4:5]
	s_cbranch_execnz .LBB50_423
; %bb.424:
	s_or_b64 exec, exec, s[4:5]
.LBB50_425:
	s_or_b64 exec, exec, s[12:13]
	v_mov_b32_e32 v109, 0
	ds_read_b32 v109, v109 offset:28
	s_waitcnt lgkmcnt(0)
	v_mul_f32_e32 v109, v110, v109
	buffer_store_dword v109, off, s[0:3], 0 offset:28
.LBB50_426:
	s_or_b64 exec, exec, s[8:9]
	buffer_load_dword v109, off, s[0:3], 0 offset:24
	v_cmp_lt_u32_e64 s[4:5], 6, v0
	s_waitcnt vmcnt(0)
	ds_write_b32 v104, v109
	s_waitcnt lgkmcnt(0)
	; wave barrier
	s_waitcnt lgkmcnt(0)
	s_and_saveexec_b64 s[8:9], s[4:5]
	s_cbranch_execz .LBB50_436
; %bb.427:
	s_andn2_b64 vcc, exec, s[10:11]
	s_cbranch_vccnz .LBB50_429
; %bb.428:
	buffer_load_dword v109, v105, s[0:3], 0 offen
	ds_read_b32 v110, v104
	s_waitcnt vmcnt(0) lgkmcnt(0)
	v_mul_f32_e32 v109, v109, v110
	s_cbranch_execz .LBB50_430
	s_branch .LBB50_431
.LBB50_429:
                                        ; implicit-def: $vgpr109
.LBB50_430:
	ds_read_b32 v109, v104
.LBB50_431:
	s_and_saveexec_b64 s[12:13], s[6:7]
	s_cbranch_execz .LBB50_435
; %bb.432:
	v_mov_b32_e32 v110, 0
	v_add_u32_e32 v110, 28, v110
	v_add_u32_e32 v111, -7, v0
	s_movk_i32 s14, 0xec
	s_mov_b64 s[6:7], 0
.LBB50_433:                             ; =>This Inner Loop Header: Depth=1
	buffer_load_dword v112, v110, s[0:3], 0 offen
	v_mov_b32_e32 v113, s14
	ds_read_b32 v113, v113
	v_add_u32_e32 v111, -1, v111
	s_add_i32 s14, s14, 4
	v_cmp_eq_u32_e32 vcc, 0, v111
	v_add_u32_e32 v110, 4, v110
	s_or_b64 s[6:7], vcc, s[6:7]
	s_waitcnt vmcnt(0) lgkmcnt(0)
	v_fmac_f32_e32 v109, v112, v113
	s_andn2_b64 exec, exec, s[6:7]
	s_cbranch_execnz .LBB50_433
; %bb.434:
	s_or_b64 exec, exec, s[6:7]
.LBB50_435:
	s_or_b64 exec, exec, s[12:13]
	v_mov_b32_e32 v110, 0
	ds_read_b32 v110, v110 offset:24
	s_waitcnt lgkmcnt(0)
	v_mul_f32_e32 v109, v109, v110
	buffer_store_dword v109, off, s[0:3], 0 offset:24
.LBB50_436:
	s_or_b64 exec, exec, s[8:9]
	buffer_load_dword v109, off, s[0:3], 0 offset:20
	v_cmp_lt_u32_e64 s[6:7], 5, v0
	s_waitcnt vmcnt(0)
	ds_write_b32 v104, v109
	s_waitcnt lgkmcnt(0)
	; wave barrier
	s_waitcnt lgkmcnt(0)
	s_and_saveexec_b64 s[8:9], s[6:7]
	s_cbranch_execz .LBB50_446
; %bb.437:
	s_andn2_b64 vcc, exec, s[10:11]
	s_cbranch_vccnz .LBB50_439
; %bb.438:
	buffer_load_dword v109, v105, s[0:3], 0 offen
	ds_read_b32 v110, v104
	s_waitcnt vmcnt(0) lgkmcnt(0)
	v_mul_f32_e32 v109, v109, v110
	s_cbranch_execz .LBB50_440
	s_branch .LBB50_441
.LBB50_439:
                                        ; implicit-def: $vgpr109
.LBB50_440:
	ds_read_b32 v109, v104
.LBB50_441:
	s_and_saveexec_b64 s[12:13], s[4:5]
	s_cbranch_execz .LBB50_445
; %bb.442:
	v_add_u32_e32 v110, -6, v0
	s_movk_i32 s14, 0xe8
	s_mov_b64 s[4:5], 0
.LBB50_443:                             ; =>This Inner Loop Header: Depth=1
	buffer_load_dword v111, v108, s[0:3], 0 offen
	v_mov_b32_e32 v112, s14
	ds_read_b32 v112, v112
	v_add_u32_e32 v110, -1, v110
	s_add_i32 s14, s14, 4
	v_cmp_eq_u32_e32 vcc, 0, v110
	v_add_u32_e32 v108, 4, v108
	s_or_b64 s[4:5], vcc, s[4:5]
	s_waitcnt vmcnt(0) lgkmcnt(0)
	v_fmac_f32_e32 v109, v111, v112
	s_andn2_b64 exec, exec, s[4:5]
	s_cbranch_execnz .LBB50_443
; %bb.444:
	s_or_b64 exec, exec, s[4:5]
.LBB50_445:
	s_or_b64 exec, exec, s[12:13]
	v_mov_b32_e32 v108, 0
	ds_read_b32 v108, v108 offset:20
	s_waitcnt lgkmcnt(0)
	v_mul_f32_e32 v108, v109, v108
	buffer_store_dword v108, off, s[0:3], 0 offset:20
.LBB50_446:
	s_or_b64 exec, exec, s[8:9]
	buffer_load_dword v108, off, s[0:3], 0 offset:16
	v_cmp_lt_u32_e64 s[4:5], 4, v0
	s_waitcnt vmcnt(0)
	ds_write_b32 v104, v108
	s_waitcnt lgkmcnt(0)
	; wave barrier
	s_waitcnt lgkmcnt(0)
	s_and_saveexec_b64 s[8:9], s[4:5]
	s_cbranch_execz .LBB50_456
; %bb.447:
	s_andn2_b64 vcc, exec, s[10:11]
	s_cbranch_vccnz .LBB50_449
; %bb.448:
	buffer_load_dword v108, v105, s[0:3], 0 offen
	ds_read_b32 v109, v104
	s_waitcnt vmcnt(0) lgkmcnt(0)
	v_mul_f32_e32 v108, v108, v109
	s_cbranch_execz .LBB50_450
	s_branch .LBB50_451
.LBB50_449:
                                        ; implicit-def: $vgpr108
.LBB50_450:
	ds_read_b32 v108, v104
.LBB50_451:
	s_and_saveexec_b64 s[12:13], s[6:7]
	s_cbranch_execz .LBB50_455
; %bb.452:
	v_mov_b32_e32 v109, 0
	v_add_u32_e32 v109, 20, v109
	v_add_u32_e32 v110, -5, v0
	s_movk_i32 s14, 0xe4
	s_mov_b64 s[6:7], 0
.LBB50_453:                             ; =>This Inner Loop Header: Depth=1
	buffer_load_dword v111, v109, s[0:3], 0 offen
	v_mov_b32_e32 v112, s14
	ds_read_b32 v112, v112
	v_add_u32_e32 v110, -1, v110
	s_add_i32 s14, s14, 4
	v_cmp_eq_u32_e32 vcc, 0, v110
	v_add_u32_e32 v109, 4, v109
	s_or_b64 s[6:7], vcc, s[6:7]
	s_waitcnt vmcnt(0) lgkmcnt(0)
	v_fmac_f32_e32 v108, v111, v112
	s_andn2_b64 exec, exec, s[6:7]
	s_cbranch_execnz .LBB50_453
; %bb.454:
	s_or_b64 exec, exec, s[6:7]
.LBB50_455:
	s_or_b64 exec, exec, s[12:13]
	v_mov_b32_e32 v109, 0
	ds_read_b32 v109, v109 offset:16
	s_waitcnt lgkmcnt(0)
	v_mul_f32_e32 v108, v108, v109
	buffer_store_dword v108, off, s[0:3], 0 offset:16
.LBB50_456:
	s_or_b64 exec, exec, s[8:9]
	buffer_load_dword v108, off, s[0:3], 0 offset:12
	v_cmp_lt_u32_e64 s[6:7], 3, v0
	s_waitcnt vmcnt(0)
	ds_write_b32 v104, v108
	s_waitcnt lgkmcnt(0)
	; wave barrier
	s_waitcnt lgkmcnt(0)
	s_and_saveexec_b64 s[8:9], s[6:7]
	s_cbranch_execz .LBB50_466
; %bb.457:
	s_andn2_b64 vcc, exec, s[10:11]
	s_cbranch_vccnz .LBB50_459
; %bb.458:
	buffer_load_dword v108, v105, s[0:3], 0 offen
	ds_read_b32 v109, v104
	s_waitcnt vmcnt(0) lgkmcnt(0)
	v_mul_f32_e32 v108, v108, v109
	s_cbranch_execz .LBB50_460
	s_branch .LBB50_461
.LBB50_459:
                                        ; implicit-def: $vgpr108
.LBB50_460:
	ds_read_b32 v108, v104
.LBB50_461:
	s_and_saveexec_b64 s[12:13], s[4:5]
	s_cbranch_execz .LBB50_465
; %bb.462:
	v_add_u32_e32 v109, -4, v0
	s_movk_i32 s14, 0xe0
	s_mov_b64 s[4:5], 0
.LBB50_463:                             ; =>This Inner Loop Header: Depth=1
	buffer_load_dword v110, v107, s[0:3], 0 offen
	v_mov_b32_e32 v111, s14
	ds_read_b32 v111, v111
	v_add_u32_e32 v109, -1, v109
	s_add_i32 s14, s14, 4
	v_cmp_eq_u32_e32 vcc, 0, v109
	v_add_u32_e32 v107, 4, v107
	s_or_b64 s[4:5], vcc, s[4:5]
	s_waitcnt vmcnt(0) lgkmcnt(0)
	v_fmac_f32_e32 v108, v110, v111
	s_andn2_b64 exec, exec, s[4:5]
	s_cbranch_execnz .LBB50_463
; %bb.464:
	s_or_b64 exec, exec, s[4:5]
.LBB50_465:
	s_or_b64 exec, exec, s[12:13]
	v_mov_b32_e32 v107, 0
	ds_read_b32 v107, v107 offset:12
	s_waitcnt lgkmcnt(0)
	v_mul_f32_e32 v107, v108, v107
	buffer_store_dword v107, off, s[0:3], 0 offset:12
.LBB50_466:
	s_or_b64 exec, exec, s[8:9]
	buffer_load_dword v107, off, s[0:3], 0 offset:8
	v_cmp_lt_u32_e64 s[4:5], 2, v0
	s_waitcnt vmcnt(0)
	ds_write_b32 v104, v107
	s_waitcnt lgkmcnt(0)
	; wave barrier
	s_waitcnt lgkmcnt(0)
	s_and_saveexec_b64 s[8:9], s[4:5]
	s_cbranch_execz .LBB50_476
; %bb.467:
	s_andn2_b64 vcc, exec, s[10:11]
	s_cbranch_vccnz .LBB50_469
; %bb.468:
	buffer_load_dword v107, v105, s[0:3], 0 offen
	ds_read_b32 v108, v104
	s_waitcnt vmcnt(0) lgkmcnt(0)
	v_mul_f32_e32 v107, v107, v108
	s_cbranch_execz .LBB50_470
	s_branch .LBB50_471
.LBB50_469:
                                        ; implicit-def: $vgpr107
.LBB50_470:
	ds_read_b32 v107, v104
.LBB50_471:
	s_and_saveexec_b64 s[12:13], s[6:7]
	s_cbranch_execz .LBB50_475
; %bb.472:
	v_mov_b32_e32 v108, 0
	v_or_b32_e32 v108, 12, v108
	v_add_u32_e32 v109, -3, v0
	s_movk_i32 s14, 0xdc
	s_mov_b64 s[6:7], 0
.LBB50_473:                             ; =>This Inner Loop Header: Depth=1
	buffer_load_dword v110, v108, s[0:3], 0 offen
	v_mov_b32_e32 v111, s14
	ds_read_b32 v111, v111
	v_add_u32_e32 v109, -1, v109
	s_add_i32 s14, s14, 4
	v_cmp_eq_u32_e32 vcc, 0, v109
	v_add_u32_e32 v108, 4, v108
	s_or_b64 s[6:7], vcc, s[6:7]
	s_waitcnt vmcnt(0) lgkmcnt(0)
	v_fmac_f32_e32 v107, v110, v111
	s_andn2_b64 exec, exec, s[6:7]
	s_cbranch_execnz .LBB50_473
; %bb.474:
	s_or_b64 exec, exec, s[6:7]
.LBB50_475:
	s_or_b64 exec, exec, s[12:13]
	v_mov_b32_e32 v108, 0
	ds_read_b32 v108, v108 offset:8
	s_waitcnt lgkmcnt(0)
	v_mul_f32_e32 v107, v107, v108
	buffer_store_dword v107, off, s[0:3], 0 offset:8
.LBB50_476:
	s_or_b64 exec, exec, s[8:9]
	buffer_load_dword v107, off, s[0:3], 0 offset:4
	v_cmp_lt_u32_e64 s[6:7], 1, v0
	s_waitcnt vmcnt(0)
	ds_write_b32 v104, v107
	s_waitcnt lgkmcnt(0)
	; wave barrier
	s_waitcnt lgkmcnt(0)
	s_and_saveexec_b64 s[8:9], s[6:7]
	s_cbranch_execz .LBB50_486
; %bb.477:
	s_andn2_b64 vcc, exec, s[10:11]
	s_cbranch_vccnz .LBB50_479
; %bb.478:
	buffer_load_dword v107, v105, s[0:3], 0 offen
	ds_read_b32 v108, v104
	s_waitcnt vmcnt(0) lgkmcnt(0)
	v_mul_f32_e32 v107, v107, v108
	s_cbranch_execz .LBB50_480
	s_branch .LBB50_481
.LBB50_479:
                                        ; implicit-def: $vgpr107
.LBB50_480:
	ds_read_b32 v107, v104
.LBB50_481:
	s_and_saveexec_b64 s[12:13], s[4:5]
	s_cbranch_execz .LBB50_485
; %bb.482:
	v_add_u32_e32 v108, -2, v0
	s_movk_i32 s14, 0xd8
	s_mov_b64 s[4:5], 0
.LBB50_483:                             ; =>This Inner Loop Header: Depth=1
	buffer_load_dword v109, v106, s[0:3], 0 offen
	v_mov_b32_e32 v110, s14
	ds_read_b32 v110, v110
	v_add_u32_e32 v108, -1, v108
	s_add_i32 s14, s14, 4
	v_cmp_eq_u32_e32 vcc, 0, v108
	v_add_u32_e32 v106, 4, v106
	s_or_b64 s[4:5], vcc, s[4:5]
	s_waitcnt vmcnt(0) lgkmcnt(0)
	v_fmac_f32_e32 v107, v109, v110
	s_andn2_b64 exec, exec, s[4:5]
	s_cbranch_execnz .LBB50_483
; %bb.484:
	s_or_b64 exec, exec, s[4:5]
.LBB50_485:
	s_or_b64 exec, exec, s[12:13]
	v_mov_b32_e32 v106, 0
	ds_read_b32 v106, v106 offset:4
	s_waitcnt lgkmcnt(0)
	v_mul_f32_e32 v106, v107, v106
	buffer_store_dword v106, off, s[0:3], 0 offset:4
.LBB50_486:
	s_or_b64 exec, exec, s[8:9]
	buffer_load_dword v106, off, s[0:3], 0
	v_cmp_ne_u32_e32 vcc, 0, v0
	s_waitcnt vmcnt(0)
	ds_write_b32 v104, v106
	s_waitcnt lgkmcnt(0)
	; wave barrier
	s_waitcnt lgkmcnt(0)
	s_and_saveexec_b64 s[4:5], vcc
	s_cbranch_execz .LBB50_496
; %bb.487:
	s_andn2_b64 vcc, exec, s[10:11]
	s_cbranch_vccnz .LBB50_489
; %bb.488:
	buffer_load_dword v106, v105, s[0:3], 0 offen
	ds_read_b32 v107, v104
	s_waitcnt vmcnt(0) lgkmcnt(0)
	v_mul_f32_e32 v106, v106, v107
	s_cbranch_execz .LBB50_490
	s_branch .LBB50_491
.LBB50_489:
                                        ; implicit-def: $vgpr106
.LBB50_490:
	ds_read_b32 v106, v104
.LBB50_491:
	s_and_saveexec_b64 s[8:9], s[6:7]
	s_cbranch_execz .LBB50_495
; %bb.492:
	v_mov_b32_e32 v107, 0
	v_or_b32_e32 v107, 4, v107
	v_add_u32_e32 v108, -1, v0
	s_movk_i32 s12, 0xd4
	s_mov_b64 s[6:7], 0
.LBB50_493:                             ; =>This Inner Loop Header: Depth=1
	buffer_load_dword v109, v107, s[0:3], 0 offen
	v_mov_b32_e32 v110, s12
	ds_read_b32 v110, v110
	v_add_u32_e32 v108, -1, v108
	s_add_i32 s12, s12, 4
	v_cmp_eq_u32_e32 vcc, 0, v108
	v_add_u32_e32 v107, 4, v107
	s_or_b64 s[6:7], vcc, s[6:7]
	s_waitcnt vmcnt(0) lgkmcnt(0)
	v_fmac_f32_e32 v106, v109, v110
	s_andn2_b64 exec, exec, s[6:7]
	s_cbranch_execnz .LBB50_493
; %bb.494:
	s_or_b64 exec, exec, s[6:7]
.LBB50_495:
	s_or_b64 exec, exec, s[8:9]
	v_mov_b32_e32 v107, 0
	ds_read_b32 v107, v107
	s_waitcnt lgkmcnt(0)
	v_mul_f32_e32 v106, v106, v107
	buffer_store_dword v106, off, s[0:3], 0
.LBB50_496:
	s_or_b64 exec, exec, s[4:5]
	s_mov_b64 s[4:5], 0
.LBB50_497:
	s_and_b64 vcc, exec, s[4:5]
	s_cbranch_vccz .LBB50_991
; %bb.498:
	buffer_load_dword v106, off, s[0:3], 0 offset:4
	v_cmp_eq_u32_e64 s[6:7], 0, v0
	s_waitcnt vmcnt(0)
	ds_write_b32 v104, v106
	s_waitcnt lgkmcnt(0)
	; wave barrier
	s_waitcnt lgkmcnt(0)
	s_and_saveexec_b64 s[4:5], s[6:7]
	s_cbranch_execz .LBB50_504
; %bb.499:
	s_and_b64 vcc, exec, s[10:11]
	s_cbranch_vccz .LBB50_501
; %bb.500:
	buffer_load_dword v106, v105, s[0:3], 0 offen
	ds_read_b32 v107, v104
	s_waitcnt vmcnt(0) lgkmcnt(0)
	v_mul_f32_e32 v106, v106, v107
	s_cbranch_execz .LBB50_502
	s_branch .LBB50_503
.LBB50_501:
                                        ; implicit-def: $vgpr106
.LBB50_502:
	ds_read_b32 v106, v104
.LBB50_503:
	v_mov_b32_e32 v107, 0
	ds_read_b32 v107, v107 offset:4
	s_waitcnt lgkmcnt(0)
	v_mul_f32_e32 v106, v106, v107
	buffer_store_dword v106, off, s[0:3], 0 offset:4
.LBB50_504:
	s_or_b64 exec, exec, s[4:5]
	buffer_load_dword v106, off, s[0:3], 0 offset:8
	v_cndmask_b32_e64 v107, 0, 1, s[10:11]
	v_cmp_gt_u32_e32 vcc, 2, v0
	v_cmp_ne_u32_e64 s[4:5], 1, v107
	s_waitcnt vmcnt(0)
	ds_write_b32 v104, v106
	s_waitcnt lgkmcnt(0)
	; wave barrier
	s_waitcnt lgkmcnt(0)
	s_and_saveexec_b64 s[8:9], vcc
	s_cbranch_execz .LBB50_512
; %bb.505:
	s_and_b64 vcc, exec, s[4:5]
	s_cbranch_vccnz .LBB50_507
; %bb.506:
	buffer_load_dword v106, v105, s[0:3], 0 offen
	ds_read_b32 v107, v104
	s_waitcnt vmcnt(0) lgkmcnt(0)
	v_mul_f32_e32 v106, v106, v107
	s_cbranch_execz .LBB50_508
	s_branch .LBB50_509
.LBB50_507:
                                        ; implicit-def: $vgpr106
.LBB50_508:
	ds_read_b32 v106, v104
.LBB50_509:
	s_and_saveexec_b64 s[10:11], s[6:7]
	s_cbranch_execz .LBB50_511
; %bb.510:
	buffer_load_dword v107, v105, s[0:3], 0 offen offset:4
	ds_read_b32 v108, v104 offset:4
	s_waitcnt vmcnt(0) lgkmcnt(0)
	v_fmac_f32_e32 v106, v107, v108
.LBB50_511:
	s_or_b64 exec, exec, s[10:11]
	v_mov_b32_e32 v107, 0
	ds_read_b32 v107, v107 offset:8
	s_waitcnt lgkmcnt(0)
	v_mul_f32_e32 v106, v106, v107
	buffer_store_dword v106, off, s[0:3], 0 offset:8
.LBB50_512:
	s_or_b64 exec, exec, s[8:9]
	buffer_load_dword v106, off, s[0:3], 0 offset:12
	v_cmp_gt_u32_e32 vcc, 3, v0
	s_waitcnt vmcnt(0)
	ds_write_b32 v104, v106
	s_waitcnt lgkmcnt(0)
	; wave barrier
	s_waitcnt lgkmcnt(0)
	s_and_saveexec_b64 s[8:9], vcc
	s_cbranch_execz .LBB50_520
; %bb.513:
	s_and_b64 vcc, exec, s[4:5]
	s_cbranch_vccnz .LBB50_515
; %bb.514:
	buffer_load_dword v106, v105, s[0:3], 0 offen
	ds_read_b32 v107, v104
	s_waitcnt vmcnt(0) lgkmcnt(0)
	v_mul_f32_e32 v106, v106, v107
	s_cbranch_execz .LBB50_516
	s_branch .LBB50_517
.LBB50_515:
                                        ; implicit-def: $vgpr106
.LBB50_516:
	ds_read_b32 v106, v104
.LBB50_517:
	v_cmp_ne_u32_e32 vcc, 2, v0
	s_and_saveexec_b64 s[10:11], vcc
	s_cbranch_execz .LBB50_519
; %bb.518:
	buffer_load_dword v107, v105, s[0:3], 0 offen offset:4
	buffer_load_dword v108, off, s[0:3], 0 offset:8
	v_mov_b32_e32 v109, 0
	ds_read_b32 v110, v104 offset:4
	ds_read_b32 v109, v109 offset:216
	s_waitcnt vmcnt(1) lgkmcnt(1)
	v_fmac_f32_e32 v106, v107, v110
	s_waitcnt vmcnt(0) lgkmcnt(0)
	v_fma_f32 v107, v108, v109, v106
	v_cndmask_b32_e64 v106, v106, v107, s[6:7]
.LBB50_519:
	s_or_b64 exec, exec, s[10:11]
	v_mov_b32_e32 v107, 0
	ds_read_b32 v107, v107 offset:12
	s_waitcnt lgkmcnt(0)
	v_mul_f32_e32 v106, v106, v107
	buffer_store_dword v106, off, s[0:3], 0 offset:12
.LBB50_520:
	s_or_b64 exec, exec, s[8:9]
	buffer_load_dword v106, off, s[0:3], 0 offset:16
	v_cmp_gt_u32_e32 vcc, 4, v0
	s_waitcnt vmcnt(0)
	ds_write_b32 v104, v106
	s_waitcnt lgkmcnt(0)
	; wave barrier
	s_waitcnt lgkmcnt(0)
	s_and_saveexec_b64 s[6:7], vcc
	s_cbranch_execz .LBB50_530
; %bb.521:
	s_and_b64 vcc, exec, s[4:5]
	s_cbranch_vccnz .LBB50_523
; %bb.522:
	buffer_load_dword v106, v105, s[0:3], 0 offen
	ds_read_b32 v107, v104
	s_waitcnt vmcnt(0) lgkmcnt(0)
	v_mul_f32_e32 v106, v106, v107
	s_cbranch_execz .LBB50_524
	s_branch .LBB50_525
.LBB50_523:
                                        ; implicit-def: $vgpr106
.LBB50_524:
	ds_read_b32 v106, v104
.LBB50_525:
	v_cmp_ne_u32_e32 vcc, 3, v0
	s_and_saveexec_b64 s[8:9], vcc
	s_cbranch_execz .LBB50_529
; %bb.526:
	v_mov_b32_e32 v108, 0
	v_add_u32_e32 v107, 0xd4, v1
	v_add3_u32 v108, v1, v108, 4
	s_mov_b64 s[10:11], 0
	v_mov_b32_e32 v109, v0
.LBB50_527:                             ; =>This Inner Loop Header: Depth=1
	buffer_load_dword v110, v108, s[0:3], 0 offen
	ds_read_b32 v111, v107
	v_add_u32_e32 v109, 1, v109
	v_cmp_lt_u32_e32 vcc, 2, v109
	v_add_u32_e32 v107, 4, v107
	v_add_u32_e32 v108, 4, v108
	s_or_b64 s[10:11], vcc, s[10:11]
	s_waitcnt vmcnt(0) lgkmcnt(0)
	v_fmac_f32_e32 v106, v110, v111
	s_andn2_b64 exec, exec, s[10:11]
	s_cbranch_execnz .LBB50_527
; %bb.528:
	s_or_b64 exec, exec, s[10:11]
.LBB50_529:
	s_or_b64 exec, exec, s[8:9]
	v_mov_b32_e32 v107, 0
	ds_read_b32 v107, v107 offset:16
	s_waitcnt lgkmcnt(0)
	v_mul_f32_e32 v106, v106, v107
	buffer_store_dword v106, off, s[0:3], 0 offset:16
.LBB50_530:
	s_or_b64 exec, exec, s[6:7]
	buffer_load_dword v106, off, s[0:3], 0 offset:20
	v_cmp_gt_u32_e32 vcc, 5, v0
	s_waitcnt vmcnt(0)
	ds_write_b32 v104, v106
	s_waitcnt lgkmcnt(0)
	; wave barrier
	s_waitcnt lgkmcnt(0)
	s_and_saveexec_b64 s[6:7], vcc
	s_cbranch_execz .LBB50_540
; %bb.531:
	s_and_b64 vcc, exec, s[4:5]
	s_cbranch_vccnz .LBB50_533
; %bb.532:
	buffer_load_dword v106, v105, s[0:3], 0 offen
	ds_read_b32 v107, v104
	s_waitcnt vmcnt(0) lgkmcnt(0)
	v_mul_f32_e32 v106, v106, v107
	s_cbranch_execz .LBB50_534
	s_branch .LBB50_535
.LBB50_533:
                                        ; implicit-def: $vgpr106
.LBB50_534:
	ds_read_b32 v106, v104
.LBB50_535:
	v_cmp_ne_u32_e32 vcc, 4, v0
	s_and_saveexec_b64 s[8:9], vcc
	s_cbranch_execz .LBB50_539
; %bb.536:
	v_mov_b32_e32 v108, 0
	v_add_u32_e32 v107, 0xd4, v1
	v_add3_u32 v108, v1, v108, 4
	s_mov_b64 s[10:11], 0
	v_mov_b32_e32 v109, v0
.LBB50_537:                             ; =>This Inner Loop Header: Depth=1
	buffer_load_dword v110, v108, s[0:3], 0 offen
	ds_read_b32 v111, v107
	v_add_u32_e32 v109, 1, v109
	v_cmp_lt_u32_e32 vcc, 3, v109
	v_add_u32_e32 v107, 4, v107
	v_add_u32_e32 v108, 4, v108
	s_or_b64 s[10:11], vcc, s[10:11]
	s_waitcnt vmcnt(0) lgkmcnt(0)
	v_fmac_f32_e32 v106, v110, v111
	s_andn2_b64 exec, exec, s[10:11]
	s_cbranch_execnz .LBB50_537
; %bb.538:
	s_or_b64 exec, exec, s[10:11]
.LBB50_539:
	s_or_b64 exec, exec, s[8:9]
	v_mov_b32_e32 v107, 0
	ds_read_b32 v107, v107 offset:20
	s_waitcnt lgkmcnt(0)
	v_mul_f32_e32 v106, v106, v107
	buffer_store_dword v106, off, s[0:3], 0 offset:20
.LBB50_540:
	;; [unrolled: 56-line block ×45, first 2 shown]
	s_or_b64 exec, exec, s[6:7]
	buffer_load_dword v106, off, s[0:3], 0 offset:196
	v_cmp_gt_u32_e64 s[6:7], 49, v0
	s_waitcnt vmcnt(0)
	ds_write_b32 v104, v106
	s_waitcnt lgkmcnt(0)
	; wave barrier
	s_waitcnt lgkmcnt(0)
	s_and_saveexec_b64 s[8:9], s[6:7]
	s_cbranch_execz .LBB50_980
; %bb.971:
	s_and_b64 vcc, exec, s[4:5]
	s_cbranch_vccnz .LBB50_973
; %bb.972:
	buffer_load_dword v106, v105, s[0:3], 0 offen
	ds_read_b32 v107, v104
	s_waitcnt vmcnt(0) lgkmcnt(0)
	v_mul_f32_e32 v106, v106, v107
	s_cbranch_execz .LBB50_974
	s_branch .LBB50_975
.LBB50_973:
                                        ; implicit-def: $vgpr106
.LBB50_974:
	ds_read_b32 v106, v104
.LBB50_975:
	v_cmp_ne_u32_e32 vcc, 48, v0
	s_and_saveexec_b64 s[10:11], vcc
	s_cbranch_execz .LBB50_979
; %bb.976:
	v_mov_b32_e32 v108, 0
	v_add_u32_e32 v107, 0xd4, v1
	v_add3_u32 v108, v1, v108, 4
	s_mov_b64 s[12:13], 0
	v_mov_b32_e32 v109, v0
.LBB50_977:                             ; =>This Inner Loop Header: Depth=1
	buffer_load_dword v110, v108, s[0:3], 0 offen
	ds_read_b32 v111, v107
	v_add_u32_e32 v109, 1, v109
	v_cmp_lt_u32_e32 vcc, 47, v109
	v_add_u32_e32 v107, 4, v107
	v_add_u32_e32 v108, 4, v108
	s_or_b64 s[12:13], vcc, s[12:13]
	s_waitcnt vmcnt(0) lgkmcnt(0)
	v_fmac_f32_e32 v106, v110, v111
	s_andn2_b64 exec, exec, s[12:13]
	s_cbranch_execnz .LBB50_977
; %bb.978:
	s_or_b64 exec, exec, s[12:13]
.LBB50_979:
	s_or_b64 exec, exec, s[10:11]
	v_mov_b32_e32 v107, 0
	ds_read_b32 v107, v107 offset:196
	s_waitcnt lgkmcnt(0)
	v_mul_f32_e32 v106, v106, v107
	buffer_store_dword v106, off, s[0:3], 0 offset:196
.LBB50_980:
	s_or_b64 exec, exec, s[8:9]
	buffer_load_dword v106, off, s[0:3], 0 offset:200
	v_cmp_ne_u32_e32 vcc, 50, v0
	s_waitcnt vmcnt(0)
	ds_write_b32 v104, v106
	s_waitcnt lgkmcnt(0)
	; wave barrier
	s_waitcnt lgkmcnt(0)
	s_and_saveexec_b64 s[8:9], vcc
	s_cbranch_execz .LBB50_990
; %bb.981:
	s_and_b64 vcc, exec, s[4:5]
	s_cbranch_vccnz .LBB50_983
; %bb.982:
	buffer_load_dword v105, v105, s[0:3], 0 offen
	ds_read_b32 v106, v104
	s_waitcnt vmcnt(0) lgkmcnt(0)
	v_mul_f32_e32 v105, v105, v106
	s_cbranch_execz .LBB50_984
	s_branch .LBB50_985
.LBB50_983:
                                        ; implicit-def: $vgpr105
.LBB50_984:
	ds_read_b32 v105, v104
.LBB50_985:
	s_and_saveexec_b64 s[4:5], s[6:7]
	s_cbranch_execz .LBB50_989
; %bb.986:
	v_mov_b32_e32 v106, 0
	v_add_u32_e32 v104, 0xd4, v1
	v_add3_u32 v1, v1, v106, 4
	s_mov_b64 s[6:7], 0
.LBB50_987:                             ; =>This Inner Loop Header: Depth=1
	buffer_load_dword v106, v1, s[0:3], 0 offen
	ds_read_b32 v107, v104
	v_add_u32_e32 v0, 1, v0
	v_cmp_lt_u32_e32 vcc, 48, v0
	v_add_u32_e32 v104, 4, v104
	v_add_u32_e32 v1, 4, v1
	s_or_b64 s[6:7], vcc, s[6:7]
	s_waitcnt vmcnt(0) lgkmcnt(0)
	v_fmac_f32_e32 v105, v106, v107
	s_andn2_b64 exec, exec, s[6:7]
	s_cbranch_execnz .LBB50_987
; %bb.988:
	s_or_b64 exec, exec, s[6:7]
.LBB50_989:
	s_or_b64 exec, exec, s[4:5]
	v_mov_b32_e32 v0, 0
	ds_read_b32 v0, v0 offset:200
	s_waitcnt lgkmcnt(0)
	v_mul_f32_e32 v0, v105, v0
	buffer_store_dword v0, off, s[0:3], 0 offset:200
.LBB50_990:
	s_or_b64 exec, exec, s[8:9]
.LBB50_991:
	buffer_load_dword v0, off, s[0:3], 0
	buffer_load_dword v1, off, s[0:3], 0 offset:4
	buffer_load_dword v104, off, s[0:3], 0 offset:8
	;; [unrolled: 1-line block ×50, first 2 shown]
	s_waitcnt vmcnt(50)
	global_store_dword v[98:99], v0, off
	s_waitcnt vmcnt(50)
	global_store_dword v[100:101], v1, off
	;; [unrolled: 2-line block ×51, first 2 shown]
.LBB50_992:
	s_endpgm
	.section	.rodata,"a",@progbits
	.p2align	6, 0x0
	.amdhsa_kernel _ZN9rocsolver6v33100L18trti2_kernel_smallILi51EfPfEEv13rocblas_fill_17rocblas_diagonal_T1_iil
		.amdhsa_group_segment_fixed_size 412
		.amdhsa_private_segment_fixed_size 208
		.amdhsa_kernarg_size 32
		.amdhsa_user_sgpr_count 8
		.amdhsa_user_sgpr_private_segment_buffer 1
		.amdhsa_user_sgpr_dispatch_ptr 0
		.amdhsa_user_sgpr_queue_ptr 0
		.amdhsa_user_sgpr_kernarg_segment_ptr 1
		.amdhsa_user_sgpr_dispatch_id 0
		.amdhsa_user_sgpr_flat_scratch_init 1
		.amdhsa_user_sgpr_kernarg_preload_length 0
		.amdhsa_user_sgpr_kernarg_preload_offset 0
		.amdhsa_user_sgpr_private_segment_size 0
		.amdhsa_uses_dynamic_stack 0
		.amdhsa_system_sgpr_private_segment_wavefront_offset 1
		.amdhsa_system_sgpr_workgroup_id_x 1
		.amdhsa_system_sgpr_workgroup_id_y 0
		.amdhsa_system_sgpr_workgroup_id_z 0
		.amdhsa_system_sgpr_workgroup_info 0
		.amdhsa_system_vgpr_workitem_id 0
		.amdhsa_next_free_vgpr 155
		.amdhsa_next_free_sgpr 20
		.amdhsa_accum_offset 156
		.amdhsa_reserve_vcc 1
		.amdhsa_reserve_flat_scratch 0
		.amdhsa_float_round_mode_32 0
		.amdhsa_float_round_mode_16_64 0
		.amdhsa_float_denorm_mode_32 3
		.amdhsa_float_denorm_mode_16_64 3
		.amdhsa_dx10_clamp 1
		.amdhsa_ieee_mode 1
		.amdhsa_fp16_overflow 0
		.amdhsa_tg_split 0
		.amdhsa_exception_fp_ieee_invalid_op 0
		.amdhsa_exception_fp_denorm_src 0
		.amdhsa_exception_fp_ieee_div_zero 0
		.amdhsa_exception_fp_ieee_overflow 0
		.amdhsa_exception_fp_ieee_underflow 0
		.amdhsa_exception_fp_ieee_inexact 0
		.amdhsa_exception_int_div_zero 0
	.end_amdhsa_kernel
	.section	.text._ZN9rocsolver6v33100L18trti2_kernel_smallILi51EfPfEEv13rocblas_fill_17rocblas_diagonal_T1_iil,"axG",@progbits,_ZN9rocsolver6v33100L18trti2_kernel_smallILi51EfPfEEv13rocblas_fill_17rocblas_diagonal_T1_iil,comdat
.Lfunc_end50:
	.size	_ZN9rocsolver6v33100L18trti2_kernel_smallILi51EfPfEEv13rocblas_fill_17rocblas_diagonal_T1_iil, .Lfunc_end50-_ZN9rocsolver6v33100L18trti2_kernel_smallILi51EfPfEEv13rocblas_fill_17rocblas_diagonal_T1_iil
                                        ; -- End function
	.section	.AMDGPU.csdata,"",@progbits
; Kernel info:
; codeLenInByte = 24928
; NumSgprs: 24
; NumVgprs: 155
; NumAgprs: 0
; TotalNumVgprs: 155
; ScratchSize: 208
; MemoryBound: 0
; FloatMode: 240
; IeeeMode: 1
; LDSByteSize: 412 bytes/workgroup (compile time only)
; SGPRBlocks: 2
; VGPRBlocks: 19
; NumSGPRsForWavesPerEU: 24
; NumVGPRsForWavesPerEU: 155
; AccumOffset: 156
; Occupancy: 3
; WaveLimiterHint : 0
; COMPUTE_PGM_RSRC2:SCRATCH_EN: 1
; COMPUTE_PGM_RSRC2:USER_SGPR: 8
; COMPUTE_PGM_RSRC2:TRAP_HANDLER: 0
; COMPUTE_PGM_RSRC2:TGID_X_EN: 1
; COMPUTE_PGM_RSRC2:TGID_Y_EN: 0
; COMPUTE_PGM_RSRC2:TGID_Z_EN: 0
; COMPUTE_PGM_RSRC2:TIDIG_COMP_CNT: 0
; COMPUTE_PGM_RSRC3_GFX90A:ACCUM_OFFSET: 38
; COMPUTE_PGM_RSRC3_GFX90A:TG_SPLIT: 0
	.section	.text._ZN9rocsolver6v33100L18trti2_kernel_smallILi52EfPfEEv13rocblas_fill_17rocblas_diagonal_T1_iil,"axG",@progbits,_ZN9rocsolver6v33100L18trti2_kernel_smallILi52EfPfEEv13rocblas_fill_17rocblas_diagonal_T1_iil,comdat
	.globl	_ZN9rocsolver6v33100L18trti2_kernel_smallILi52EfPfEEv13rocblas_fill_17rocblas_diagonal_T1_iil ; -- Begin function _ZN9rocsolver6v33100L18trti2_kernel_smallILi52EfPfEEv13rocblas_fill_17rocblas_diagonal_T1_iil
	.p2align	8
	.type	_ZN9rocsolver6v33100L18trti2_kernel_smallILi52EfPfEEv13rocblas_fill_17rocblas_diagonal_T1_iil,@function
_ZN9rocsolver6v33100L18trti2_kernel_smallILi52EfPfEEv13rocblas_fill_17rocblas_diagonal_T1_iil: ; @_ZN9rocsolver6v33100L18trti2_kernel_smallILi52EfPfEEv13rocblas_fill_17rocblas_diagonal_T1_iil
; %bb.0:
	s_add_u32 s0, s0, s9
	s_addc_u32 s1, s1, 0
	v_cmp_gt_u32_e32 vcc, 52, v0
	s_and_saveexec_b64 s[6:7], vcc
	s_cbranch_execz .LBB51_1012
; %bb.1:
	s_load_dwordx8 s[12:19], s[4:5], 0x0
	s_ashr_i32 s6, s8, 31
	s_waitcnt lgkmcnt(0)
	s_mul_i32 s7, s8, s19
	s_mul_hi_u32 s9, s8, s18
	s_add_i32 s7, s9, s7
	s_mul_i32 s6, s6, s18
	s_add_i32 s7, s7, s6
	s_mul_i32 s6, s8, s18
	s_ashr_i32 s5, s16, 31
	s_lshl_b64 s[6:7], s[6:7], 2
	s_mov_b32 s4, s16
	s_add_u32 s6, s14, s6
	s_addc_u32 s7, s15, s7
	s_lshl_b64 s[4:5], s[4:5], 2
	s_add_u32 s4, s6, s4
	s_addc_u32 s5, s7, s5
	s_add_i32 s6, s17, s17
	v_add_u32_e32 v4, s6, v0
	v_ashrrev_i32_e32 v5, 31, v4
	v_lshlrev_b64 v[2:3], 2, v[4:5]
	v_add_u32_e32 v6, s17, v4
	v_mov_b32_e32 v1, s5
	v_add_co_u32_e32 v2, vcc, s4, v2
	v_ashrrev_i32_e32 v7, 31, v6
	v_addc_co_u32_e32 v3, vcc, v1, v3, vcc
	v_lshlrev_b64 v[4:5], 2, v[6:7]
	v_add_u32_e32 v8, s17, v6
	v_add_co_u32_e32 v4, vcc, s4, v4
	v_ashrrev_i32_e32 v9, 31, v8
	v_addc_co_u32_e32 v5, vcc, v1, v5, vcc
	v_lshlrev_b64 v[6:7], 2, v[8:9]
	v_add_u32_e32 v10, s17, v8
	;; [unrolled: 5-line block ×47, first 2 shown]
	v_add_co_u32_e32 v96, vcc, s4, v96
	v_ashrrev_i32_e32 v101, 31, v100
	v_addc_co_u32_e32 v97, vcc, v1, v97, vcc
	v_lshlrev_b64 v[98:99], 2, v[100:101]
	v_add_co_u32_e32 v98, vcc, s4, v98
	v_add_u32_e32 v100, s17, v100
	v_addc_co_u32_e32 v99, vcc, v1, v99, vcc
	v_ashrrev_i32_e32 v101, 31, v100
	v_lshlrev_b32_e32 v1, 2, v0
	v_lshlrev_b64 v[104:105], 2, v[100:101]
	v_mov_b32_e32 v101, s5
	v_add_co_u32_e32 v100, vcc, s4, v1
	s_ashr_i32 s7, s17, 31
	s_mov_b32 s6, s17
	v_addc_co_u32_e32 v101, vcc, 0, v101, vcc
	s_lshl_b64 s[6:7], s[6:7], 2
	v_mov_b32_e32 v103, s7
	v_add_co_u32_e32 v102, vcc, s6, v100
	v_addc_co_u32_e32 v103, vcc, v101, v103, vcc
	v_mov_b32_e32 v155, s5
	v_add_co_u32_e32 v104, vcc, s4, v104
	v_addc_co_u32_e32 v105, vcc, v155, v105, vcc
	global_load_dword v106, v1, s[4:5]
	global_load_dword v107, v[102:103], off
	global_load_dword v108, v[6:7], off
	;; [unrolled: 1-line block ×51, first 2 shown]
	s_cmpk_lg_i32 s13, 0x84
	s_waitcnt vmcnt(51)
	buffer_store_dword v106, off, s[0:3], 0
	s_waitcnt vmcnt(51)
	buffer_store_dword v107, off, s[0:3], 0 offset:4
	s_waitcnt vmcnt(46)
	buffer_store_dword v113, off, s[0:3], 0 offset:12
	;; [unrolled: 2-line block ×3, first 2 shown]
	buffer_store_dword v108, off, s[0:3], 0 offset:16
	buffer_store_dword v109, off, s[0:3], 0 offset:20
	buffer_store_dword v110, off, s[0:3], 0 offset:24
	buffer_store_dword v111, off, s[0:3], 0 offset:28
	buffer_store_dword v112, off, s[0:3], 0 offset:32
	s_waitcnt vmcnt(51)
	buffer_store_dword v115, off, s[0:3], 0 offset:36
	s_waitcnt vmcnt(46)
	buffer_store_dword v121, off, s[0:3], 0 offset:44
	s_waitcnt vmcnt(46)
	buffer_store_dword v122, off, s[0:3], 0 offset:40
	buffer_store_dword v116, off, s[0:3], 0 offset:48
	buffer_store_dword v117, off, s[0:3], 0 offset:52
	;; [unrolled: 1-line block ×5, first 2 shown]
	s_waitcnt vmcnt(51)
	buffer_store_dword v123, off, s[0:3], 0 offset:68
	s_waitcnt vmcnt(51)
	buffer_store_dword v124, off, s[0:3], 0 offset:72
	;; [unrolled: 2-line block ×5, first 2 shown]
	buffer_store_dword v127, off, s[0:3], 0 offset:92
	buffer_store_dword v128, off, s[0:3], 0 offset:88
	s_waitcnt vmcnt(50)
	buffer_store_dword v131, off, s[0:3], 0 offset:100
	buffer_store_dword v126, off, s[0:3], 0 offset:96
	s_waitcnt vmcnt(46)
	buffer_store_dword v137, off, s[0:3], 0 offset:108
	s_waitcnt vmcnt(46)
	buffer_store_dword v138, off, s[0:3], 0 offset:104
	buffer_store_dword v135, off, s[0:3], 0 offset:116
	buffer_store_dword v136, off, s[0:3], 0 offset:112
	buffer_store_dword v133, off, s[0:3], 0 offset:124
	buffer_store_dword v134, off, s[0:3], 0 offset:120
	s_waitcnt vmcnt(50)
	buffer_store_dword v139, off, s[0:3], 0 offset:132
	buffer_store_dword v132, off, s[0:3], 0 offset:128
	s_waitcnt vmcnt(46)
	buffer_store_dword v145, off, s[0:3], 0 offset:140
	s_waitcnt vmcnt(46)
	buffer_store_dword v146, off, s[0:3], 0 offset:136
	buffer_store_dword v143, off, s[0:3], 0 offset:148
	buffer_store_dword v144, off, s[0:3], 0 offset:144
	;; [unrolled: 11-line block ×3, first 2 shown]
	buffer_store_dword v149, off, s[0:3], 0 offset:188
	buffer_store_dword v150, off, s[0:3], 0 offset:184
	s_waitcnt vmcnt(50)
	buffer_store_dword v156, off, s[0:3], 0 offset:196
	buffer_store_dword v148, off, s[0:3], 0 offset:192
	s_waitcnt vmcnt(51)
	buffer_store_dword v155, off, s[0:3], 0 offset:204
	s_waitcnt vmcnt(51)
	buffer_store_dword v157, off, s[0:3], 0 offset:200
	s_cselect_b64 s[8:9], -1, 0
	s_cmpk_eq_i32 s13, 0x84
	v_mov_b32_e32 v131, 0
	v_mov_b32_e32 v106, -1.0
	s_cbranch_scc1 .LBB51_3
; %bb.2:
	v_lshl_add_u32 v106, v0, 2, v131
	buffer_load_dword v107, v106, s[0:3], 0 offen
	s_waitcnt vmcnt(0)
	v_div_scale_f32 v108, s[4:5], v107, v107, 1.0
	v_rcp_f32_e32 v109, v108
	v_div_scale_f32 v110, vcc, 1.0, v107, 1.0
	v_fma_f32 v111, -v108, v109, 1.0
	v_fmac_f32_e32 v109, v111, v109
	v_mul_f32_e32 v111, v110, v109
	v_fma_f32 v112, -v108, v111, v110
	v_fmac_f32_e32 v111, v112, v109
	v_fma_f32 v108, -v108, v111, v110
	v_div_fmas_f32 v108, v108, v109, v111
	v_div_fixup_f32 v107, v108, v107, 1.0
	buffer_store_dword v107, v106, s[0:3], 0 offen
	v_xor_b32_e32 v106, 0x80000000, v107
.LBB51_3:
	ds_write_b32 v1, v106
	s_cmpk_eq_i32 s12, 0x79
	v_add_u32_e32 v106, 0xd0, v1
	v_add_u32_e32 v107, 0, v1
	s_mov_b64 s[4:5], -1
	s_cbranch_scc1 .LBB51_507
; %bb.4:
	buffer_load_dword v108, off, s[0:3], 0 offset:200
	v_cmp_eq_u32_e64 s[4:5], 51, v0
	s_waitcnt vmcnt(0)
	ds_write_b32 v106, v108
	s_waitcnt lgkmcnt(0)
	; wave barrier
	s_waitcnt lgkmcnt(0)
	s_and_saveexec_b64 s[6:7], s[4:5]
	s_cbranch_execz .LBB51_10
; %bb.5:
	s_and_b64 vcc, exec, s[8:9]
	s_cbranch_vccz .LBB51_7
; %bb.6:
	buffer_load_dword v108, v107, s[0:3], 0 offen
	ds_read_b32 v109, v106
	s_waitcnt vmcnt(0) lgkmcnt(0)
	v_mul_f32_e32 v108, v108, v109
	s_cbranch_execz .LBB51_8
	s_branch .LBB51_9
.LBB51_7:
                                        ; implicit-def: $vgpr108
.LBB51_8:
	ds_read_b32 v108, v106
.LBB51_9:
	v_mov_b32_e32 v109, 0
	ds_read_b32 v109, v109 offset:200
	s_waitcnt lgkmcnt(0)
	v_mul_f32_e32 v108, v108, v109
	buffer_store_dword v108, off, s[0:3], 0 offset:200
.LBB51_10:
	s_or_b64 exec, exec, s[6:7]
	buffer_load_dword v132, off, s[0:3], 0 offset:196
	v_or_b32_e32 v108, 8, v131
	v_add_u32_e32 v109, 16, v131
	v_add_u32_e32 v110, 24, v131
	;; [unrolled: 1-line block ×23, first 2 shown]
	v_cmp_lt_u32_e64 s[6:7], 49, v0
	s_waitcnt vmcnt(0)
	ds_write_b32 v106, v132
	s_waitcnt lgkmcnt(0)
	; wave barrier
	s_waitcnt lgkmcnt(0)
	s_and_saveexec_b64 s[10:11], s[6:7]
	s_cbranch_execz .LBB51_16
; %bb.11:
	s_andn2_b64 vcc, exec, s[8:9]
	s_cbranch_vccnz .LBB51_13
; %bb.12:
	buffer_load_dword v132, v107, s[0:3], 0 offen
	ds_read_b32 v133, v106
	s_waitcnt vmcnt(0) lgkmcnt(0)
	v_mul_f32_e32 v132, v132, v133
	s_cbranch_execz .LBB51_14
	s_branch .LBB51_15
.LBB51_13:
                                        ; implicit-def: $vgpr132
.LBB51_14:
	ds_read_b32 v132, v106
.LBB51_15:
	buffer_load_dword v133, off, s[0:3], 0 offset:200
	v_mov_b32_e32 v134, 0
	ds_read2_b32 v[134:135], v134 offset0:49 offset1:102
	s_waitcnt vmcnt(0) lgkmcnt(0)
	v_fma_f32 v133, v133, v135, v132
	v_cndmask_b32_e64 v132, v132, v133, s[4:5]
	v_mul_f32_e32 v132, v132, v134
	buffer_store_dword v132, off, s[0:3], 0 offset:196
.LBB51_16:
	s_or_b64 exec, exec, s[10:11]
	buffer_load_dword v132, off, s[0:3], 0 offset:192
	v_cmp_lt_u32_e64 s[4:5], 48, v0
	s_waitcnt vmcnt(0)
	ds_write_b32 v106, v132
	s_waitcnt lgkmcnt(0)
	; wave barrier
	s_waitcnt lgkmcnt(0)
	s_and_saveexec_b64 s[10:11], s[4:5]
	s_cbranch_execz .LBB51_26
; %bb.17:
	s_andn2_b64 vcc, exec, s[8:9]
	s_cbranch_vccnz .LBB51_19
; %bb.18:
	buffer_load_dword v132, v107, s[0:3], 0 offen
	ds_read_b32 v133, v106
	s_waitcnt vmcnt(0) lgkmcnt(0)
	v_mul_f32_e32 v132, v132, v133
	s_cbranch_execz .LBB51_20
	s_branch .LBB51_21
.LBB51_19:
                                        ; implicit-def: $vgpr132
.LBB51_20:
	ds_read_b32 v132, v106
.LBB51_21:
	s_and_saveexec_b64 s[12:13], s[6:7]
	s_cbranch_execz .LBB51_25
; %bb.22:
	v_mov_b32_e32 v133, 0
	v_add_u32_e32 v133, 0xc4, v133
	v_subrev_u32_e32 v134, 49, v0
	s_movk_i32 s14, 0x194
	s_mov_b64 s[6:7], 0
.LBB51_23:                              ; =>This Inner Loop Header: Depth=1
	buffer_load_dword v135, v133, s[0:3], 0 offen
	v_mov_b32_e32 v136, s14
	ds_read_b32 v136, v136
	v_add_u32_e32 v134, -1, v134
	s_add_i32 s14, s14, 4
	v_cmp_eq_u32_e32 vcc, 0, v134
	v_add_u32_e32 v133, 4, v133
	s_or_b64 s[6:7], vcc, s[6:7]
	s_waitcnt vmcnt(0) lgkmcnt(0)
	v_fmac_f32_e32 v132, v135, v136
	s_andn2_b64 exec, exec, s[6:7]
	s_cbranch_execnz .LBB51_23
; %bb.24:
	s_or_b64 exec, exec, s[6:7]
.LBB51_25:
	s_or_b64 exec, exec, s[12:13]
	v_mov_b32_e32 v133, 0
	ds_read_b32 v133, v133 offset:192
	s_waitcnt lgkmcnt(0)
	v_mul_f32_e32 v132, v132, v133
	buffer_store_dword v132, off, s[0:3], 0 offset:192
.LBB51_26:
	s_or_b64 exec, exec, s[10:11]
	buffer_load_dword v132, off, s[0:3], 0 offset:188
	v_cmp_lt_u32_e64 s[6:7], 47, v0
	s_waitcnt vmcnt(0)
	ds_write_b32 v106, v132
	s_waitcnt lgkmcnt(0)
	; wave barrier
	s_waitcnt lgkmcnt(0)
	s_and_saveexec_b64 s[10:11], s[6:7]
	s_cbranch_execz .LBB51_36
; %bb.27:
	s_andn2_b64 vcc, exec, s[8:9]
	s_cbranch_vccnz .LBB51_29
; %bb.28:
	buffer_load_dword v132, v107, s[0:3], 0 offen
	ds_read_b32 v133, v106
	s_waitcnt vmcnt(0) lgkmcnt(0)
	v_mul_f32_e32 v132, v132, v133
	s_cbranch_execz .LBB51_30
	s_branch .LBB51_31
.LBB51_29:
                                        ; implicit-def: $vgpr132
.LBB51_30:
	ds_read_b32 v132, v106
.LBB51_31:
	s_and_saveexec_b64 s[12:13], s[4:5]
	s_cbranch_execz .LBB51_35
; %bb.32:
	v_subrev_u32_e32 v133, 48, v0
	s_movk_i32 s14, 0x190
	s_mov_b64 s[4:5], 0
.LBB51_33:                              ; =>This Inner Loop Header: Depth=1
	buffer_load_dword v134, v131, s[0:3], 0 offen
	v_mov_b32_e32 v135, s14
	ds_read_b32 v135, v135
	v_add_u32_e32 v133, -1, v133
	s_add_i32 s14, s14, 4
	v_cmp_eq_u32_e32 vcc, 0, v133
	v_add_u32_e32 v131, 4, v131
	s_or_b64 s[4:5], vcc, s[4:5]
	s_waitcnt vmcnt(0) lgkmcnt(0)
	v_fmac_f32_e32 v132, v134, v135
	s_andn2_b64 exec, exec, s[4:5]
	s_cbranch_execnz .LBB51_33
; %bb.34:
	s_or_b64 exec, exec, s[4:5]
.LBB51_35:
	s_or_b64 exec, exec, s[12:13]
	v_mov_b32_e32 v131, 0
	ds_read_b32 v131, v131 offset:188
	s_waitcnt lgkmcnt(0)
	v_mul_f32_e32 v131, v132, v131
	buffer_store_dword v131, off, s[0:3], 0 offset:188
.LBB51_36:
	s_or_b64 exec, exec, s[10:11]
	buffer_load_dword v131, off, s[0:3], 0 offset:184
	v_cmp_lt_u32_e64 s[4:5], 46, v0
	s_waitcnt vmcnt(0)
	ds_write_b32 v106, v131
	s_waitcnt lgkmcnt(0)
	; wave barrier
	s_waitcnt lgkmcnt(0)
	s_and_saveexec_b64 s[10:11], s[4:5]
	s_cbranch_execz .LBB51_46
; %bb.37:
	s_andn2_b64 vcc, exec, s[8:9]
	s_cbranch_vccnz .LBB51_39
; %bb.38:
	buffer_load_dword v131, v107, s[0:3], 0 offen
	ds_read_b32 v132, v106
	s_waitcnt vmcnt(0) lgkmcnt(0)
	v_mul_f32_e32 v131, v131, v132
	s_cbranch_execz .LBB51_40
	s_branch .LBB51_41
.LBB51_39:
                                        ; implicit-def: $vgpr131
.LBB51_40:
	ds_read_b32 v131, v106
.LBB51_41:
	s_and_saveexec_b64 s[12:13], s[6:7]
	s_cbranch_execz .LBB51_45
; %bb.42:
	v_mov_b32_e32 v132, 0
	v_add_u32_e32 v132, 0xbc, v132
	v_subrev_u32_e32 v133, 47, v0
	s_movk_i32 s14, 0x18c
	s_mov_b64 s[6:7], 0
.LBB51_43:                              ; =>This Inner Loop Header: Depth=1
	buffer_load_dword v134, v132, s[0:3], 0 offen
	v_mov_b32_e32 v135, s14
	ds_read_b32 v135, v135
	v_add_u32_e32 v133, -1, v133
	s_add_i32 s14, s14, 4
	v_cmp_eq_u32_e32 vcc, 0, v133
	v_add_u32_e32 v132, 4, v132
	s_or_b64 s[6:7], vcc, s[6:7]
	s_waitcnt vmcnt(0) lgkmcnt(0)
	v_fmac_f32_e32 v131, v134, v135
	s_andn2_b64 exec, exec, s[6:7]
	s_cbranch_execnz .LBB51_43
; %bb.44:
	s_or_b64 exec, exec, s[6:7]
.LBB51_45:
	s_or_b64 exec, exec, s[12:13]
	v_mov_b32_e32 v132, 0
	ds_read_b32 v132, v132 offset:184
	s_waitcnt lgkmcnt(0)
	v_mul_f32_e32 v131, v131, v132
	buffer_store_dword v131, off, s[0:3], 0 offset:184
.LBB51_46:
	s_or_b64 exec, exec, s[10:11]
	buffer_load_dword v131, off, s[0:3], 0 offset:180
	v_cmp_lt_u32_e64 s[6:7], 45, v0
	s_waitcnt vmcnt(0)
	ds_write_b32 v106, v131
	s_waitcnt lgkmcnt(0)
	; wave barrier
	s_waitcnt lgkmcnt(0)
	s_and_saveexec_b64 s[10:11], s[6:7]
	s_cbranch_execz .LBB51_56
; %bb.47:
	s_andn2_b64 vcc, exec, s[8:9]
	s_cbranch_vccnz .LBB51_49
; %bb.48:
	buffer_load_dword v131, v107, s[0:3], 0 offen
	ds_read_b32 v132, v106
	s_waitcnt vmcnt(0) lgkmcnt(0)
	v_mul_f32_e32 v131, v131, v132
	s_cbranch_execz .LBB51_50
	s_branch .LBB51_51
.LBB51_49:
                                        ; implicit-def: $vgpr131
.LBB51_50:
	ds_read_b32 v131, v106
.LBB51_51:
	s_and_saveexec_b64 s[12:13], s[4:5]
	s_cbranch_execz .LBB51_55
; %bb.52:
	v_subrev_u32_e32 v132, 46, v0
	s_movk_i32 s14, 0x188
	s_mov_b64 s[4:5], 0
.LBB51_53:                              ; =>This Inner Loop Header: Depth=1
	buffer_load_dword v133, v130, s[0:3], 0 offen
	v_mov_b32_e32 v134, s14
	ds_read_b32 v134, v134
	v_add_u32_e32 v132, -1, v132
	s_add_i32 s14, s14, 4
	v_cmp_eq_u32_e32 vcc, 0, v132
	v_add_u32_e32 v130, 4, v130
	s_or_b64 s[4:5], vcc, s[4:5]
	s_waitcnt vmcnt(0) lgkmcnt(0)
	v_fmac_f32_e32 v131, v133, v134
	s_andn2_b64 exec, exec, s[4:5]
	s_cbranch_execnz .LBB51_53
; %bb.54:
	s_or_b64 exec, exec, s[4:5]
.LBB51_55:
	s_or_b64 exec, exec, s[12:13]
	v_mov_b32_e32 v130, 0
	ds_read_b32 v130, v130 offset:180
	s_waitcnt lgkmcnt(0)
	v_mul_f32_e32 v130, v131, v130
	buffer_store_dword v130, off, s[0:3], 0 offset:180
.LBB51_56:
	s_or_b64 exec, exec, s[10:11]
	buffer_load_dword v130, off, s[0:3], 0 offset:176
	v_cmp_lt_u32_e64 s[4:5], 44, v0
	s_waitcnt vmcnt(0)
	ds_write_b32 v106, v130
	s_waitcnt lgkmcnt(0)
	; wave barrier
	s_waitcnt lgkmcnt(0)
	s_and_saveexec_b64 s[10:11], s[4:5]
	s_cbranch_execz .LBB51_66
; %bb.57:
	s_andn2_b64 vcc, exec, s[8:9]
	s_cbranch_vccnz .LBB51_59
; %bb.58:
	buffer_load_dword v130, v107, s[0:3], 0 offen
	ds_read_b32 v131, v106
	s_waitcnt vmcnt(0) lgkmcnt(0)
	v_mul_f32_e32 v130, v130, v131
	s_cbranch_execz .LBB51_60
	s_branch .LBB51_61
.LBB51_59:
                                        ; implicit-def: $vgpr130
.LBB51_60:
	ds_read_b32 v130, v106
.LBB51_61:
	s_and_saveexec_b64 s[12:13], s[6:7]
	s_cbranch_execz .LBB51_65
; %bb.62:
	v_mov_b32_e32 v131, 0
	v_add_u32_e32 v131, 0xb4, v131
	v_subrev_u32_e32 v132, 45, v0
	s_movk_i32 s14, 0x184
	s_mov_b64 s[6:7], 0
.LBB51_63:                              ; =>This Inner Loop Header: Depth=1
	buffer_load_dword v133, v131, s[0:3], 0 offen
	v_mov_b32_e32 v134, s14
	ds_read_b32 v134, v134
	v_add_u32_e32 v132, -1, v132
	s_add_i32 s14, s14, 4
	v_cmp_eq_u32_e32 vcc, 0, v132
	v_add_u32_e32 v131, 4, v131
	s_or_b64 s[6:7], vcc, s[6:7]
	s_waitcnt vmcnt(0) lgkmcnt(0)
	v_fmac_f32_e32 v130, v133, v134
	s_andn2_b64 exec, exec, s[6:7]
	s_cbranch_execnz .LBB51_63
; %bb.64:
	s_or_b64 exec, exec, s[6:7]
.LBB51_65:
	s_or_b64 exec, exec, s[12:13]
	v_mov_b32_e32 v131, 0
	ds_read_b32 v131, v131 offset:176
	s_waitcnt lgkmcnt(0)
	v_mul_f32_e32 v130, v130, v131
	buffer_store_dword v130, off, s[0:3], 0 offset:176
.LBB51_66:
	s_or_b64 exec, exec, s[10:11]
	buffer_load_dword v130, off, s[0:3], 0 offset:172
	v_cmp_lt_u32_e64 s[6:7], 43, v0
	s_waitcnt vmcnt(0)
	ds_write_b32 v106, v130
	s_waitcnt lgkmcnt(0)
	; wave barrier
	s_waitcnt lgkmcnt(0)
	s_and_saveexec_b64 s[10:11], s[6:7]
	s_cbranch_execz .LBB51_76
; %bb.67:
	s_andn2_b64 vcc, exec, s[8:9]
	s_cbranch_vccnz .LBB51_69
; %bb.68:
	buffer_load_dword v130, v107, s[0:3], 0 offen
	ds_read_b32 v131, v106
	s_waitcnt vmcnt(0) lgkmcnt(0)
	v_mul_f32_e32 v130, v130, v131
	s_cbranch_execz .LBB51_70
	s_branch .LBB51_71
.LBB51_69:
                                        ; implicit-def: $vgpr130
.LBB51_70:
	ds_read_b32 v130, v106
.LBB51_71:
	s_and_saveexec_b64 s[12:13], s[4:5]
	s_cbranch_execz .LBB51_75
; %bb.72:
	v_subrev_u32_e32 v131, 44, v0
	s_movk_i32 s14, 0x180
	s_mov_b64 s[4:5], 0
.LBB51_73:                              ; =>This Inner Loop Header: Depth=1
	buffer_load_dword v132, v129, s[0:3], 0 offen
	v_mov_b32_e32 v133, s14
	ds_read_b32 v133, v133
	v_add_u32_e32 v131, -1, v131
	s_add_i32 s14, s14, 4
	v_cmp_eq_u32_e32 vcc, 0, v131
	v_add_u32_e32 v129, 4, v129
	s_or_b64 s[4:5], vcc, s[4:5]
	s_waitcnt vmcnt(0) lgkmcnt(0)
	v_fmac_f32_e32 v130, v132, v133
	s_andn2_b64 exec, exec, s[4:5]
	s_cbranch_execnz .LBB51_73
; %bb.74:
	s_or_b64 exec, exec, s[4:5]
.LBB51_75:
	s_or_b64 exec, exec, s[12:13]
	v_mov_b32_e32 v129, 0
	ds_read_b32 v129, v129 offset:172
	s_waitcnt lgkmcnt(0)
	v_mul_f32_e32 v129, v130, v129
	buffer_store_dword v129, off, s[0:3], 0 offset:172
.LBB51_76:
	s_or_b64 exec, exec, s[10:11]
	buffer_load_dword v129, off, s[0:3], 0 offset:168
	v_cmp_lt_u32_e64 s[4:5], 42, v0
	s_waitcnt vmcnt(0)
	ds_write_b32 v106, v129
	s_waitcnt lgkmcnt(0)
	; wave barrier
	s_waitcnt lgkmcnt(0)
	s_and_saveexec_b64 s[10:11], s[4:5]
	s_cbranch_execz .LBB51_86
; %bb.77:
	s_andn2_b64 vcc, exec, s[8:9]
	s_cbranch_vccnz .LBB51_79
; %bb.78:
	buffer_load_dword v129, v107, s[0:3], 0 offen
	ds_read_b32 v130, v106
	s_waitcnt vmcnt(0) lgkmcnt(0)
	v_mul_f32_e32 v129, v129, v130
	s_cbranch_execz .LBB51_80
	s_branch .LBB51_81
.LBB51_79:
                                        ; implicit-def: $vgpr129
.LBB51_80:
	ds_read_b32 v129, v106
.LBB51_81:
	s_and_saveexec_b64 s[12:13], s[6:7]
	s_cbranch_execz .LBB51_85
; %bb.82:
	v_mov_b32_e32 v130, 0
	v_add_u32_e32 v130, 0xac, v130
	v_subrev_u32_e32 v131, 43, v0
	s_movk_i32 s14, 0x17c
	s_mov_b64 s[6:7], 0
.LBB51_83:                              ; =>This Inner Loop Header: Depth=1
	buffer_load_dword v132, v130, s[0:3], 0 offen
	v_mov_b32_e32 v133, s14
	ds_read_b32 v133, v133
	v_add_u32_e32 v131, -1, v131
	s_add_i32 s14, s14, 4
	v_cmp_eq_u32_e32 vcc, 0, v131
	v_add_u32_e32 v130, 4, v130
	s_or_b64 s[6:7], vcc, s[6:7]
	s_waitcnt vmcnt(0) lgkmcnt(0)
	v_fmac_f32_e32 v129, v132, v133
	s_andn2_b64 exec, exec, s[6:7]
	s_cbranch_execnz .LBB51_83
; %bb.84:
	s_or_b64 exec, exec, s[6:7]
.LBB51_85:
	s_or_b64 exec, exec, s[12:13]
	v_mov_b32_e32 v130, 0
	ds_read_b32 v130, v130 offset:168
	s_waitcnt lgkmcnt(0)
	v_mul_f32_e32 v129, v129, v130
	buffer_store_dword v129, off, s[0:3], 0 offset:168
.LBB51_86:
	s_or_b64 exec, exec, s[10:11]
	buffer_load_dword v129, off, s[0:3], 0 offset:164
	v_cmp_lt_u32_e64 s[6:7], 41, v0
	s_waitcnt vmcnt(0)
	ds_write_b32 v106, v129
	s_waitcnt lgkmcnt(0)
	; wave barrier
	s_waitcnt lgkmcnt(0)
	s_and_saveexec_b64 s[10:11], s[6:7]
	s_cbranch_execz .LBB51_96
; %bb.87:
	s_andn2_b64 vcc, exec, s[8:9]
	s_cbranch_vccnz .LBB51_89
; %bb.88:
	buffer_load_dword v129, v107, s[0:3], 0 offen
	ds_read_b32 v130, v106
	s_waitcnt vmcnt(0) lgkmcnt(0)
	v_mul_f32_e32 v129, v129, v130
	s_cbranch_execz .LBB51_90
	s_branch .LBB51_91
.LBB51_89:
                                        ; implicit-def: $vgpr129
.LBB51_90:
	ds_read_b32 v129, v106
.LBB51_91:
	s_and_saveexec_b64 s[12:13], s[4:5]
	s_cbranch_execz .LBB51_95
; %bb.92:
	v_subrev_u32_e32 v130, 42, v0
	s_movk_i32 s14, 0x178
	s_mov_b64 s[4:5], 0
.LBB51_93:                              ; =>This Inner Loop Header: Depth=1
	buffer_load_dword v131, v128, s[0:3], 0 offen
	v_mov_b32_e32 v132, s14
	ds_read_b32 v132, v132
	v_add_u32_e32 v130, -1, v130
	s_add_i32 s14, s14, 4
	v_cmp_eq_u32_e32 vcc, 0, v130
	v_add_u32_e32 v128, 4, v128
	s_or_b64 s[4:5], vcc, s[4:5]
	s_waitcnt vmcnt(0) lgkmcnt(0)
	v_fmac_f32_e32 v129, v131, v132
	s_andn2_b64 exec, exec, s[4:5]
	s_cbranch_execnz .LBB51_93
; %bb.94:
	s_or_b64 exec, exec, s[4:5]
.LBB51_95:
	s_or_b64 exec, exec, s[12:13]
	v_mov_b32_e32 v128, 0
	ds_read_b32 v128, v128 offset:164
	s_waitcnt lgkmcnt(0)
	v_mul_f32_e32 v128, v129, v128
	buffer_store_dword v128, off, s[0:3], 0 offset:164
.LBB51_96:
	s_or_b64 exec, exec, s[10:11]
	buffer_load_dword v128, off, s[0:3], 0 offset:160
	v_cmp_lt_u32_e64 s[4:5], 40, v0
	s_waitcnt vmcnt(0)
	ds_write_b32 v106, v128
	s_waitcnt lgkmcnt(0)
	; wave barrier
	s_waitcnt lgkmcnt(0)
	s_and_saveexec_b64 s[10:11], s[4:5]
	s_cbranch_execz .LBB51_106
; %bb.97:
	s_andn2_b64 vcc, exec, s[8:9]
	s_cbranch_vccnz .LBB51_99
; %bb.98:
	buffer_load_dword v128, v107, s[0:3], 0 offen
	ds_read_b32 v129, v106
	s_waitcnt vmcnt(0) lgkmcnt(0)
	v_mul_f32_e32 v128, v128, v129
	s_cbranch_execz .LBB51_100
	s_branch .LBB51_101
.LBB51_99:
                                        ; implicit-def: $vgpr128
.LBB51_100:
	ds_read_b32 v128, v106
.LBB51_101:
	s_and_saveexec_b64 s[12:13], s[6:7]
	s_cbranch_execz .LBB51_105
; %bb.102:
	v_mov_b32_e32 v129, 0
	v_add_u32_e32 v129, 0xa4, v129
	v_subrev_u32_e32 v130, 41, v0
	s_movk_i32 s14, 0x174
	s_mov_b64 s[6:7], 0
.LBB51_103:                             ; =>This Inner Loop Header: Depth=1
	buffer_load_dword v131, v129, s[0:3], 0 offen
	v_mov_b32_e32 v132, s14
	ds_read_b32 v132, v132
	v_add_u32_e32 v130, -1, v130
	s_add_i32 s14, s14, 4
	v_cmp_eq_u32_e32 vcc, 0, v130
	v_add_u32_e32 v129, 4, v129
	s_or_b64 s[6:7], vcc, s[6:7]
	s_waitcnt vmcnt(0) lgkmcnt(0)
	v_fmac_f32_e32 v128, v131, v132
	s_andn2_b64 exec, exec, s[6:7]
	s_cbranch_execnz .LBB51_103
; %bb.104:
	s_or_b64 exec, exec, s[6:7]
.LBB51_105:
	s_or_b64 exec, exec, s[12:13]
	v_mov_b32_e32 v129, 0
	ds_read_b32 v129, v129 offset:160
	s_waitcnt lgkmcnt(0)
	v_mul_f32_e32 v128, v128, v129
	buffer_store_dword v128, off, s[0:3], 0 offset:160
.LBB51_106:
	s_or_b64 exec, exec, s[10:11]
	buffer_load_dword v128, off, s[0:3], 0 offset:156
	v_cmp_lt_u32_e64 s[6:7], 39, v0
	s_waitcnt vmcnt(0)
	ds_write_b32 v106, v128
	s_waitcnt lgkmcnt(0)
	; wave barrier
	s_waitcnt lgkmcnt(0)
	s_and_saveexec_b64 s[10:11], s[6:7]
	s_cbranch_execz .LBB51_116
; %bb.107:
	s_andn2_b64 vcc, exec, s[8:9]
	s_cbranch_vccnz .LBB51_109
; %bb.108:
	buffer_load_dword v128, v107, s[0:3], 0 offen
	ds_read_b32 v129, v106
	s_waitcnt vmcnt(0) lgkmcnt(0)
	v_mul_f32_e32 v128, v128, v129
	s_cbranch_execz .LBB51_110
	s_branch .LBB51_111
.LBB51_109:
                                        ; implicit-def: $vgpr128
.LBB51_110:
	ds_read_b32 v128, v106
.LBB51_111:
	s_and_saveexec_b64 s[12:13], s[4:5]
	s_cbranch_execz .LBB51_115
; %bb.112:
	v_subrev_u32_e32 v129, 40, v0
	s_movk_i32 s14, 0x170
	s_mov_b64 s[4:5], 0
.LBB51_113:                             ; =>This Inner Loop Header: Depth=1
	buffer_load_dword v130, v127, s[0:3], 0 offen
	v_mov_b32_e32 v131, s14
	ds_read_b32 v131, v131
	v_add_u32_e32 v129, -1, v129
	s_add_i32 s14, s14, 4
	v_cmp_eq_u32_e32 vcc, 0, v129
	v_add_u32_e32 v127, 4, v127
	s_or_b64 s[4:5], vcc, s[4:5]
	s_waitcnt vmcnt(0) lgkmcnt(0)
	v_fmac_f32_e32 v128, v130, v131
	s_andn2_b64 exec, exec, s[4:5]
	s_cbranch_execnz .LBB51_113
; %bb.114:
	s_or_b64 exec, exec, s[4:5]
.LBB51_115:
	s_or_b64 exec, exec, s[12:13]
	v_mov_b32_e32 v127, 0
	ds_read_b32 v127, v127 offset:156
	s_waitcnt lgkmcnt(0)
	v_mul_f32_e32 v127, v128, v127
	buffer_store_dword v127, off, s[0:3], 0 offset:156
.LBB51_116:
	s_or_b64 exec, exec, s[10:11]
	buffer_load_dword v127, off, s[0:3], 0 offset:152
	v_cmp_lt_u32_e64 s[4:5], 38, v0
	s_waitcnt vmcnt(0)
	ds_write_b32 v106, v127
	s_waitcnt lgkmcnt(0)
	; wave barrier
	s_waitcnt lgkmcnt(0)
	s_and_saveexec_b64 s[10:11], s[4:5]
	s_cbranch_execz .LBB51_126
; %bb.117:
	s_andn2_b64 vcc, exec, s[8:9]
	s_cbranch_vccnz .LBB51_119
; %bb.118:
	buffer_load_dword v127, v107, s[0:3], 0 offen
	ds_read_b32 v128, v106
	s_waitcnt vmcnt(0) lgkmcnt(0)
	v_mul_f32_e32 v127, v127, v128
	s_cbranch_execz .LBB51_120
	s_branch .LBB51_121
.LBB51_119:
                                        ; implicit-def: $vgpr127
.LBB51_120:
	ds_read_b32 v127, v106
.LBB51_121:
	s_and_saveexec_b64 s[12:13], s[6:7]
	s_cbranch_execz .LBB51_125
; %bb.122:
	v_mov_b32_e32 v128, 0
	v_add_u32_e32 v128, 0x9c, v128
	v_subrev_u32_e32 v129, 39, v0
	s_movk_i32 s14, 0x16c
	s_mov_b64 s[6:7], 0
.LBB51_123:                             ; =>This Inner Loop Header: Depth=1
	buffer_load_dword v130, v128, s[0:3], 0 offen
	v_mov_b32_e32 v131, s14
	ds_read_b32 v131, v131
	v_add_u32_e32 v129, -1, v129
	s_add_i32 s14, s14, 4
	v_cmp_eq_u32_e32 vcc, 0, v129
	v_add_u32_e32 v128, 4, v128
	s_or_b64 s[6:7], vcc, s[6:7]
	s_waitcnt vmcnt(0) lgkmcnt(0)
	v_fmac_f32_e32 v127, v130, v131
	s_andn2_b64 exec, exec, s[6:7]
	s_cbranch_execnz .LBB51_123
; %bb.124:
	s_or_b64 exec, exec, s[6:7]
.LBB51_125:
	s_or_b64 exec, exec, s[12:13]
	v_mov_b32_e32 v128, 0
	ds_read_b32 v128, v128 offset:152
	s_waitcnt lgkmcnt(0)
	v_mul_f32_e32 v127, v127, v128
	buffer_store_dword v127, off, s[0:3], 0 offset:152
.LBB51_126:
	s_or_b64 exec, exec, s[10:11]
	buffer_load_dword v127, off, s[0:3], 0 offset:148
	v_cmp_lt_u32_e64 s[6:7], 37, v0
	s_waitcnt vmcnt(0)
	ds_write_b32 v106, v127
	s_waitcnt lgkmcnt(0)
	; wave barrier
	s_waitcnt lgkmcnt(0)
	s_and_saveexec_b64 s[10:11], s[6:7]
	s_cbranch_execz .LBB51_136
; %bb.127:
	s_andn2_b64 vcc, exec, s[8:9]
	s_cbranch_vccnz .LBB51_129
; %bb.128:
	buffer_load_dword v127, v107, s[0:3], 0 offen
	ds_read_b32 v128, v106
	s_waitcnt vmcnt(0) lgkmcnt(0)
	v_mul_f32_e32 v127, v127, v128
	s_cbranch_execz .LBB51_130
	s_branch .LBB51_131
.LBB51_129:
                                        ; implicit-def: $vgpr127
.LBB51_130:
	ds_read_b32 v127, v106
.LBB51_131:
	s_and_saveexec_b64 s[12:13], s[4:5]
	s_cbranch_execz .LBB51_135
; %bb.132:
	v_subrev_u32_e32 v128, 38, v0
	s_movk_i32 s14, 0x168
	s_mov_b64 s[4:5], 0
.LBB51_133:                             ; =>This Inner Loop Header: Depth=1
	buffer_load_dword v129, v126, s[0:3], 0 offen
	v_mov_b32_e32 v130, s14
	ds_read_b32 v130, v130
	v_add_u32_e32 v128, -1, v128
	s_add_i32 s14, s14, 4
	v_cmp_eq_u32_e32 vcc, 0, v128
	v_add_u32_e32 v126, 4, v126
	s_or_b64 s[4:5], vcc, s[4:5]
	s_waitcnt vmcnt(0) lgkmcnt(0)
	v_fmac_f32_e32 v127, v129, v130
	s_andn2_b64 exec, exec, s[4:5]
	s_cbranch_execnz .LBB51_133
; %bb.134:
	s_or_b64 exec, exec, s[4:5]
.LBB51_135:
	s_or_b64 exec, exec, s[12:13]
	v_mov_b32_e32 v126, 0
	ds_read_b32 v126, v126 offset:148
	s_waitcnt lgkmcnt(0)
	v_mul_f32_e32 v126, v127, v126
	buffer_store_dword v126, off, s[0:3], 0 offset:148
.LBB51_136:
	s_or_b64 exec, exec, s[10:11]
	buffer_load_dword v126, off, s[0:3], 0 offset:144
	v_cmp_lt_u32_e64 s[4:5], 36, v0
	s_waitcnt vmcnt(0)
	ds_write_b32 v106, v126
	s_waitcnt lgkmcnt(0)
	; wave barrier
	s_waitcnt lgkmcnt(0)
	s_and_saveexec_b64 s[10:11], s[4:5]
	s_cbranch_execz .LBB51_146
; %bb.137:
	s_andn2_b64 vcc, exec, s[8:9]
	s_cbranch_vccnz .LBB51_139
; %bb.138:
	buffer_load_dword v126, v107, s[0:3], 0 offen
	ds_read_b32 v127, v106
	s_waitcnt vmcnt(0) lgkmcnt(0)
	v_mul_f32_e32 v126, v126, v127
	s_cbranch_execz .LBB51_140
	s_branch .LBB51_141
.LBB51_139:
                                        ; implicit-def: $vgpr126
.LBB51_140:
	ds_read_b32 v126, v106
.LBB51_141:
	s_and_saveexec_b64 s[12:13], s[6:7]
	s_cbranch_execz .LBB51_145
; %bb.142:
	v_mov_b32_e32 v127, 0
	v_add_u32_e32 v127, 0x94, v127
	v_subrev_u32_e32 v128, 37, v0
	s_movk_i32 s14, 0x164
	s_mov_b64 s[6:7], 0
.LBB51_143:                             ; =>This Inner Loop Header: Depth=1
	buffer_load_dword v129, v127, s[0:3], 0 offen
	v_mov_b32_e32 v130, s14
	ds_read_b32 v130, v130
	v_add_u32_e32 v128, -1, v128
	s_add_i32 s14, s14, 4
	v_cmp_eq_u32_e32 vcc, 0, v128
	v_add_u32_e32 v127, 4, v127
	s_or_b64 s[6:7], vcc, s[6:7]
	s_waitcnt vmcnt(0) lgkmcnt(0)
	v_fmac_f32_e32 v126, v129, v130
	s_andn2_b64 exec, exec, s[6:7]
	s_cbranch_execnz .LBB51_143
; %bb.144:
	s_or_b64 exec, exec, s[6:7]
.LBB51_145:
	s_or_b64 exec, exec, s[12:13]
	v_mov_b32_e32 v127, 0
	ds_read_b32 v127, v127 offset:144
	s_waitcnt lgkmcnt(0)
	v_mul_f32_e32 v126, v126, v127
	buffer_store_dword v126, off, s[0:3], 0 offset:144
.LBB51_146:
	s_or_b64 exec, exec, s[10:11]
	buffer_load_dword v126, off, s[0:3], 0 offset:140
	v_cmp_lt_u32_e64 s[6:7], 35, v0
	s_waitcnt vmcnt(0)
	ds_write_b32 v106, v126
	s_waitcnt lgkmcnt(0)
	; wave barrier
	s_waitcnt lgkmcnt(0)
	s_and_saveexec_b64 s[10:11], s[6:7]
	s_cbranch_execz .LBB51_156
; %bb.147:
	s_andn2_b64 vcc, exec, s[8:9]
	s_cbranch_vccnz .LBB51_149
; %bb.148:
	buffer_load_dword v126, v107, s[0:3], 0 offen
	ds_read_b32 v127, v106
	s_waitcnt vmcnt(0) lgkmcnt(0)
	v_mul_f32_e32 v126, v126, v127
	s_cbranch_execz .LBB51_150
	s_branch .LBB51_151
.LBB51_149:
                                        ; implicit-def: $vgpr126
.LBB51_150:
	ds_read_b32 v126, v106
.LBB51_151:
	s_and_saveexec_b64 s[12:13], s[4:5]
	s_cbranch_execz .LBB51_155
; %bb.152:
	v_subrev_u32_e32 v127, 36, v0
	s_movk_i32 s14, 0x160
	s_mov_b64 s[4:5], 0
.LBB51_153:                             ; =>This Inner Loop Header: Depth=1
	buffer_load_dword v128, v125, s[0:3], 0 offen
	v_mov_b32_e32 v129, s14
	ds_read_b32 v129, v129
	v_add_u32_e32 v127, -1, v127
	s_add_i32 s14, s14, 4
	v_cmp_eq_u32_e32 vcc, 0, v127
	v_add_u32_e32 v125, 4, v125
	s_or_b64 s[4:5], vcc, s[4:5]
	s_waitcnt vmcnt(0) lgkmcnt(0)
	v_fmac_f32_e32 v126, v128, v129
	s_andn2_b64 exec, exec, s[4:5]
	s_cbranch_execnz .LBB51_153
; %bb.154:
	s_or_b64 exec, exec, s[4:5]
.LBB51_155:
	s_or_b64 exec, exec, s[12:13]
	v_mov_b32_e32 v125, 0
	ds_read_b32 v125, v125 offset:140
	s_waitcnt lgkmcnt(0)
	v_mul_f32_e32 v125, v126, v125
	buffer_store_dword v125, off, s[0:3], 0 offset:140
.LBB51_156:
	s_or_b64 exec, exec, s[10:11]
	buffer_load_dword v125, off, s[0:3], 0 offset:136
	v_cmp_lt_u32_e64 s[4:5], 34, v0
	s_waitcnt vmcnt(0)
	ds_write_b32 v106, v125
	s_waitcnt lgkmcnt(0)
	; wave barrier
	s_waitcnt lgkmcnt(0)
	s_and_saveexec_b64 s[10:11], s[4:5]
	s_cbranch_execz .LBB51_166
; %bb.157:
	s_andn2_b64 vcc, exec, s[8:9]
	s_cbranch_vccnz .LBB51_159
; %bb.158:
	buffer_load_dword v125, v107, s[0:3], 0 offen
	ds_read_b32 v126, v106
	s_waitcnt vmcnt(0) lgkmcnt(0)
	v_mul_f32_e32 v125, v125, v126
	s_cbranch_execz .LBB51_160
	s_branch .LBB51_161
.LBB51_159:
                                        ; implicit-def: $vgpr125
.LBB51_160:
	ds_read_b32 v125, v106
.LBB51_161:
	s_and_saveexec_b64 s[12:13], s[6:7]
	s_cbranch_execz .LBB51_165
; %bb.162:
	v_mov_b32_e32 v126, 0
	v_add_u32_e32 v126, 0x8c, v126
	v_subrev_u32_e32 v127, 35, v0
	s_movk_i32 s14, 0x15c
	s_mov_b64 s[6:7], 0
.LBB51_163:                             ; =>This Inner Loop Header: Depth=1
	buffer_load_dword v128, v126, s[0:3], 0 offen
	v_mov_b32_e32 v129, s14
	ds_read_b32 v129, v129
	v_add_u32_e32 v127, -1, v127
	s_add_i32 s14, s14, 4
	v_cmp_eq_u32_e32 vcc, 0, v127
	v_add_u32_e32 v126, 4, v126
	s_or_b64 s[6:7], vcc, s[6:7]
	s_waitcnt vmcnt(0) lgkmcnt(0)
	v_fmac_f32_e32 v125, v128, v129
	s_andn2_b64 exec, exec, s[6:7]
	s_cbranch_execnz .LBB51_163
; %bb.164:
	s_or_b64 exec, exec, s[6:7]
.LBB51_165:
	s_or_b64 exec, exec, s[12:13]
	v_mov_b32_e32 v126, 0
	ds_read_b32 v126, v126 offset:136
	s_waitcnt lgkmcnt(0)
	v_mul_f32_e32 v125, v125, v126
	buffer_store_dword v125, off, s[0:3], 0 offset:136
.LBB51_166:
	s_or_b64 exec, exec, s[10:11]
	buffer_load_dword v125, off, s[0:3], 0 offset:132
	v_cmp_lt_u32_e64 s[6:7], 33, v0
	s_waitcnt vmcnt(0)
	ds_write_b32 v106, v125
	s_waitcnt lgkmcnt(0)
	; wave barrier
	s_waitcnt lgkmcnt(0)
	s_and_saveexec_b64 s[10:11], s[6:7]
	s_cbranch_execz .LBB51_176
; %bb.167:
	s_andn2_b64 vcc, exec, s[8:9]
	s_cbranch_vccnz .LBB51_169
; %bb.168:
	buffer_load_dword v125, v107, s[0:3], 0 offen
	ds_read_b32 v126, v106
	s_waitcnt vmcnt(0) lgkmcnt(0)
	v_mul_f32_e32 v125, v125, v126
	s_cbranch_execz .LBB51_170
	s_branch .LBB51_171
.LBB51_169:
                                        ; implicit-def: $vgpr125
.LBB51_170:
	ds_read_b32 v125, v106
.LBB51_171:
	s_and_saveexec_b64 s[12:13], s[4:5]
	s_cbranch_execz .LBB51_175
; %bb.172:
	v_subrev_u32_e32 v126, 34, v0
	s_movk_i32 s14, 0x158
	s_mov_b64 s[4:5], 0
.LBB51_173:                             ; =>This Inner Loop Header: Depth=1
	buffer_load_dword v127, v124, s[0:3], 0 offen
	v_mov_b32_e32 v128, s14
	ds_read_b32 v128, v128
	v_add_u32_e32 v126, -1, v126
	s_add_i32 s14, s14, 4
	v_cmp_eq_u32_e32 vcc, 0, v126
	v_add_u32_e32 v124, 4, v124
	s_or_b64 s[4:5], vcc, s[4:5]
	s_waitcnt vmcnt(0) lgkmcnt(0)
	v_fmac_f32_e32 v125, v127, v128
	s_andn2_b64 exec, exec, s[4:5]
	s_cbranch_execnz .LBB51_173
; %bb.174:
	s_or_b64 exec, exec, s[4:5]
.LBB51_175:
	s_or_b64 exec, exec, s[12:13]
	v_mov_b32_e32 v124, 0
	ds_read_b32 v124, v124 offset:132
	s_waitcnt lgkmcnt(0)
	v_mul_f32_e32 v124, v125, v124
	buffer_store_dword v124, off, s[0:3], 0 offset:132
.LBB51_176:
	s_or_b64 exec, exec, s[10:11]
	buffer_load_dword v124, off, s[0:3], 0 offset:128
	v_cmp_lt_u32_e64 s[4:5], 32, v0
	s_waitcnt vmcnt(0)
	ds_write_b32 v106, v124
	s_waitcnt lgkmcnt(0)
	; wave barrier
	s_waitcnt lgkmcnt(0)
	s_and_saveexec_b64 s[10:11], s[4:5]
	s_cbranch_execz .LBB51_186
; %bb.177:
	s_andn2_b64 vcc, exec, s[8:9]
	s_cbranch_vccnz .LBB51_179
; %bb.178:
	buffer_load_dword v124, v107, s[0:3], 0 offen
	ds_read_b32 v125, v106
	s_waitcnt vmcnt(0) lgkmcnt(0)
	v_mul_f32_e32 v124, v124, v125
	s_cbranch_execz .LBB51_180
	s_branch .LBB51_181
.LBB51_179:
                                        ; implicit-def: $vgpr124
.LBB51_180:
	ds_read_b32 v124, v106
.LBB51_181:
	s_and_saveexec_b64 s[12:13], s[6:7]
	s_cbranch_execz .LBB51_185
; %bb.182:
	v_mov_b32_e32 v125, 0
	v_add_u32_e32 v125, 0x84, v125
	v_subrev_u32_e32 v126, 33, v0
	s_movk_i32 s14, 0x154
	s_mov_b64 s[6:7], 0
.LBB51_183:                             ; =>This Inner Loop Header: Depth=1
	buffer_load_dword v127, v125, s[0:3], 0 offen
	v_mov_b32_e32 v128, s14
	ds_read_b32 v128, v128
	v_add_u32_e32 v126, -1, v126
	s_add_i32 s14, s14, 4
	v_cmp_eq_u32_e32 vcc, 0, v126
	v_add_u32_e32 v125, 4, v125
	s_or_b64 s[6:7], vcc, s[6:7]
	s_waitcnt vmcnt(0) lgkmcnt(0)
	v_fmac_f32_e32 v124, v127, v128
	s_andn2_b64 exec, exec, s[6:7]
	s_cbranch_execnz .LBB51_183
; %bb.184:
	s_or_b64 exec, exec, s[6:7]
.LBB51_185:
	s_or_b64 exec, exec, s[12:13]
	v_mov_b32_e32 v125, 0
	ds_read_b32 v125, v125 offset:128
	s_waitcnt lgkmcnt(0)
	v_mul_f32_e32 v124, v124, v125
	buffer_store_dword v124, off, s[0:3], 0 offset:128
.LBB51_186:
	s_or_b64 exec, exec, s[10:11]
	buffer_load_dword v124, off, s[0:3], 0 offset:124
	v_cmp_lt_u32_e64 s[6:7], 31, v0
	s_waitcnt vmcnt(0)
	ds_write_b32 v106, v124
	s_waitcnt lgkmcnt(0)
	; wave barrier
	s_waitcnt lgkmcnt(0)
	s_and_saveexec_b64 s[10:11], s[6:7]
	s_cbranch_execz .LBB51_196
; %bb.187:
	s_andn2_b64 vcc, exec, s[8:9]
	s_cbranch_vccnz .LBB51_189
; %bb.188:
	buffer_load_dword v124, v107, s[0:3], 0 offen
	ds_read_b32 v125, v106
	s_waitcnt vmcnt(0) lgkmcnt(0)
	v_mul_f32_e32 v124, v124, v125
	s_cbranch_execz .LBB51_190
	s_branch .LBB51_191
.LBB51_189:
                                        ; implicit-def: $vgpr124
.LBB51_190:
	ds_read_b32 v124, v106
.LBB51_191:
	s_and_saveexec_b64 s[12:13], s[4:5]
	s_cbranch_execz .LBB51_195
; %bb.192:
	v_subrev_u32_e32 v125, 32, v0
	s_movk_i32 s14, 0x150
	s_mov_b64 s[4:5], 0
.LBB51_193:                             ; =>This Inner Loop Header: Depth=1
	buffer_load_dword v126, v123, s[0:3], 0 offen
	v_mov_b32_e32 v127, s14
	ds_read_b32 v127, v127
	v_add_u32_e32 v125, -1, v125
	s_add_i32 s14, s14, 4
	v_cmp_eq_u32_e32 vcc, 0, v125
	v_add_u32_e32 v123, 4, v123
	s_or_b64 s[4:5], vcc, s[4:5]
	s_waitcnt vmcnt(0) lgkmcnt(0)
	v_fmac_f32_e32 v124, v126, v127
	s_andn2_b64 exec, exec, s[4:5]
	s_cbranch_execnz .LBB51_193
; %bb.194:
	s_or_b64 exec, exec, s[4:5]
.LBB51_195:
	s_or_b64 exec, exec, s[12:13]
	v_mov_b32_e32 v123, 0
	ds_read_b32 v123, v123 offset:124
	s_waitcnt lgkmcnt(0)
	v_mul_f32_e32 v123, v124, v123
	buffer_store_dword v123, off, s[0:3], 0 offset:124
.LBB51_196:
	s_or_b64 exec, exec, s[10:11]
	buffer_load_dword v123, off, s[0:3], 0 offset:120
	v_cmp_lt_u32_e64 s[4:5], 30, v0
	s_waitcnt vmcnt(0)
	ds_write_b32 v106, v123
	s_waitcnt lgkmcnt(0)
	; wave barrier
	s_waitcnt lgkmcnt(0)
	s_and_saveexec_b64 s[10:11], s[4:5]
	s_cbranch_execz .LBB51_206
; %bb.197:
	s_andn2_b64 vcc, exec, s[8:9]
	s_cbranch_vccnz .LBB51_199
; %bb.198:
	buffer_load_dword v123, v107, s[0:3], 0 offen
	ds_read_b32 v124, v106
	s_waitcnt vmcnt(0) lgkmcnt(0)
	v_mul_f32_e32 v123, v123, v124
	s_cbranch_execz .LBB51_200
	s_branch .LBB51_201
.LBB51_199:
                                        ; implicit-def: $vgpr123
.LBB51_200:
	ds_read_b32 v123, v106
.LBB51_201:
	s_and_saveexec_b64 s[12:13], s[6:7]
	s_cbranch_execz .LBB51_205
; %bb.202:
	v_mov_b32_e32 v124, 0
	v_add_u32_e32 v124, 0x7c, v124
	v_subrev_u32_e32 v125, 31, v0
	s_movk_i32 s14, 0x14c
	s_mov_b64 s[6:7], 0
.LBB51_203:                             ; =>This Inner Loop Header: Depth=1
	buffer_load_dword v126, v124, s[0:3], 0 offen
	v_mov_b32_e32 v127, s14
	ds_read_b32 v127, v127
	v_add_u32_e32 v125, -1, v125
	s_add_i32 s14, s14, 4
	v_cmp_eq_u32_e32 vcc, 0, v125
	v_add_u32_e32 v124, 4, v124
	s_or_b64 s[6:7], vcc, s[6:7]
	s_waitcnt vmcnt(0) lgkmcnt(0)
	v_fmac_f32_e32 v123, v126, v127
	s_andn2_b64 exec, exec, s[6:7]
	s_cbranch_execnz .LBB51_203
; %bb.204:
	s_or_b64 exec, exec, s[6:7]
.LBB51_205:
	s_or_b64 exec, exec, s[12:13]
	v_mov_b32_e32 v124, 0
	ds_read_b32 v124, v124 offset:120
	s_waitcnt lgkmcnt(0)
	v_mul_f32_e32 v123, v123, v124
	buffer_store_dword v123, off, s[0:3], 0 offset:120
.LBB51_206:
	s_or_b64 exec, exec, s[10:11]
	buffer_load_dword v123, off, s[0:3], 0 offset:116
	v_cmp_lt_u32_e64 s[6:7], 29, v0
	s_waitcnt vmcnt(0)
	ds_write_b32 v106, v123
	s_waitcnt lgkmcnt(0)
	; wave barrier
	s_waitcnt lgkmcnt(0)
	s_and_saveexec_b64 s[10:11], s[6:7]
	s_cbranch_execz .LBB51_216
; %bb.207:
	s_andn2_b64 vcc, exec, s[8:9]
	s_cbranch_vccnz .LBB51_209
; %bb.208:
	buffer_load_dword v123, v107, s[0:3], 0 offen
	ds_read_b32 v124, v106
	s_waitcnt vmcnt(0) lgkmcnt(0)
	v_mul_f32_e32 v123, v123, v124
	s_cbranch_execz .LBB51_210
	s_branch .LBB51_211
.LBB51_209:
                                        ; implicit-def: $vgpr123
.LBB51_210:
	ds_read_b32 v123, v106
.LBB51_211:
	s_and_saveexec_b64 s[12:13], s[4:5]
	s_cbranch_execz .LBB51_215
; %bb.212:
	v_subrev_u32_e32 v124, 30, v0
	s_movk_i32 s14, 0x148
	s_mov_b64 s[4:5], 0
.LBB51_213:                             ; =>This Inner Loop Header: Depth=1
	buffer_load_dword v125, v122, s[0:3], 0 offen
	v_mov_b32_e32 v126, s14
	ds_read_b32 v126, v126
	v_add_u32_e32 v124, -1, v124
	s_add_i32 s14, s14, 4
	v_cmp_eq_u32_e32 vcc, 0, v124
	v_add_u32_e32 v122, 4, v122
	s_or_b64 s[4:5], vcc, s[4:5]
	s_waitcnt vmcnt(0) lgkmcnt(0)
	v_fmac_f32_e32 v123, v125, v126
	s_andn2_b64 exec, exec, s[4:5]
	s_cbranch_execnz .LBB51_213
; %bb.214:
	s_or_b64 exec, exec, s[4:5]
.LBB51_215:
	s_or_b64 exec, exec, s[12:13]
	v_mov_b32_e32 v122, 0
	ds_read_b32 v122, v122 offset:116
	s_waitcnt lgkmcnt(0)
	v_mul_f32_e32 v122, v123, v122
	buffer_store_dword v122, off, s[0:3], 0 offset:116
.LBB51_216:
	s_or_b64 exec, exec, s[10:11]
	buffer_load_dword v122, off, s[0:3], 0 offset:112
	v_cmp_lt_u32_e64 s[4:5], 28, v0
	s_waitcnt vmcnt(0)
	ds_write_b32 v106, v122
	s_waitcnt lgkmcnt(0)
	; wave barrier
	s_waitcnt lgkmcnt(0)
	s_and_saveexec_b64 s[10:11], s[4:5]
	s_cbranch_execz .LBB51_226
; %bb.217:
	s_andn2_b64 vcc, exec, s[8:9]
	s_cbranch_vccnz .LBB51_219
; %bb.218:
	buffer_load_dword v122, v107, s[0:3], 0 offen
	ds_read_b32 v123, v106
	s_waitcnt vmcnt(0) lgkmcnt(0)
	v_mul_f32_e32 v122, v122, v123
	s_cbranch_execz .LBB51_220
	s_branch .LBB51_221
.LBB51_219:
                                        ; implicit-def: $vgpr122
.LBB51_220:
	ds_read_b32 v122, v106
.LBB51_221:
	s_and_saveexec_b64 s[12:13], s[6:7]
	s_cbranch_execz .LBB51_225
; %bb.222:
	v_mov_b32_e32 v123, 0
	v_add_u32_e32 v123, 0x74, v123
	v_subrev_u32_e32 v124, 29, v0
	s_movk_i32 s14, 0x144
	s_mov_b64 s[6:7], 0
.LBB51_223:                             ; =>This Inner Loop Header: Depth=1
	buffer_load_dword v125, v123, s[0:3], 0 offen
	v_mov_b32_e32 v126, s14
	ds_read_b32 v126, v126
	v_add_u32_e32 v124, -1, v124
	s_add_i32 s14, s14, 4
	v_cmp_eq_u32_e32 vcc, 0, v124
	v_add_u32_e32 v123, 4, v123
	s_or_b64 s[6:7], vcc, s[6:7]
	s_waitcnt vmcnt(0) lgkmcnt(0)
	v_fmac_f32_e32 v122, v125, v126
	s_andn2_b64 exec, exec, s[6:7]
	s_cbranch_execnz .LBB51_223
; %bb.224:
	s_or_b64 exec, exec, s[6:7]
.LBB51_225:
	s_or_b64 exec, exec, s[12:13]
	v_mov_b32_e32 v123, 0
	ds_read_b32 v123, v123 offset:112
	s_waitcnt lgkmcnt(0)
	v_mul_f32_e32 v122, v122, v123
	buffer_store_dword v122, off, s[0:3], 0 offset:112
.LBB51_226:
	s_or_b64 exec, exec, s[10:11]
	buffer_load_dword v122, off, s[0:3], 0 offset:108
	v_cmp_lt_u32_e64 s[6:7], 27, v0
	s_waitcnt vmcnt(0)
	ds_write_b32 v106, v122
	s_waitcnt lgkmcnt(0)
	; wave barrier
	s_waitcnt lgkmcnt(0)
	s_and_saveexec_b64 s[10:11], s[6:7]
	s_cbranch_execz .LBB51_236
; %bb.227:
	s_andn2_b64 vcc, exec, s[8:9]
	s_cbranch_vccnz .LBB51_229
; %bb.228:
	buffer_load_dword v122, v107, s[0:3], 0 offen
	ds_read_b32 v123, v106
	s_waitcnt vmcnt(0) lgkmcnt(0)
	v_mul_f32_e32 v122, v122, v123
	s_cbranch_execz .LBB51_230
	s_branch .LBB51_231
.LBB51_229:
                                        ; implicit-def: $vgpr122
.LBB51_230:
	ds_read_b32 v122, v106
.LBB51_231:
	s_and_saveexec_b64 s[12:13], s[4:5]
	s_cbranch_execz .LBB51_235
; %bb.232:
	v_subrev_u32_e32 v123, 28, v0
	s_movk_i32 s14, 0x140
	s_mov_b64 s[4:5], 0
.LBB51_233:                             ; =>This Inner Loop Header: Depth=1
	buffer_load_dword v124, v121, s[0:3], 0 offen
	v_mov_b32_e32 v125, s14
	ds_read_b32 v125, v125
	v_add_u32_e32 v123, -1, v123
	s_add_i32 s14, s14, 4
	v_cmp_eq_u32_e32 vcc, 0, v123
	v_add_u32_e32 v121, 4, v121
	s_or_b64 s[4:5], vcc, s[4:5]
	s_waitcnt vmcnt(0) lgkmcnt(0)
	v_fmac_f32_e32 v122, v124, v125
	s_andn2_b64 exec, exec, s[4:5]
	s_cbranch_execnz .LBB51_233
; %bb.234:
	s_or_b64 exec, exec, s[4:5]
.LBB51_235:
	s_or_b64 exec, exec, s[12:13]
	v_mov_b32_e32 v121, 0
	ds_read_b32 v121, v121 offset:108
	s_waitcnt lgkmcnt(0)
	v_mul_f32_e32 v121, v122, v121
	buffer_store_dword v121, off, s[0:3], 0 offset:108
.LBB51_236:
	s_or_b64 exec, exec, s[10:11]
	buffer_load_dword v121, off, s[0:3], 0 offset:104
	v_cmp_lt_u32_e64 s[4:5], 26, v0
	s_waitcnt vmcnt(0)
	ds_write_b32 v106, v121
	s_waitcnt lgkmcnt(0)
	; wave barrier
	s_waitcnt lgkmcnt(0)
	s_and_saveexec_b64 s[10:11], s[4:5]
	s_cbranch_execz .LBB51_246
; %bb.237:
	s_andn2_b64 vcc, exec, s[8:9]
	s_cbranch_vccnz .LBB51_239
; %bb.238:
	buffer_load_dword v121, v107, s[0:3], 0 offen
	ds_read_b32 v122, v106
	s_waitcnt vmcnt(0) lgkmcnt(0)
	v_mul_f32_e32 v121, v121, v122
	s_cbranch_execz .LBB51_240
	s_branch .LBB51_241
.LBB51_239:
                                        ; implicit-def: $vgpr121
.LBB51_240:
	ds_read_b32 v121, v106
.LBB51_241:
	s_and_saveexec_b64 s[12:13], s[6:7]
	s_cbranch_execz .LBB51_245
; %bb.242:
	v_mov_b32_e32 v122, 0
	v_add_u32_e32 v122, 0x6c, v122
	v_subrev_u32_e32 v123, 27, v0
	s_movk_i32 s14, 0x13c
	s_mov_b64 s[6:7], 0
.LBB51_243:                             ; =>This Inner Loop Header: Depth=1
	buffer_load_dword v124, v122, s[0:3], 0 offen
	v_mov_b32_e32 v125, s14
	ds_read_b32 v125, v125
	v_add_u32_e32 v123, -1, v123
	s_add_i32 s14, s14, 4
	v_cmp_eq_u32_e32 vcc, 0, v123
	v_add_u32_e32 v122, 4, v122
	s_or_b64 s[6:7], vcc, s[6:7]
	s_waitcnt vmcnt(0) lgkmcnt(0)
	v_fmac_f32_e32 v121, v124, v125
	s_andn2_b64 exec, exec, s[6:7]
	s_cbranch_execnz .LBB51_243
; %bb.244:
	s_or_b64 exec, exec, s[6:7]
.LBB51_245:
	s_or_b64 exec, exec, s[12:13]
	v_mov_b32_e32 v122, 0
	ds_read_b32 v122, v122 offset:104
	s_waitcnt lgkmcnt(0)
	v_mul_f32_e32 v121, v121, v122
	buffer_store_dword v121, off, s[0:3], 0 offset:104
.LBB51_246:
	s_or_b64 exec, exec, s[10:11]
	buffer_load_dword v121, off, s[0:3], 0 offset:100
	v_cmp_lt_u32_e64 s[6:7], 25, v0
	s_waitcnt vmcnt(0)
	ds_write_b32 v106, v121
	s_waitcnt lgkmcnt(0)
	; wave barrier
	s_waitcnt lgkmcnt(0)
	s_and_saveexec_b64 s[10:11], s[6:7]
	s_cbranch_execz .LBB51_256
; %bb.247:
	s_andn2_b64 vcc, exec, s[8:9]
	s_cbranch_vccnz .LBB51_249
; %bb.248:
	buffer_load_dword v121, v107, s[0:3], 0 offen
	ds_read_b32 v122, v106
	s_waitcnt vmcnt(0) lgkmcnt(0)
	v_mul_f32_e32 v121, v121, v122
	s_cbranch_execz .LBB51_250
	s_branch .LBB51_251
.LBB51_249:
                                        ; implicit-def: $vgpr121
.LBB51_250:
	ds_read_b32 v121, v106
.LBB51_251:
	s_and_saveexec_b64 s[12:13], s[4:5]
	s_cbranch_execz .LBB51_255
; %bb.252:
	v_subrev_u32_e32 v122, 26, v0
	s_movk_i32 s14, 0x138
	s_mov_b64 s[4:5], 0
.LBB51_253:                             ; =>This Inner Loop Header: Depth=1
	buffer_load_dword v123, v120, s[0:3], 0 offen
	v_mov_b32_e32 v124, s14
	ds_read_b32 v124, v124
	v_add_u32_e32 v122, -1, v122
	s_add_i32 s14, s14, 4
	v_cmp_eq_u32_e32 vcc, 0, v122
	v_add_u32_e32 v120, 4, v120
	s_or_b64 s[4:5], vcc, s[4:5]
	s_waitcnt vmcnt(0) lgkmcnt(0)
	v_fmac_f32_e32 v121, v123, v124
	s_andn2_b64 exec, exec, s[4:5]
	s_cbranch_execnz .LBB51_253
; %bb.254:
	s_or_b64 exec, exec, s[4:5]
.LBB51_255:
	s_or_b64 exec, exec, s[12:13]
	v_mov_b32_e32 v120, 0
	ds_read_b32 v120, v120 offset:100
	s_waitcnt lgkmcnt(0)
	v_mul_f32_e32 v120, v121, v120
	buffer_store_dword v120, off, s[0:3], 0 offset:100
.LBB51_256:
	s_or_b64 exec, exec, s[10:11]
	buffer_load_dword v120, off, s[0:3], 0 offset:96
	v_cmp_lt_u32_e64 s[4:5], 24, v0
	s_waitcnt vmcnt(0)
	ds_write_b32 v106, v120
	s_waitcnt lgkmcnt(0)
	; wave barrier
	s_waitcnt lgkmcnt(0)
	s_and_saveexec_b64 s[10:11], s[4:5]
	s_cbranch_execz .LBB51_266
; %bb.257:
	s_andn2_b64 vcc, exec, s[8:9]
	s_cbranch_vccnz .LBB51_259
; %bb.258:
	buffer_load_dword v120, v107, s[0:3], 0 offen
	ds_read_b32 v121, v106
	s_waitcnt vmcnt(0) lgkmcnt(0)
	v_mul_f32_e32 v120, v120, v121
	s_cbranch_execz .LBB51_260
	s_branch .LBB51_261
.LBB51_259:
                                        ; implicit-def: $vgpr120
.LBB51_260:
	ds_read_b32 v120, v106
.LBB51_261:
	s_and_saveexec_b64 s[12:13], s[6:7]
	s_cbranch_execz .LBB51_265
; %bb.262:
	v_mov_b32_e32 v121, 0
	v_add_u32_e32 v121, 0x64, v121
	v_subrev_u32_e32 v122, 25, v0
	s_movk_i32 s14, 0x134
	s_mov_b64 s[6:7], 0
.LBB51_263:                             ; =>This Inner Loop Header: Depth=1
	buffer_load_dword v123, v121, s[0:3], 0 offen
	v_mov_b32_e32 v124, s14
	ds_read_b32 v124, v124
	v_add_u32_e32 v122, -1, v122
	s_add_i32 s14, s14, 4
	v_cmp_eq_u32_e32 vcc, 0, v122
	v_add_u32_e32 v121, 4, v121
	s_or_b64 s[6:7], vcc, s[6:7]
	s_waitcnt vmcnt(0) lgkmcnt(0)
	v_fmac_f32_e32 v120, v123, v124
	s_andn2_b64 exec, exec, s[6:7]
	s_cbranch_execnz .LBB51_263
; %bb.264:
	s_or_b64 exec, exec, s[6:7]
.LBB51_265:
	s_or_b64 exec, exec, s[12:13]
	v_mov_b32_e32 v121, 0
	ds_read_b32 v121, v121 offset:96
	s_waitcnt lgkmcnt(0)
	v_mul_f32_e32 v120, v120, v121
	buffer_store_dword v120, off, s[0:3], 0 offset:96
.LBB51_266:
	s_or_b64 exec, exec, s[10:11]
	buffer_load_dword v120, off, s[0:3], 0 offset:92
	v_cmp_lt_u32_e64 s[6:7], 23, v0
	s_waitcnt vmcnt(0)
	ds_write_b32 v106, v120
	s_waitcnt lgkmcnt(0)
	; wave barrier
	s_waitcnt lgkmcnt(0)
	s_and_saveexec_b64 s[10:11], s[6:7]
	s_cbranch_execz .LBB51_276
; %bb.267:
	s_andn2_b64 vcc, exec, s[8:9]
	s_cbranch_vccnz .LBB51_269
; %bb.268:
	buffer_load_dword v120, v107, s[0:3], 0 offen
	ds_read_b32 v121, v106
	s_waitcnt vmcnt(0) lgkmcnt(0)
	v_mul_f32_e32 v120, v120, v121
	s_cbranch_execz .LBB51_270
	s_branch .LBB51_271
.LBB51_269:
                                        ; implicit-def: $vgpr120
.LBB51_270:
	ds_read_b32 v120, v106
.LBB51_271:
	s_and_saveexec_b64 s[12:13], s[4:5]
	s_cbranch_execz .LBB51_275
; %bb.272:
	v_subrev_u32_e32 v121, 24, v0
	s_movk_i32 s14, 0x130
	s_mov_b64 s[4:5], 0
.LBB51_273:                             ; =>This Inner Loop Header: Depth=1
	buffer_load_dword v122, v119, s[0:3], 0 offen
	v_mov_b32_e32 v123, s14
	ds_read_b32 v123, v123
	v_add_u32_e32 v121, -1, v121
	s_add_i32 s14, s14, 4
	v_cmp_eq_u32_e32 vcc, 0, v121
	v_add_u32_e32 v119, 4, v119
	s_or_b64 s[4:5], vcc, s[4:5]
	s_waitcnt vmcnt(0) lgkmcnt(0)
	v_fmac_f32_e32 v120, v122, v123
	s_andn2_b64 exec, exec, s[4:5]
	s_cbranch_execnz .LBB51_273
; %bb.274:
	s_or_b64 exec, exec, s[4:5]
.LBB51_275:
	s_or_b64 exec, exec, s[12:13]
	v_mov_b32_e32 v119, 0
	ds_read_b32 v119, v119 offset:92
	s_waitcnt lgkmcnt(0)
	v_mul_f32_e32 v119, v120, v119
	buffer_store_dword v119, off, s[0:3], 0 offset:92
.LBB51_276:
	s_or_b64 exec, exec, s[10:11]
	buffer_load_dword v119, off, s[0:3], 0 offset:88
	v_cmp_lt_u32_e64 s[4:5], 22, v0
	s_waitcnt vmcnt(0)
	ds_write_b32 v106, v119
	s_waitcnt lgkmcnt(0)
	; wave barrier
	s_waitcnt lgkmcnt(0)
	s_and_saveexec_b64 s[10:11], s[4:5]
	s_cbranch_execz .LBB51_286
; %bb.277:
	s_andn2_b64 vcc, exec, s[8:9]
	s_cbranch_vccnz .LBB51_279
; %bb.278:
	buffer_load_dword v119, v107, s[0:3], 0 offen
	ds_read_b32 v120, v106
	s_waitcnt vmcnt(0) lgkmcnt(0)
	v_mul_f32_e32 v119, v119, v120
	s_cbranch_execz .LBB51_280
	s_branch .LBB51_281
.LBB51_279:
                                        ; implicit-def: $vgpr119
.LBB51_280:
	ds_read_b32 v119, v106
.LBB51_281:
	s_and_saveexec_b64 s[12:13], s[6:7]
	s_cbranch_execz .LBB51_285
; %bb.282:
	v_mov_b32_e32 v120, 0
	v_add_u32_e32 v120, 0x5c, v120
	v_subrev_u32_e32 v121, 23, v0
	s_movk_i32 s14, 0x12c
	s_mov_b64 s[6:7], 0
.LBB51_283:                             ; =>This Inner Loop Header: Depth=1
	buffer_load_dword v122, v120, s[0:3], 0 offen
	v_mov_b32_e32 v123, s14
	ds_read_b32 v123, v123
	v_add_u32_e32 v121, -1, v121
	s_add_i32 s14, s14, 4
	v_cmp_eq_u32_e32 vcc, 0, v121
	v_add_u32_e32 v120, 4, v120
	s_or_b64 s[6:7], vcc, s[6:7]
	s_waitcnt vmcnt(0) lgkmcnt(0)
	v_fmac_f32_e32 v119, v122, v123
	s_andn2_b64 exec, exec, s[6:7]
	s_cbranch_execnz .LBB51_283
; %bb.284:
	s_or_b64 exec, exec, s[6:7]
.LBB51_285:
	s_or_b64 exec, exec, s[12:13]
	v_mov_b32_e32 v120, 0
	ds_read_b32 v120, v120 offset:88
	s_waitcnt lgkmcnt(0)
	v_mul_f32_e32 v119, v119, v120
	buffer_store_dword v119, off, s[0:3], 0 offset:88
.LBB51_286:
	s_or_b64 exec, exec, s[10:11]
	buffer_load_dword v119, off, s[0:3], 0 offset:84
	v_cmp_lt_u32_e64 s[6:7], 21, v0
	s_waitcnt vmcnt(0)
	ds_write_b32 v106, v119
	s_waitcnt lgkmcnt(0)
	; wave barrier
	s_waitcnt lgkmcnt(0)
	s_and_saveexec_b64 s[10:11], s[6:7]
	s_cbranch_execz .LBB51_296
; %bb.287:
	s_andn2_b64 vcc, exec, s[8:9]
	s_cbranch_vccnz .LBB51_289
; %bb.288:
	buffer_load_dword v119, v107, s[0:3], 0 offen
	ds_read_b32 v120, v106
	s_waitcnt vmcnt(0) lgkmcnt(0)
	v_mul_f32_e32 v119, v119, v120
	s_cbranch_execz .LBB51_290
	s_branch .LBB51_291
.LBB51_289:
                                        ; implicit-def: $vgpr119
.LBB51_290:
	ds_read_b32 v119, v106
.LBB51_291:
	s_and_saveexec_b64 s[12:13], s[4:5]
	s_cbranch_execz .LBB51_295
; %bb.292:
	v_subrev_u32_e32 v120, 22, v0
	s_movk_i32 s14, 0x128
	s_mov_b64 s[4:5], 0
.LBB51_293:                             ; =>This Inner Loop Header: Depth=1
	buffer_load_dword v121, v118, s[0:3], 0 offen
	v_mov_b32_e32 v122, s14
	ds_read_b32 v122, v122
	v_add_u32_e32 v120, -1, v120
	s_add_i32 s14, s14, 4
	v_cmp_eq_u32_e32 vcc, 0, v120
	v_add_u32_e32 v118, 4, v118
	s_or_b64 s[4:5], vcc, s[4:5]
	s_waitcnt vmcnt(0) lgkmcnt(0)
	v_fmac_f32_e32 v119, v121, v122
	s_andn2_b64 exec, exec, s[4:5]
	s_cbranch_execnz .LBB51_293
; %bb.294:
	s_or_b64 exec, exec, s[4:5]
.LBB51_295:
	s_or_b64 exec, exec, s[12:13]
	v_mov_b32_e32 v118, 0
	ds_read_b32 v118, v118 offset:84
	s_waitcnt lgkmcnt(0)
	v_mul_f32_e32 v118, v119, v118
	buffer_store_dword v118, off, s[0:3], 0 offset:84
.LBB51_296:
	s_or_b64 exec, exec, s[10:11]
	buffer_load_dword v118, off, s[0:3], 0 offset:80
	v_cmp_lt_u32_e64 s[4:5], 20, v0
	s_waitcnt vmcnt(0)
	ds_write_b32 v106, v118
	s_waitcnt lgkmcnt(0)
	; wave barrier
	s_waitcnt lgkmcnt(0)
	s_and_saveexec_b64 s[10:11], s[4:5]
	s_cbranch_execz .LBB51_306
; %bb.297:
	s_andn2_b64 vcc, exec, s[8:9]
	s_cbranch_vccnz .LBB51_299
; %bb.298:
	buffer_load_dword v118, v107, s[0:3], 0 offen
	ds_read_b32 v119, v106
	s_waitcnt vmcnt(0) lgkmcnt(0)
	v_mul_f32_e32 v118, v118, v119
	s_cbranch_execz .LBB51_300
	s_branch .LBB51_301
.LBB51_299:
                                        ; implicit-def: $vgpr118
.LBB51_300:
	ds_read_b32 v118, v106
.LBB51_301:
	s_and_saveexec_b64 s[12:13], s[6:7]
	s_cbranch_execz .LBB51_305
; %bb.302:
	v_mov_b32_e32 v119, 0
	v_add_u32_e32 v119, 0x54, v119
	v_subrev_u32_e32 v120, 21, v0
	s_movk_i32 s14, 0x124
	s_mov_b64 s[6:7], 0
.LBB51_303:                             ; =>This Inner Loop Header: Depth=1
	buffer_load_dword v121, v119, s[0:3], 0 offen
	v_mov_b32_e32 v122, s14
	ds_read_b32 v122, v122
	v_add_u32_e32 v120, -1, v120
	s_add_i32 s14, s14, 4
	v_cmp_eq_u32_e32 vcc, 0, v120
	v_add_u32_e32 v119, 4, v119
	s_or_b64 s[6:7], vcc, s[6:7]
	s_waitcnt vmcnt(0) lgkmcnt(0)
	v_fmac_f32_e32 v118, v121, v122
	s_andn2_b64 exec, exec, s[6:7]
	s_cbranch_execnz .LBB51_303
; %bb.304:
	s_or_b64 exec, exec, s[6:7]
.LBB51_305:
	s_or_b64 exec, exec, s[12:13]
	v_mov_b32_e32 v119, 0
	ds_read_b32 v119, v119 offset:80
	s_waitcnt lgkmcnt(0)
	v_mul_f32_e32 v118, v118, v119
	buffer_store_dword v118, off, s[0:3], 0 offset:80
.LBB51_306:
	s_or_b64 exec, exec, s[10:11]
	buffer_load_dword v118, off, s[0:3], 0 offset:76
	v_cmp_lt_u32_e64 s[6:7], 19, v0
	s_waitcnt vmcnt(0)
	ds_write_b32 v106, v118
	s_waitcnt lgkmcnt(0)
	; wave barrier
	s_waitcnt lgkmcnt(0)
	s_and_saveexec_b64 s[10:11], s[6:7]
	s_cbranch_execz .LBB51_316
; %bb.307:
	s_andn2_b64 vcc, exec, s[8:9]
	s_cbranch_vccnz .LBB51_309
; %bb.308:
	buffer_load_dword v118, v107, s[0:3], 0 offen
	ds_read_b32 v119, v106
	s_waitcnt vmcnt(0) lgkmcnt(0)
	v_mul_f32_e32 v118, v118, v119
	s_cbranch_execz .LBB51_310
	s_branch .LBB51_311
.LBB51_309:
                                        ; implicit-def: $vgpr118
.LBB51_310:
	ds_read_b32 v118, v106
.LBB51_311:
	s_and_saveexec_b64 s[12:13], s[4:5]
	s_cbranch_execz .LBB51_315
; %bb.312:
	v_subrev_u32_e32 v119, 20, v0
	s_movk_i32 s14, 0x120
	s_mov_b64 s[4:5], 0
.LBB51_313:                             ; =>This Inner Loop Header: Depth=1
	buffer_load_dword v120, v117, s[0:3], 0 offen
	v_mov_b32_e32 v121, s14
	ds_read_b32 v121, v121
	v_add_u32_e32 v119, -1, v119
	s_add_i32 s14, s14, 4
	v_cmp_eq_u32_e32 vcc, 0, v119
	v_add_u32_e32 v117, 4, v117
	s_or_b64 s[4:5], vcc, s[4:5]
	s_waitcnt vmcnt(0) lgkmcnt(0)
	v_fmac_f32_e32 v118, v120, v121
	s_andn2_b64 exec, exec, s[4:5]
	s_cbranch_execnz .LBB51_313
; %bb.314:
	s_or_b64 exec, exec, s[4:5]
.LBB51_315:
	s_or_b64 exec, exec, s[12:13]
	v_mov_b32_e32 v117, 0
	ds_read_b32 v117, v117 offset:76
	s_waitcnt lgkmcnt(0)
	v_mul_f32_e32 v117, v118, v117
	buffer_store_dword v117, off, s[0:3], 0 offset:76
.LBB51_316:
	s_or_b64 exec, exec, s[10:11]
	buffer_load_dword v117, off, s[0:3], 0 offset:72
	v_cmp_lt_u32_e64 s[4:5], 18, v0
	s_waitcnt vmcnt(0)
	ds_write_b32 v106, v117
	s_waitcnt lgkmcnt(0)
	; wave barrier
	s_waitcnt lgkmcnt(0)
	s_and_saveexec_b64 s[10:11], s[4:5]
	s_cbranch_execz .LBB51_326
; %bb.317:
	s_andn2_b64 vcc, exec, s[8:9]
	s_cbranch_vccnz .LBB51_319
; %bb.318:
	buffer_load_dword v117, v107, s[0:3], 0 offen
	ds_read_b32 v118, v106
	s_waitcnt vmcnt(0) lgkmcnt(0)
	v_mul_f32_e32 v117, v117, v118
	s_cbranch_execz .LBB51_320
	s_branch .LBB51_321
.LBB51_319:
                                        ; implicit-def: $vgpr117
.LBB51_320:
	ds_read_b32 v117, v106
.LBB51_321:
	s_and_saveexec_b64 s[12:13], s[6:7]
	s_cbranch_execz .LBB51_325
; %bb.322:
	v_mov_b32_e32 v118, 0
	v_add_u32_e32 v118, 0x4c, v118
	v_subrev_u32_e32 v119, 19, v0
	s_movk_i32 s14, 0x11c
	s_mov_b64 s[6:7], 0
.LBB51_323:                             ; =>This Inner Loop Header: Depth=1
	buffer_load_dword v120, v118, s[0:3], 0 offen
	v_mov_b32_e32 v121, s14
	ds_read_b32 v121, v121
	v_add_u32_e32 v119, -1, v119
	s_add_i32 s14, s14, 4
	v_cmp_eq_u32_e32 vcc, 0, v119
	v_add_u32_e32 v118, 4, v118
	s_or_b64 s[6:7], vcc, s[6:7]
	s_waitcnt vmcnt(0) lgkmcnt(0)
	v_fmac_f32_e32 v117, v120, v121
	s_andn2_b64 exec, exec, s[6:7]
	s_cbranch_execnz .LBB51_323
; %bb.324:
	s_or_b64 exec, exec, s[6:7]
.LBB51_325:
	s_or_b64 exec, exec, s[12:13]
	v_mov_b32_e32 v118, 0
	ds_read_b32 v118, v118 offset:72
	s_waitcnt lgkmcnt(0)
	v_mul_f32_e32 v117, v117, v118
	buffer_store_dword v117, off, s[0:3], 0 offset:72
.LBB51_326:
	s_or_b64 exec, exec, s[10:11]
	buffer_load_dword v117, off, s[0:3], 0 offset:68
	v_cmp_lt_u32_e64 s[6:7], 17, v0
	s_waitcnt vmcnt(0)
	ds_write_b32 v106, v117
	s_waitcnt lgkmcnt(0)
	; wave barrier
	s_waitcnt lgkmcnt(0)
	s_and_saveexec_b64 s[10:11], s[6:7]
	s_cbranch_execz .LBB51_336
; %bb.327:
	s_andn2_b64 vcc, exec, s[8:9]
	s_cbranch_vccnz .LBB51_329
; %bb.328:
	buffer_load_dword v117, v107, s[0:3], 0 offen
	ds_read_b32 v118, v106
	s_waitcnt vmcnt(0) lgkmcnt(0)
	v_mul_f32_e32 v117, v117, v118
	s_cbranch_execz .LBB51_330
	s_branch .LBB51_331
.LBB51_329:
                                        ; implicit-def: $vgpr117
.LBB51_330:
	ds_read_b32 v117, v106
.LBB51_331:
	s_and_saveexec_b64 s[12:13], s[4:5]
	s_cbranch_execz .LBB51_335
; %bb.332:
	v_subrev_u32_e32 v118, 18, v0
	s_movk_i32 s14, 0x118
	s_mov_b64 s[4:5], 0
.LBB51_333:                             ; =>This Inner Loop Header: Depth=1
	buffer_load_dword v119, v116, s[0:3], 0 offen
	v_mov_b32_e32 v120, s14
	ds_read_b32 v120, v120
	v_add_u32_e32 v118, -1, v118
	s_add_i32 s14, s14, 4
	v_cmp_eq_u32_e32 vcc, 0, v118
	v_add_u32_e32 v116, 4, v116
	s_or_b64 s[4:5], vcc, s[4:5]
	s_waitcnt vmcnt(0) lgkmcnt(0)
	v_fmac_f32_e32 v117, v119, v120
	s_andn2_b64 exec, exec, s[4:5]
	s_cbranch_execnz .LBB51_333
; %bb.334:
	s_or_b64 exec, exec, s[4:5]
.LBB51_335:
	s_or_b64 exec, exec, s[12:13]
	v_mov_b32_e32 v116, 0
	ds_read_b32 v116, v116 offset:68
	s_waitcnt lgkmcnt(0)
	v_mul_f32_e32 v116, v117, v116
	buffer_store_dword v116, off, s[0:3], 0 offset:68
.LBB51_336:
	s_or_b64 exec, exec, s[10:11]
	buffer_load_dword v116, off, s[0:3], 0 offset:64
	v_cmp_lt_u32_e64 s[4:5], 16, v0
	s_waitcnt vmcnt(0)
	ds_write_b32 v106, v116
	s_waitcnt lgkmcnt(0)
	; wave barrier
	s_waitcnt lgkmcnt(0)
	s_and_saveexec_b64 s[10:11], s[4:5]
	s_cbranch_execz .LBB51_346
; %bb.337:
	s_andn2_b64 vcc, exec, s[8:9]
	s_cbranch_vccnz .LBB51_339
; %bb.338:
	buffer_load_dword v116, v107, s[0:3], 0 offen
	ds_read_b32 v117, v106
	s_waitcnt vmcnt(0) lgkmcnt(0)
	v_mul_f32_e32 v116, v116, v117
	s_cbranch_execz .LBB51_340
	s_branch .LBB51_341
.LBB51_339:
                                        ; implicit-def: $vgpr116
.LBB51_340:
	ds_read_b32 v116, v106
.LBB51_341:
	s_and_saveexec_b64 s[12:13], s[6:7]
	s_cbranch_execz .LBB51_345
; %bb.342:
	v_mov_b32_e32 v117, 0
	v_add_u32_e32 v117, 0x44, v117
	v_subrev_u32_e32 v118, 17, v0
	s_movk_i32 s14, 0x114
	s_mov_b64 s[6:7], 0
.LBB51_343:                             ; =>This Inner Loop Header: Depth=1
	buffer_load_dword v119, v117, s[0:3], 0 offen
	v_mov_b32_e32 v120, s14
	ds_read_b32 v120, v120
	v_add_u32_e32 v118, -1, v118
	s_add_i32 s14, s14, 4
	v_cmp_eq_u32_e32 vcc, 0, v118
	v_add_u32_e32 v117, 4, v117
	s_or_b64 s[6:7], vcc, s[6:7]
	s_waitcnt vmcnt(0) lgkmcnt(0)
	v_fmac_f32_e32 v116, v119, v120
	s_andn2_b64 exec, exec, s[6:7]
	s_cbranch_execnz .LBB51_343
; %bb.344:
	s_or_b64 exec, exec, s[6:7]
.LBB51_345:
	s_or_b64 exec, exec, s[12:13]
	v_mov_b32_e32 v117, 0
	ds_read_b32 v117, v117 offset:64
	s_waitcnt lgkmcnt(0)
	v_mul_f32_e32 v116, v116, v117
	buffer_store_dword v116, off, s[0:3], 0 offset:64
.LBB51_346:
	s_or_b64 exec, exec, s[10:11]
	buffer_load_dword v116, off, s[0:3], 0 offset:60
	v_cmp_lt_u32_e64 s[6:7], 15, v0
	s_waitcnt vmcnt(0)
	ds_write_b32 v106, v116
	s_waitcnt lgkmcnt(0)
	; wave barrier
	s_waitcnt lgkmcnt(0)
	s_and_saveexec_b64 s[10:11], s[6:7]
	s_cbranch_execz .LBB51_356
; %bb.347:
	s_andn2_b64 vcc, exec, s[8:9]
	s_cbranch_vccnz .LBB51_349
; %bb.348:
	buffer_load_dword v116, v107, s[0:3], 0 offen
	ds_read_b32 v117, v106
	s_waitcnt vmcnt(0) lgkmcnt(0)
	v_mul_f32_e32 v116, v116, v117
	s_cbranch_execz .LBB51_350
	s_branch .LBB51_351
.LBB51_349:
                                        ; implicit-def: $vgpr116
.LBB51_350:
	ds_read_b32 v116, v106
.LBB51_351:
	s_and_saveexec_b64 s[12:13], s[4:5]
	s_cbranch_execz .LBB51_355
; %bb.352:
	v_add_u32_e32 v117, -16, v0
	s_movk_i32 s14, 0x110
	s_mov_b64 s[4:5], 0
.LBB51_353:                             ; =>This Inner Loop Header: Depth=1
	buffer_load_dword v118, v115, s[0:3], 0 offen
	v_mov_b32_e32 v119, s14
	ds_read_b32 v119, v119
	v_add_u32_e32 v117, -1, v117
	s_add_i32 s14, s14, 4
	v_cmp_eq_u32_e32 vcc, 0, v117
	v_add_u32_e32 v115, 4, v115
	s_or_b64 s[4:5], vcc, s[4:5]
	s_waitcnt vmcnt(0) lgkmcnt(0)
	v_fmac_f32_e32 v116, v118, v119
	s_andn2_b64 exec, exec, s[4:5]
	s_cbranch_execnz .LBB51_353
; %bb.354:
	s_or_b64 exec, exec, s[4:5]
.LBB51_355:
	s_or_b64 exec, exec, s[12:13]
	v_mov_b32_e32 v115, 0
	ds_read_b32 v115, v115 offset:60
	s_waitcnt lgkmcnt(0)
	v_mul_f32_e32 v115, v116, v115
	buffer_store_dword v115, off, s[0:3], 0 offset:60
.LBB51_356:
	s_or_b64 exec, exec, s[10:11]
	buffer_load_dword v115, off, s[0:3], 0 offset:56
	v_cmp_lt_u32_e64 s[4:5], 14, v0
	s_waitcnt vmcnt(0)
	ds_write_b32 v106, v115
	s_waitcnt lgkmcnt(0)
	; wave barrier
	s_waitcnt lgkmcnt(0)
	s_and_saveexec_b64 s[10:11], s[4:5]
	s_cbranch_execz .LBB51_366
; %bb.357:
	s_andn2_b64 vcc, exec, s[8:9]
	s_cbranch_vccnz .LBB51_359
; %bb.358:
	buffer_load_dword v115, v107, s[0:3], 0 offen
	ds_read_b32 v116, v106
	s_waitcnt vmcnt(0) lgkmcnt(0)
	v_mul_f32_e32 v115, v115, v116
	s_cbranch_execz .LBB51_360
	s_branch .LBB51_361
.LBB51_359:
                                        ; implicit-def: $vgpr115
.LBB51_360:
	ds_read_b32 v115, v106
.LBB51_361:
	s_and_saveexec_b64 s[12:13], s[6:7]
	s_cbranch_execz .LBB51_365
; %bb.362:
	v_mov_b32_e32 v116, 0
	v_add_u32_e32 v116, 60, v116
	v_add_u32_e32 v117, -15, v0
	s_movk_i32 s14, 0x10c
	s_mov_b64 s[6:7], 0
.LBB51_363:                             ; =>This Inner Loop Header: Depth=1
	buffer_load_dword v118, v116, s[0:3], 0 offen
	v_mov_b32_e32 v119, s14
	ds_read_b32 v119, v119
	v_add_u32_e32 v117, -1, v117
	s_add_i32 s14, s14, 4
	v_cmp_eq_u32_e32 vcc, 0, v117
	v_add_u32_e32 v116, 4, v116
	s_or_b64 s[6:7], vcc, s[6:7]
	s_waitcnt vmcnt(0) lgkmcnt(0)
	v_fmac_f32_e32 v115, v118, v119
	s_andn2_b64 exec, exec, s[6:7]
	s_cbranch_execnz .LBB51_363
; %bb.364:
	s_or_b64 exec, exec, s[6:7]
.LBB51_365:
	s_or_b64 exec, exec, s[12:13]
	v_mov_b32_e32 v116, 0
	ds_read_b32 v116, v116 offset:56
	s_waitcnt lgkmcnt(0)
	v_mul_f32_e32 v115, v115, v116
	buffer_store_dword v115, off, s[0:3], 0 offset:56
.LBB51_366:
	s_or_b64 exec, exec, s[10:11]
	buffer_load_dword v115, off, s[0:3], 0 offset:52
	v_cmp_lt_u32_e64 s[6:7], 13, v0
	s_waitcnt vmcnt(0)
	ds_write_b32 v106, v115
	s_waitcnt lgkmcnt(0)
	; wave barrier
	s_waitcnt lgkmcnt(0)
	s_and_saveexec_b64 s[10:11], s[6:7]
	s_cbranch_execz .LBB51_376
; %bb.367:
	s_andn2_b64 vcc, exec, s[8:9]
	s_cbranch_vccnz .LBB51_369
; %bb.368:
	buffer_load_dword v115, v107, s[0:3], 0 offen
	ds_read_b32 v116, v106
	s_waitcnt vmcnt(0) lgkmcnt(0)
	v_mul_f32_e32 v115, v115, v116
	s_cbranch_execz .LBB51_370
	s_branch .LBB51_371
.LBB51_369:
                                        ; implicit-def: $vgpr115
.LBB51_370:
	ds_read_b32 v115, v106
.LBB51_371:
	s_and_saveexec_b64 s[12:13], s[4:5]
	s_cbranch_execz .LBB51_375
; %bb.372:
	v_add_u32_e32 v116, -14, v0
	s_movk_i32 s14, 0x108
	s_mov_b64 s[4:5], 0
.LBB51_373:                             ; =>This Inner Loop Header: Depth=1
	buffer_load_dword v117, v114, s[0:3], 0 offen
	v_mov_b32_e32 v118, s14
	ds_read_b32 v118, v118
	v_add_u32_e32 v116, -1, v116
	s_add_i32 s14, s14, 4
	v_cmp_eq_u32_e32 vcc, 0, v116
	v_add_u32_e32 v114, 4, v114
	s_or_b64 s[4:5], vcc, s[4:5]
	s_waitcnt vmcnt(0) lgkmcnt(0)
	v_fmac_f32_e32 v115, v117, v118
	s_andn2_b64 exec, exec, s[4:5]
	s_cbranch_execnz .LBB51_373
; %bb.374:
	s_or_b64 exec, exec, s[4:5]
.LBB51_375:
	s_or_b64 exec, exec, s[12:13]
	v_mov_b32_e32 v114, 0
	ds_read_b32 v114, v114 offset:52
	s_waitcnt lgkmcnt(0)
	v_mul_f32_e32 v114, v115, v114
	buffer_store_dword v114, off, s[0:3], 0 offset:52
.LBB51_376:
	s_or_b64 exec, exec, s[10:11]
	buffer_load_dword v114, off, s[0:3], 0 offset:48
	v_cmp_lt_u32_e64 s[4:5], 12, v0
	s_waitcnt vmcnt(0)
	ds_write_b32 v106, v114
	s_waitcnt lgkmcnt(0)
	; wave barrier
	s_waitcnt lgkmcnt(0)
	s_and_saveexec_b64 s[10:11], s[4:5]
	s_cbranch_execz .LBB51_386
; %bb.377:
	s_andn2_b64 vcc, exec, s[8:9]
	s_cbranch_vccnz .LBB51_379
; %bb.378:
	buffer_load_dword v114, v107, s[0:3], 0 offen
	ds_read_b32 v115, v106
	s_waitcnt vmcnt(0) lgkmcnt(0)
	v_mul_f32_e32 v114, v114, v115
	s_cbranch_execz .LBB51_380
	s_branch .LBB51_381
.LBB51_379:
                                        ; implicit-def: $vgpr114
.LBB51_380:
	ds_read_b32 v114, v106
.LBB51_381:
	s_and_saveexec_b64 s[12:13], s[6:7]
	s_cbranch_execz .LBB51_385
; %bb.382:
	v_mov_b32_e32 v115, 0
	v_add_u32_e32 v115, 52, v115
	v_add_u32_e32 v116, -13, v0
	s_movk_i32 s14, 0x104
	s_mov_b64 s[6:7], 0
.LBB51_383:                             ; =>This Inner Loop Header: Depth=1
	buffer_load_dword v117, v115, s[0:3], 0 offen
	v_mov_b32_e32 v118, s14
	ds_read_b32 v118, v118
	v_add_u32_e32 v116, -1, v116
	s_add_i32 s14, s14, 4
	v_cmp_eq_u32_e32 vcc, 0, v116
	v_add_u32_e32 v115, 4, v115
	s_or_b64 s[6:7], vcc, s[6:7]
	s_waitcnt vmcnt(0) lgkmcnt(0)
	v_fmac_f32_e32 v114, v117, v118
	s_andn2_b64 exec, exec, s[6:7]
	s_cbranch_execnz .LBB51_383
; %bb.384:
	s_or_b64 exec, exec, s[6:7]
.LBB51_385:
	s_or_b64 exec, exec, s[12:13]
	v_mov_b32_e32 v115, 0
	ds_read_b32 v115, v115 offset:48
	s_waitcnt lgkmcnt(0)
	v_mul_f32_e32 v114, v114, v115
	buffer_store_dword v114, off, s[0:3], 0 offset:48
.LBB51_386:
	s_or_b64 exec, exec, s[10:11]
	buffer_load_dword v114, off, s[0:3], 0 offset:44
	v_cmp_lt_u32_e64 s[6:7], 11, v0
	s_waitcnt vmcnt(0)
	ds_write_b32 v106, v114
	s_waitcnt lgkmcnt(0)
	; wave barrier
	s_waitcnt lgkmcnt(0)
	s_and_saveexec_b64 s[10:11], s[6:7]
	s_cbranch_execz .LBB51_396
; %bb.387:
	s_andn2_b64 vcc, exec, s[8:9]
	s_cbranch_vccnz .LBB51_389
; %bb.388:
	buffer_load_dword v114, v107, s[0:3], 0 offen
	ds_read_b32 v115, v106
	s_waitcnt vmcnt(0) lgkmcnt(0)
	v_mul_f32_e32 v114, v114, v115
	s_cbranch_execz .LBB51_390
	s_branch .LBB51_391
.LBB51_389:
                                        ; implicit-def: $vgpr114
.LBB51_390:
	ds_read_b32 v114, v106
.LBB51_391:
	s_and_saveexec_b64 s[12:13], s[4:5]
	s_cbranch_execz .LBB51_395
; %bb.392:
	v_add_u32_e32 v115, -12, v0
	s_movk_i32 s14, 0x100
	s_mov_b64 s[4:5], 0
.LBB51_393:                             ; =>This Inner Loop Header: Depth=1
	buffer_load_dword v116, v113, s[0:3], 0 offen
	v_mov_b32_e32 v117, s14
	ds_read_b32 v117, v117
	v_add_u32_e32 v115, -1, v115
	s_add_i32 s14, s14, 4
	v_cmp_eq_u32_e32 vcc, 0, v115
	v_add_u32_e32 v113, 4, v113
	s_or_b64 s[4:5], vcc, s[4:5]
	s_waitcnt vmcnt(0) lgkmcnt(0)
	v_fmac_f32_e32 v114, v116, v117
	s_andn2_b64 exec, exec, s[4:5]
	s_cbranch_execnz .LBB51_393
; %bb.394:
	s_or_b64 exec, exec, s[4:5]
.LBB51_395:
	s_or_b64 exec, exec, s[12:13]
	v_mov_b32_e32 v113, 0
	ds_read_b32 v113, v113 offset:44
	s_waitcnt lgkmcnt(0)
	v_mul_f32_e32 v113, v114, v113
	buffer_store_dword v113, off, s[0:3], 0 offset:44
.LBB51_396:
	s_or_b64 exec, exec, s[10:11]
	buffer_load_dword v113, off, s[0:3], 0 offset:40
	v_cmp_lt_u32_e64 s[4:5], 10, v0
	s_waitcnt vmcnt(0)
	ds_write_b32 v106, v113
	s_waitcnt lgkmcnt(0)
	; wave barrier
	s_waitcnt lgkmcnt(0)
	s_and_saveexec_b64 s[10:11], s[4:5]
	s_cbranch_execz .LBB51_406
; %bb.397:
	s_andn2_b64 vcc, exec, s[8:9]
	s_cbranch_vccnz .LBB51_399
; %bb.398:
	buffer_load_dword v113, v107, s[0:3], 0 offen
	ds_read_b32 v114, v106
	s_waitcnt vmcnt(0) lgkmcnt(0)
	v_mul_f32_e32 v113, v113, v114
	s_cbranch_execz .LBB51_400
	s_branch .LBB51_401
.LBB51_399:
                                        ; implicit-def: $vgpr113
.LBB51_400:
	ds_read_b32 v113, v106
.LBB51_401:
	s_and_saveexec_b64 s[12:13], s[6:7]
	s_cbranch_execz .LBB51_405
; %bb.402:
	v_mov_b32_e32 v114, 0
	v_add_u32_e32 v114, 44, v114
	v_add_u32_e32 v115, -11, v0
	s_movk_i32 s14, 0xfc
	s_mov_b64 s[6:7], 0
.LBB51_403:                             ; =>This Inner Loop Header: Depth=1
	buffer_load_dword v116, v114, s[0:3], 0 offen
	v_mov_b32_e32 v117, s14
	ds_read_b32 v117, v117
	v_add_u32_e32 v115, -1, v115
	s_add_i32 s14, s14, 4
	v_cmp_eq_u32_e32 vcc, 0, v115
	v_add_u32_e32 v114, 4, v114
	s_or_b64 s[6:7], vcc, s[6:7]
	s_waitcnt vmcnt(0) lgkmcnt(0)
	v_fmac_f32_e32 v113, v116, v117
	s_andn2_b64 exec, exec, s[6:7]
	s_cbranch_execnz .LBB51_403
; %bb.404:
	s_or_b64 exec, exec, s[6:7]
.LBB51_405:
	s_or_b64 exec, exec, s[12:13]
	v_mov_b32_e32 v114, 0
	ds_read_b32 v114, v114 offset:40
	s_waitcnt lgkmcnt(0)
	v_mul_f32_e32 v113, v113, v114
	buffer_store_dword v113, off, s[0:3], 0 offset:40
.LBB51_406:
	s_or_b64 exec, exec, s[10:11]
	buffer_load_dword v113, off, s[0:3], 0 offset:36
	v_cmp_lt_u32_e64 s[6:7], 9, v0
	s_waitcnt vmcnt(0)
	ds_write_b32 v106, v113
	s_waitcnt lgkmcnt(0)
	; wave barrier
	s_waitcnt lgkmcnt(0)
	s_and_saveexec_b64 s[10:11], s[6:7]
	s_cbranch_execz .LBB51_416
; %bb.407:
	s_andn2_b64 vcc, exec, s[8:9]
	s_cbranch_vccnz .LBB51_409
; %bb.408:
	buffer_load_dword v113, v107, s[0:3], 0 offen
	ds_read_b32 v114, v106
	s_waitcnt vmcnt(0) lgkmcnt(0)
	v_mul_f32_e32 v113, v113, v114
	s_cbranch_execz .LBB51_410
	s_branch .LBB51_411
.LBB51_409:
                                        ; implicit-def: $vgpr113
.LBB51_410:
	ds_read_b32 v113, v106
.LBB51_411:
	s_and_saveexec_b64 s[12:13], s[4:5]
	s_cbranch_execz .LBB51_415
; %bb.412:
	v_add_u32_e32 v114, -10, v0
	s_movk_i32 s14, 0xf8
	s_mov_b64 s[4:5], 0
.LBB51_413:                             ; =>This Inner Loop Header: Depth=1
	buffer_load_dword v115, v112, s[0:3], 0 offen
	v_mov_b32_e32 v116, s14
	ds_read_b32 v116, v116
	v_add_u32_e32 v114, -1, v114
	s_add_i32 s14, s14, 4
	v_cmp_eq_u32_e32 vcc, 0, v114
	v_add_u32_e32 v112, 4, v112
	s_or_b64 s[4:5], vcc, s[4:5]
	s_waitcnt vmcnt(0) lgkmcnt(0)
	v_fmac_f32_e32 v113, v115, v116
	s_andn2_b64 exec, exec, s[4:5]
	s_cbranch_execnz .LBB51_413
; %bb.414:
	s_or_b64 exec, exec, s[4:5]
.LBB51_415:
	s_or_b64 exec, exec, s[12:13]
	v_mov_b32_e32 v112, 0
	ds_read_b32 v112, v112 offset:36
	s_waitcnt lgkmcnt(0)
	v_mul_f32_e32 v112, v113, v112
	buffer_store_dword v112, off, s[0:3], 0 offset:36
.LBB51_416:
	s_or_b64 exec, exec, s[10:11]
	buffer_load_dword v112, off, s[0:3], 0 offset:32
	v_cmp_lt_u32_e64 s[4:5], 8, v0
	s_waitcnt vmcnt(0)
	ds_write_b32 v106, v112
	s_waitcnt lgkmcnt(0)
	; wave barrier
	s_waitcnt lgkmcnt(0)
	s_and_saveexec_b64 s[10:11], s[4:5]
	s_cbranch_execz .LBB51_426
; %bb.417:
	s_andn2_b64 vcc, exec, s[8:9]
	s_cbranch_vccnz .LBB51_419
; %bb.418:
	buffer_load_dword v112, v107, s[0:3], 0 offen
	ds_read_b32 v113, v106
	s_waitcnt vmcnt(0) lgkmcnt(0)
	v_mul_f32_e32 v112, v112, v113
	s_cbranch_execz .LBB51_420
	s_branch .LBB51_421
.LBB51_419:
                                        ; implicit-def: $vgpr112
.LBB51_420:
	ds_read_b32 v112, v106
.LBB51_421:
	s_and_saveexec_b64 s[12:13], s[6:7]
	s_cbranch_execz .LBB51_425
; %bb.422:
	v_mov_b32_e32 v113, 0
	v_add_u32_e32 v113, 36, v113
	v_add_u32_e32 v114, -9, v0
	s_movk_i32 s14, 0xf4
	s_mov_b64 s[6:7], 0
.LBB51_423:                             ; =>This Inner Loop Header: Depth=1
	buffer_load_dword v115, v113, s[0:3], 0 offen
	v_mov_b32_e32 v116, s14
	ds_read_b32 v116, v116
	v_add_u32_e32 v114, -1, v114
	s_add_i32 s14, s14, 4
	v_cmp_eq_u32_e32 vcc, 0, v114
	v_add_u32_e32 v113, 4, v113
	s_or_b64 s[6:7], vcc, s[6:7]
	s_waitcnt vmcnt(0) lgkmcnt(0)
	v_fmac_f32_e32 v112, v115, v116
	s_andn2_b64 exec, exec, s[6:7]
	s_cbranch_execnz .LBB51_423
; %bb.424:
	s_or_b64 exec, exec, s[6:7]
.LBB51_425:
	s_or_b64 exec, exec, s[12:13]
	v_mov_b32_e32 v113, 0
	ds_read_b32 v113, v113 offset:32
	s_waitcnt lgkmcnt(0)
	v_mul_f32_e32 v112, v112, v113
	buffer_store_dword v112, off, s[0:3], 0 offset:32
.LBB51_426:
	s_or_b64 exec, exec, s[10:11]
	buffer_load_dword v112, off, s[0:3], 0 offset:28
	v_cmp_lt_u32_e64 s[6:7], 7, v0
	s_waitcnt vmcnt(0)
	ds_write_b32 v106, v112
	s_waitcnt lgkmcnt(0)
	; wave barrier
	s_waitcnt lgkmcnt(0)
	s_and_saveexec_b64 s[10:11], s[6:7]
	s_cbranch_execz .LBB51_436
; %bb.427:
	s_andn2_b64 vcc, exec, s[8:9]
	s_cbranch_vccnz .LBB51_429
; %bb.428:
	buffer_load_dword v112, v107, s[0:3], 0 offen
	ds_read_b32 v113, v106
	s_waitcnt vmcnt(0) lgkmcnt(0)
	v_mul_f32_e32 v112, v112, v113
	s_cbranch_execz .LBB51_430
	s_branch .LBB51_431
.LBB51_429:
                                        ; implicit-def: $vgpr112
.LBB51_430:
	ds_read_b32 v112, v106
.LBB51_431:
	s_and_saveexec_b64 s[12:13], s[4:5]
	s_cbranch_execz .LBB51_435
; %bb.432:
	v_add_u32_e32 v113, -8, v0
	s_movk_i32 s14, 0xf0
	s_mov_b64 s[4:5], 0
.LBB51_433:                             ; =>This Inner Loop Header: Depth=1
	buffer_load_dword v114, v111, s[0:3], 0 offen
	v_mov_b32_e32 v115, s14
	ds_read_b32 v115, v115
	v_add_u32_e32 v113, -1, v113
	s_add_i32 s14, s14, 4
	v_cmp_eq_u32_e32 vcc, 0, v113
	v_add_u32_e32 v111, 4, v111
	s_or_b64 s[4:5], vcc, s[4:5]
	s_waitcnt vmcnt(0) lgkmcnt(0)
	v_fmac_f32_e32 v112, v114, v115
	s_andn2_b64 exec, exec, s[4:5]
	s_cbranch_execnz .LBB51_433
; %bb.434:
	s_or_b64 exec, exec, s[4:5]
.LBB51_435:
	s_or_b64 exec, exec, s[12:13]
	v_mov_b32_e32 v111, 0
	ds_read_b32 v111, v111 offset:28
	s_waitcnt lgkmcnt(0)
	v_mul_f32_e32 v111, v112, v111
	buffer_store_dword v111, off, s[0:3], 0 offset:28
.LBB51_436:
	s_or_b64 exec, exec, s[10:11]
	buffer_load_dword v111, off, s[0:3], 0 offset:24
	v_cmp_lt_u32_e64 s[4:5], 6, v0
	s_waitcnt vmcnt(0)
	ds_write_b32 v106, v111
	s_waitcnt lgkmcnt(0)
	; wave barrier
	s_waitcnt lgkmcnt(0)
	s_and_saveexec_b64 s[10:11], s[4:5]
	s_cbranch_execz .LBB51_446
; %bb.437:
	s_andn2_b64 vcc, exec, s[8:9]
	s_cbranch_vccnz .LBB51_439
; %bb.438:
	buffer_load_dword v111, v107, s[0:3], 0 offen
	ds_read_b32 v112, v106
	s_waitcnt vmcnt(0) lgkmcnt(0)
	v_mul_f32_e32 v111, v111, v112
	s_cbranch_execz .LBB51_440
	s_branch .LBB51_441
.LBB51_439:
                                        ; implicit-def: $vgpr111
.LBB51_440:
	ds_read_b32 v111, v106
.LBB51_441:
	s_and_saveexec_b64 s[12:13], s[6:7]
	s_cbranch_execz .LBB51_445
; %bb.442:
	v_mov_b32_e32 v112, 0
	v_add_u32_e32 v112, 28, v112
	v_add_u32_e32 v113, -7, v0
	s_movk_i32 s14, 0xec
	s_mov_b64 s[6:7], 0
.LBB51_443:                             ; =>This Inner Loop Header: Depth=1
	buffer_load_dword v114, v112, s[0:3], 0 offen
	v_mov_b32_e32 v115, s14
	ds_read_b32 v115, v115
	v_add_u32_e32 v113, -1, v113
	s_add_i32 s14, s14, 4
	v_cmp_eq_u32_e32 vcc, 0, v113
	v_add_u32_e32 v112, 4, v112
	s_or_b64 s[6:7], vcc, s[6:7]
	s_waitcnt vmcnt(0) lgkmcnt(0)
	v_fmac_f32_e32 v111, v114, v115
	s_andn2_b64 exec, exec, s[6:7]
	s_cbranch_execnz .LBB51_443
; %bb.444:
	s_or_b64 exec, exec, s[6:7]
.LBB51_445:
	s_or_b64 exec, exec, s[12:13]
	v_mov_b32_e32 v112, 0
	ds_read_b32 v112, v112 offset:24
	s_waitcnt lgkmcnt(0)
	v_mul_f32_e32 v111, v111, v112
	buffer_store_dword v111, off, s[0:3], 0 offset:24
.LBB51_446:
	s_or_b64 exec, exec, s[10:11]
	buffer_load_dword v111, off, s[0:3], 0 offset:20
	v_cmp_lt_u32_e64 s[6:7], 5, v0
	s_waitcnt vmcnt(0)
	ds_write_b32 v106, v111
	s_waitcnt lgkmcnt(0)
	; wave barrier
	s_waitcnt lgkmcnt(0)
	s_and_saveexec_b64 s[10:11], s[6:7]
	s_cbranch_execz .LBB51_456
; %bb.447:
	s_andn2_b64 vcc, exec, s[8:9]
	s_cbranch_vccnz .LBB51_449
; %bb.448:
	buffer_load_dword v111, v107, s[0:3], 0 offen
	ds_read_b32 v112, v106
	s_waitcnt vmcnt(0) lgkmcnt(0)
	v_mul_f32_e32 v111, v111, v112
	s_cbranch_execz .LBB51_450
	s_branch .LBB51_451
.LBB51_449:
                                        ; implicit-def: $vgpr111
.LBB51_450:
	ds_read_b32 v111, v106
.LBB51_451:
	s_and_saveexec_b64 s[12:13], s[4:5]
	s_cbranch_execz .LBB51_455
; %bb.452:
	v_add_u32_e32 v112, -6, v0
	s_movk_i32 s14, 0xe8
	s_mov_b64 s[4:5], 0
.LBB51_453:                             ; =>This Inner Loop Header: Depth=1
	buffer_load_dword v113, v110, s[0:3], 0 offen
	v_mov_b32_e32 v114, s14
	ds_read_b32 v114, v114
	v_add_u32_e32 v112, -1, v112
	s_add_i32 s14, s14, 4
	v_cmp_eq_u32_e32 vcc, 0, v112
	v_add_u32_e32 v110, 4, v110
	s_or_b64 s[4:5], vcc, s[4:5]
	s_waitcnt vmcnt(0) lgkmcnt(0)
	v_fmac_f32_e32 v111, v113, v114
	s_andn2_b64 exec, exec, s[4:5]
	s_cbranch_execnz .LBB51_453
; %bb.454:
	s_or_b64 exec, exec, s[4:5]
.LBB51_455:
	s_or_b64 exec, exec, s[12:13]
	v_mov_b32_e32 v110, 0
	ds_read_b32 v110, v110 offset:20
	s_waitcnt lgkmcnt(0)
	v_mul_f32_e32 v110, v111, v110
	buffer_store_dword v110, off, s[0:3], 0 offset:20
.LBB51_456:
	s_or_b64 exec, exec, s[10:11]
	buffer_load_dword v110, off, s[0:3], 0 offset:16
	v_cmp_lt_u32_e64 s[4:5], 4, v0
	s_waitcnt vmcnt(0)
	ds_write_b32 v106, v110
	s_waitcnt lgkmcnt(0)
	; wave barrier
	s_waitcnt lgkmcnt(0)
	s_and_saveexec_b64 s[10:11], s[4:5]
	s_cbranch_execz .LBB51_466
; %bb.457:
	s_andn2_b64 vcc, exec, s[8:9]
	s_cbranch_vccnz .LBB51_459
; %bb.458:
	buffer_load_dword v110, v107, s[0:3], 0 offen
	ds_read_b32 v111, v106
	s_waitcnt vmcnt(0) lgkmcnt(0)
	v_mul_f32_e32 v110, v110, v111
	s_cbranch_execz .LBB51_460
	s_branch .LBB51_461
.LBB51_459:
                                        ; implicit-def: $vgpr110
.LBB51_460:
	ds_read_b32 v110, v106
.LBB51_461:
	s_and_saveexec_b64 s[12:13], s[6:7]
	s_cbranch_execz .LBB51_465
; %bb.462:
	v_mov_b32_e32 v111, 0
	v_add_u32_e32 v111, 20, v111
	v_add_u32_e32 v112, -5, v0
	s_movk_i32 s14, 0xe4
	s_mov_b64 s[6:7], 0
.LBB51_463:                             ; =>This Inner Loop Header: Depth=1
	buffer_load_dword v113, v111, s[0:3], 0 offen
	v_mov_b32_e32 v114, s14
	ds_read_b32 v114, v114
	v_add_u32_e32 v112, -1, v112
	s_add_i32 s14, s14, 4
	v_cmp_eq_u32_e32 vcc, 0, v112
	v_add_u32_e32 v111, 4, v111
	s_or_b64 s[6:7], vcc, s[6:7]
	s_waitcnt vmcnt(0) lgkmcnt(0)
	v_fmac_f32_e32 v110, v113, v114
	s_andn2_b64 exec, exec, s[6:7]
	s_cbranch_execnz .LBB51_463
; %bb.464:
	s_or_b64 exec, exec, s[6:7]
.LBB51_465:
	s_or_b64 exec, exec, s[12:13]
	v_mov_b32_e32 v111, 0
	ds_read_b32 v111, v111 offset:16
	s_waitcnt lgkmcnt(0)
	v_mul_f32_e32 v110, v110, v111
	buffer_store_dword v110, off, s[0:3], 0 offset:16
.LBB51_466:
	s_or_b64 exec, exec, s[10:11]
	buffer_load_dword v110, off, s[0:3], 0 offset:12
	v_cmp_lt_u32_e64 s[6:7], 3, v0
	s_waitcnt vmcnt(0)
	ds_write_b32 v106, v110
	s_waitcnt lgkmcnt(0)
	; wave barrier
	s_waitcnt lgkmcnt(0)
	s_and_saveexec_b64 s[10:11], s[6:7]
	s_cbranch_execz .LBB51_476
; %bb.467:
	s_andn2_b64 vcc, exec, s[8:9]
	s_cbranch_vccnz .LBB51_469
; %bb.468:
	buffer_load_dword v110, v107, s[0:3], 0 offen
	ds_read_b32 v111, v106
	s_waitcnt vmcnt(0) lgkmcnt(0)
	v_mul_f32_e32 v110, v110, v111
	s_cbranch_execz .LBB51_470
	s_branch .LBB51_471
.LBB51_469:
                                        ; implicit-def: $vgpr110
.LBB51_470:
	ds_read_b32 v110, v106
.LBB51_471:
	s_and_saveexec_b64 s[12:13], s[4:5]
	s_cbranch_execz .LBB51_475
; %bb.472:
	v_add_u32_e32 v111, -4, v0
	s_movk_i32 s14, 0xe0
	s_mov_b64 s[4:5], 0
.LBB51_473:                             ; =>This Inner Loop Header: Depth=1
	buffer_load_dword v112, v109, s[0:3], 0 offen
	v_mov_b32_e32 v113, s14
	ds_read_b32 v113, v113
	v_add_u32_e32 v111, -1, v111
	s_add_i32 s14, s14, 4
	v_cmp_eq_u32_e32 vcc, 0, v111
	v_add_u32_e32 v109, 4, v109
	s_or_b64 s[4:5], vcc, s[4:5]
	s_waitcnt vmcnt(0) lgkmcnt(0)
	v_fmac_f32_e32 v110, v112, v113
	s_andn2_b64 exec, exec, s[4:5]
	s_cbranch_execnz .LBB51_473
; %bb.474:
	s_or_b64 exec, exec, s[4:5]
.LBB51_475:
	s_or_b64 exec, exec, s[12:13]
	v_mov_b32_e32 v109, 0
	ds_read_b32 v109, v109 offset:12
	s_waitcnt lgkmcnt(0)
	v_mul_f32_e32 v109, v110, v109
	buffer_store_dword v109, off, s[0:3], 0 offset:12
.LBB51_476:
	s_or_b64 exec, exec, s[10:11]
	buffer_load_dword v109, off, s[0:3], 0 offset:8
	v_cmp_lt_u32_e64 s[4:5], 2, v0
	s_waitcnt vmcnt(0)
	ds_write_b32 v106, v109
	s_waitcnt lgkmcnt(0)
	; wave barrier
	s_waitcnt lgkmcnt(0)
	s_and_saveexec_b64 s[10:11], s[4:5]
	s_cbranch_execz .LBB51_486
; %bb.477:
	s_andn2_b64 vcc, exec, s[8:9]
	s_cbranch_vccnz .LBB51_479
; %bb.478:
	buffer_load_dword v109, v107, s[0:3], 0 offen
	ds_read_b32 v110, v106
	s_waitcnt vmcnt(0) lgkmcnt(0)
	v_mul_f32_e32 v109, v109, v110
	s_cbranch_execz .LBB51_480
	s_branch .LBB51_481
.LBB51_479:
                                        ; implicit-def: $vgpr109
.LBB51_480:
	ds_read_b32 v109, v106
.LBB51_481:
	s_and_saveexec_b64 s[12:13], s[6:7]
	s_cbranch_execz .LBB51_485
; %bb.482:
	v_mov_b32_e32 v110, 0
	v_or_b32_e32 v110, 12, v110
	v_add_u32_e32 v111, -3, v0
	s_movk_i32 s14, 0xdc
	s_mov_b64 s[6:7], 0
.LBB51_483:                             ; =>This Inner Loop Header: Depth=1
	buffer_load_dword v112, v110, s[0:3], 0 offen
	v_mov_b32_e32 v113, s14
	ds_read_b32 v113, v113
	v_add_u32_e32 v111, -1, v111
	s_add_i32 s14, s14, 4
	v_cmp_eq_u32_e32 vcc, 0, v111
	v_add_u32_e32 v110, 4, v110
	s_or_b64 s[6:7], vcc, s[6:7]
	s_waitcnt vmcnt(0) lgkmcnt(0)
	v_fmac_f32_e32 v109, v112, v113
	s_andn2_b64 exec, exec, s[6:7]
	s_cbranch_execnz .LBB51_483
; %bb.484:
	s_or_b64 exec, exec, s[6:7]
.LBB51_485:
	s_or_b64 exec, exec, s[12:13]
	v_mov_b32_e32 v110, 0
	ds_read_b32 v110, v110 offset:8
	s_waitcnt lgkmcnt(0)
	v_mul_f32_e32 v109, v109, v110
	buffer_store_dword v109, off, s[0:3], 0 offset:8
.LBB51_486:
	s_or_b64 exec, exec, s[10:11]
	buffer_load_dword v109, off, s[0:3], 0 offset:4
	v_cmp_lt_u32_e64 s[6:7], 1, v0
	s_waitcnt vmcnt(0)
	ds_write_b32 v106, v109
	s_waitcnt lgkmcnt(0)
	; wave barrier
	s_waitcnt lgkmcnt(0)
	s_and_saveexec_b64 s[10:11], s[6:7]
	s_cbranch_execz .LBB51_496
; %bb.487:
	s_andn2_b64 vcc, exec, s[8:9]
	s_cbranch_vccnz .LBB51_489
; %bb.488:
	buffer_load_dword v109, v107, s[0:3], 0 offen
	ds_read_b32 v110, v106
	s_waitcnt vmcnt(0) lgkmcnt(0)
	v_mul_f32_e32 v109, v109, v110
	s_cbranch_execz .LBB51_490
	s_branch .LBB51_491
.LBB51_489:
                                        ; implicit-def: $vgpr109
.LBB51_490:
	ds_read_b32 v109, v106
.LBB51_491:
	s_and_saveexec_b64 s[12:13], s[4:5]
	s_cbranch_execz .LBB51_495
; %bb.492:
	v_add_u32_e32 v110, -2, v0
	s_movk_i32 s14, 0xd8
	s_mov_b64 s[4:5], 0
.LBB51_493:                             ; =>This Inner Loop Header: Depth=1
	buffer_load_dword v111, v108, s[0:3], 0 offen
	v_mov_b32_e32 v112, s14
	ds_read_b32 v112, v112
	v_add_u32_e32 v110, -1, v110
	s_add_i32 s14, s14, 4
	v_cmp_eq_u32_e32 vcc, 0, v110
	v_add_u32_e32 v108, 4, v108
	s_or_b64 s[4:5], vcc, s[4:5]
	s_waitcnt vmcnt(0) lgkmcnt(0)
	v_fmac_f32_e32 v109, v111, v112
	s_andn2_b64 exec, exec, s[4:5]
	s_cbranch_execnz .LBB51_493
; %bb.494:
	s_or_b64 exec, exec, s[4:5]
.LBB51_495:
	s_or_b64 exec, exec, s[12:13]
	v_mov_b32_e32 v108, 0
	ds_read_b32 v108, v108 offset:4
	s_waitcnt lgkmcnt(0)
	v_mul_f32_e32 v108, v109, v108
	buffer_store_dword v108, off, s[0:3], 0 offset:4
.LBB51_496:
	s_or_b64 exec, exec, s[10:11]
	buffer_load_dword v108, off, s[0:3], 0
	v_cmp_ne_u32_e32 vcc, 0, v0
	s_waitcnt vmcnt(0)
	ds_write_b32 v106, v108
	s_waitcnt lgkmcnt(0)
	; wave barrier
	s_waitcnt lgkmcnt(0)
	s_and_saveexec_b64 s[4:5], vcc
	s_cbranch_execz .LBB51_506
; %bb.497:
	s_andn2_b64 vcc, exec, s[8:9]
	s_cbranch_vccnz .LBB51_499
; %bb.498:
	buffer_load_dword v108, v107, s[0:3], 0 offen
	ds_read_b32 v109, v106
	s_waitcnt vmcnt(0) lgkmcnt(0)
	v_mul_f32_e32 v108, v108, v109
	s_cbranch_execz .LBB51_500
	s_branch .LBB51_501
.LBB51_499:
                                        ; implicit-def: $vgpr108
.LBB51_500:
	ds_read_b32 v108, v106
.LBB51_501:
	s_and_saveexec_b64 s[10:11], s[6:7]
	s_cbranch_execz .LBB51_505
; %bb.502:
	v_mov_b32_e32 v109, 0
	v_or_b32_e32 v109, 4, v109
	v_add_u32_e32 v110, -1, v0
	s_movk_i32 s12, 0xd4
	s_mov_b64 s[6:7], 0
.LBB51_503:                             ; =>This Inner Loop Header: Depth=1
	buffer_load_dword v111, v109, s[0:3], 0 offen
	v_mov_b32_e32 v112, s12
	ds_read_b32 v112, v112
	v_add_u32_e32 v110, -1, v110
	s_add_i32 s12, s12, 4
	v_cmp_eq_u32_e32 vcc, 0, v110
	v_add_u32_e32 v109, 4, v109
	s_or_b64 s[6:7], vcc, s[6:7]
	s_waitcnt vmcnt(0) lgkmcnt(0)
	v_fmac_f32_e32 v108, v111, v112
	s_andn2_b64 exec, exec, s[6:7]
	s_cbranch_execnz .LBB51_503
; %bb.504:
	s_or_b64 exec, exec, s[6:7]
.LBB51_505:
	s_or_b64 exec, exec, s[10:11]
	v_mov_b32_e32 v109, 0
	ds_read_b32 v109, v109
	s_waitcnt lgkmcnt(0)
	v_mul_f32_e32 v108, v108, v109
	buffer_store_dword v108, off, s[0:3], 0
.LBB51_506:
	s_or_b64 exec, exec, s[4:5]
	s_mov_b64 s[4:5], 0
.LBB51_507:
	s_and_b64 vcc, exec, s[4:5]
	s_cbranch_vccz .LBB51_1011
; %bb.508:
	buffer_load_dword v108, off, s[0:3], 0 offset:4
	v_cmp_eq_u32_e64 s[6:7], 0, v0
	s_waitcnt vmcnt(0)
	ds_write_b32 v106, v108
	s_waitcnt lgkmcnt(0)
	; wave barrier
	s_waitcnt lgkmcnt(0)
	s_and_saveexec_b64 s[4:5], s[6:7]
	s_cbranch_execz .LBB51_514
; %bb.509:
	s_and_b64 vcc, exec, s[8:9]
	s_cbranch_vccz .LBB51_511
; %bb.510:
	buffer_load_dword v108, v107, s[0:3], 0 offen
	ds_read_b32 v109, v106
	s_waitcnt vmcnt(0) lgkmcnt(0)
	v_mul_f32_e32 v108, v108, v109
	s_cbranch_execz .LBB51_512
	s_branch .LBB51_513
.LBB51_511:
                                        ; implicit-def: $vgpr108
.LBB51_512:
	ds_read_b32 v108, v106
.LBB51_513:
	v_mov_b32_e32 v109, 0
	ds_read_b32 v109, v109 offset:4
	s_waitcnt lgkmcnt(0)
	v_mul_f32_e32 v108, v108, v109
	buffer_store_dword v108, off, s[0:3], 0 offset:4
.LBB51_514:
	s_or_b64 exec, exec, s[4:5]
	buffer_load_dword v108, off, s[0:3], 0 offset:8
	v_cndmask_b32_e64 v109, 0, 1, s[8:9]
	v_cmp_gt_u32_e32 vcc, 2, v0
	v_cmp_ne_u32_e64 s[4:5], 1, v109
	s_waitcnt vmcnt(0)
	ds_write_b32 v106, v108
	s_waitcnt lgkmcnt(0)
	; wave barrier
	s_waitcnt lgkmcnt(0)
	s_and_saveexec_b64 s[8:9], vcc
	s_cbranch_execz .LBB51_522
; %bb.515:
	s_and_b64 vcc, exec, s[4:5]
	s_cbranch_vccnz .LBB51_517
; %bb.516:
	buffer_load_dword v108, v107, s[0:3], 0 offen
	ds_read_b32 v109, v106
	s_waitcnt vmcnt(0) lgkmcnt(0)
	v_mul_f32_e32 v108, v108, v109
	s_cbranch_execz .LBB51_518
	s_branch .LBB51_519
.LBB51_517:
                                        ; implicit-def: $vgpr108
.LBB51_518:
	ds_read_b32 v108, v106
.LBB51_519:
	s_and_saveexec_b64 s[10:11], s[6:7]
	s_cbranch_execz .LBB51_521
; %bb.520:
	buffer_load_dword v109, v107, s[0:3], 0 offen offset:4
	ds_read_b32 v110, v106 offset:4
	s_waitcnt vmcnt(0) lgkmcnt(0)
	v_fmac_f32_e32 v108, v109, v110
.LBB51_521:
	s_or_b64 exec, exec, s[10:11]
	v_mov_b32_e32 v109, 0
	ds_read_b32 v109, v109 offset:8
	s_waitcnt lgkmcnt(0)
	v_mul_f32_e32 v108, v108, v109
	buffer_store_dword v108, off, s[0:3], 0 offset:8
.LBB51_522:
	s_or_b64 exec, exec, s[8:9]
	buffer_load_dword v108, off, s[0:3], 0 offset:12
	v_cmp_gt_u32_e32 vcc, 3, v0
	s_waitcnt vmcnt(0)
	ds_write_b32 v106, v108
	s_waitcnt lgkmcnt(0)
	; wave barrier
	s_waitcnt lgkmcnt(0)
	s_and_saveexec_b64 s[8:9], vcc
	s_cbranch_execz .LBB51_530
; %bb.523:
	s_and_b64 vcc, exec, s[4:5]
	s_cbranch_vccnz .LBB51_525
; %bb.524:
	buffer_load_dword v108, v107, s[0:3], 0 offen
	ds_read_b32 v109, v106
	s_waitcnt vmcnt(0) lgkmcnt(0)
	v_mul_f32_e32 v108, v108, v109
	s_cbranch_execz .LBB51_526
	s_branch .LBB51_527
.LBB51_525:
                                        ; implicit-def: $vgpr108
.LBB51_526:
	ds_read_b32 v108, v106
.LBB51_527:
	v_cmp_ne_u32_e32 vcc, 2, v0
	s_and_saveexec_b64 s[10:11], vcc
	s_cbranch_execz .LBB51_529
; %bb.528:
	buffer_load_dword v109, v107, s[0:3], 0 offen offset:4
	buffer_load_dword v110, off, s[0:3], 0 offset:8
	v_mov_b32_e32 v111, 0
	ds_read_b32 v112, v106 offset:4
	ds_read_b32 v111, v111 offset:216
	s_waitcnt vmcnt(1) lgkmcnt(1)
	v_fmac_f32_e32 v108, v109, v112
	s_waitcnt vmcnt(0) lgkmcnt(0)
	v_fma_f32 v109, v110, v111, v108
	v_cndmask_b32_e64 v108, v108, v109, s[6:7]
.LBB51_529:
	s_or_b64 exec, exec, s[10:11]
	v_mov_b32_e32 v109, 0
	ds_read_b32 v109, v109 offset:12
	s_waitcnt lgkmcnt(0)
	v_mul_f32_e32 v108, v108, v109
	buffer_store_dword v108, off, s[0:3], 0 offset:12
.LBB51_530:
	s_or_b64 exec, exec, s[8:9]
	buffer_load_dword v108, off, s[0:3], 0 offset:16
	v_cmp_gt_u32_e32 vcc, 4, v0
	s_waitcnt vmcnt(0)
	ds_write_b32 v106, v108
	s_waitcnt lgkmcnt(0)
	; wave barrier
	s_waitcnt lgkmcnt(0)
	s_and_saveexec_b64 s[6:7], vcc
	s_cbranch_execz .LBB51_540
; %bb.531:
	s_and_b64 vcc, exec, s[4:5]
	s_cbranch_vccnz .LBB51_533
; %bb.532:
	buffer_load_dword v108, v107, s[0:3], 0 offen
	ds_read_b32 v109, v106
	s_waitcnt vmcnt(0) lgkmcnt(0)
	v_mul_f32_e32 v108, v108, v109
	s_cbranch_execz .LBB51_534
	s_branch .LBB51_535
.LBB51_533:
                                        ; implicit-def: $vgpr108
.LBB51_534:
	ds_read_b32 v108, v106
.LBB51_535:
	v_cmp_ne_u32_e32 vcc, 3, v0
	s_and_saveexec_b64 s[8:9], vcc
	s_cbranch_execz .LBB51_539
; %bb.536:
	v_mov_b32_e32 v110, 0
	v_add_u32_e32 v109, 0xd4, v1
	v_add3_u32 v110, v1, v110, 4
	s_mov_b64 s[10:11], 0
	v_mov_b32_e32 v111, v0
.LBB51_537:                             ; =>This Inner Loop Header: Depth=1
	buffer_load_dword v112, v110, s[0:3], 0 offen
	ds_read_b32 v113, v109
	v_add_u32_e32 v111, 1, v111
	v_cmp_lt_u32_e32 vcc, 2, v111
	v_add_u32_e32 v109, 4, v109
	v_add_u32_e32 v110, 4, v110
	s_or_b64 s[10:11], vcc, s[10:11]
	s_waitcnt vmcnt(0) lgkmcnt(0)
	v_fmac_f32_e32 v108, v112, v113
	s_andn2_b64 exec, exec, s[10:11]
	s_cbranch_execnz .LBB51_537
; %bb.538:
	s_or_b64 exec, exec, s[10:11]
.LBB51_539:
	s_or_b64 exec, exec, s[8:9]
	v_mov_b32_e32 v109, 0
	ds_read_b32 v109, v109 offset:16
	s_waitcnt lgkmcnt(0)
	v_mul_f32_e32 v108, v108, v109
	buffer_store_dword v108, off, s[0:3], 0 offset:16
.LBB51_540:
	s_or_b64 exec, exec, s[6:7]
	buffer_load_dword v108, off, s[0:3], 0 offset:20
	v_cmp_gt_u32_e32 vcc, 5, v0
	s_waitcnt vmcnt(0)
	ds_write_b32 v106, v108
	s_waitcnt lgkmcnt(0)
	; wave barrier
	s_waitcnt lgkmcnt(0)
	s_and_saveexec_b64 s[6:7], vcc
	s_cbranch_execz .LBB51_550
; %bb.541:
	s_and_b64 vcc, exec, s[4:5]
	s_cbranch_vccnz .LBB51_543
; %bb.542:
	buffer_load_dword v108, v107, s[0:3], 0 offen
	ds_read_b32 v109, v106
	s_waitcnt vmcnt(0) lgkmcnt(0)
	v_mul_f32_e32 v108, v108, v109
	s_cbranch_execz .LBB51_544
	s_branch .LBB51_545
.LBB51_543:
                                        ; implicit-def: $vgpr108
.LBB51_544:
	ds_read_b32 v108, v106
.LBB51_545:
	v_cmp_ne_u32_e32 vcc, 4, v0
	s_and_saveexec_b64 s[8:9], vcc
	s_cbranch_execz .LBB51_549
; %bb.546:
	v_mov_b32_e32 v110, 0
	v_add_u32_e32 v109, 0xd4, v1
	v_add3_u32 v110, v1, v110, 4
	s_mov_b64 s[10:11], 0
	v_mov_b32_e32 v111, v0
.LBB51_547:                             ; =>This Inner Loop Header: Depth=1
	buffer_load_dword v112, v110, s[0:3], 0 offen
	ds_read_b32 v113, v109
	v_add_u32_e32 v111, 1, v111
	v_cmp_lt_u32_e32 vcc, 3, v111
	v_add_u32_e32 v109, 4, v109
	v_add_u32_e32 v110, 4, v110
	s_or_b64 s[10:11], vcc, s[10:11]
	s_waitcnt vmcnt(0) lgkmcnt(0)
	v_fmac_f32_e32 v108, v112, v113
	s_andn2_b64 exec, exec, s[10:11]
	s_cbranch_execnz .LBB51_547
; %bb.548:
	s_or_b64 exec, exec, s[10:11]
.LBB51_549:
	s_or_b64 exec, exec, s[8:9]
	v_mov_b32_e32 v109, 0
	ds_read_b32 v109, v109 offset:20
	s_waitcnt lgkmcnt(0)
	v_mul_f32_e32 v108, v108, v109
	buffer_store_dword v108, off, s[0:3], 0 offset:20
.LBB51_550:
	;; [unrolled: 56-line block ×46, first 2 shown]
	s_or_b64 exec, exec, s[6:7]
	buffer_load_dword v108, off, s[0:3], 0 offset:200
	v_cmp_gt_u32_e64 s[6:7], 50, v0
	s_waitcnt vmcnt(0)
	ds_write_b32 v106, v108
	s_waitcnt lgkmcnt(0)
	; wave barrier
	s_waitcnt lgkmcnt(0)
	s_and_saveexec_b64 s[8:9], s[6:7]
	s_cbranch_execz .LBB51_1000
; %bb.991:
	s_and_b64 vcc, exec, s[4:5]
	s_cbranch_vccnz .LBB51_993
; %bb.992:
	buffer_load_dword v108, v107, s[0:3], 0 offen
	ds_read_b32 v109, v106
	s_waitcnt vmcnt(0) lgkmcnt(0)
	v_mul_f32_e32 v108, v108, v109
	s_cbranch_execz .LBB51_994
	s_branch .LBB51_995
.LBB51_993:
                                        ; implicit-def: $vgpr108
.LBB51_994:
	ds_read_b32 v108, v106
.LBB51_995:
	v_cmp_ne_u32_e32 vcc, 49, v0
	s_and_saveexec_b64 s[10:11], vcc
	s_cbranch_execz .LBB51_999
; %bb.996:
	v_mov_b32_e32 v110, 0
	v_add_u32_e32 v109, 0xd4, v1
	v_add3_u32 v110, v1, v110, 4
	s_mov_b64 s[12:13], 0
	v_mov_b32_e32 v111, v0
.LBB51_997:                             ; =>This Inner Loop Header: Depth=1
	buffer_load_dword v112, v110, s[0:3], 0 offen
	ds_read_b32 v113, v109
	v_add_u32_e32 v111, 1, v111
	v_cmp_lt_u32_e32 vcc, 48, v111
	v_add_u32_e32 v109, 4, v109
	v_add_u32_e32 v110, 4, v110
	s_or_b64 s[12:13], vcc, s[12:13]
	s_waitcnt vmcnt(0) lgkmcnt(0)
	v_fmac_f32_e32 v108, v112, v113
	s_andn2_b64 exec, exec, s[12:13]
	s_cbranch_execnz .LBB51_997
; %bb.998:
	s_or_b64 exec, exec, s[12:13]
.LBB51_999:
	s_or_b64 exec, exec, s[10:11]
	v_mov_b32_e32 v109, 0
	ds_read_b32 v109, v109 offset:200
	s_waitcnt lgkmcnt(0)
	v_mul_f32_e32 v108, v108, v109
	buffer_store_dword v108, off, s[0:3], 0 offset:200
.LBB51_1000:
	s_or_b64 exec, exec, s[8:9]
	buffer_load_dword v108, off, s[0:3], 0 offset:204
	v_cmp_ne_u32_e32 vcc, 51, v0
	s_waitcnt vmcnt(0)
	ds_write_b32 v106, v108
	s_waitcnt lgkmcnt(0)
	; wave barrier
	s_waitcnt lgkmcnt(0)
	s_and_saveexec_b64 s[8:9], vcc
	s_cbranch_execz .LBB51_1010
; %bb.1001:
	s_and_b64 vcc, exec, s[4:5]
	s_cbranch_vccnz .LBB51_1003
; %bb.1002:
	buffer_load_dword v107, v107, s[0:3], 0 offen
	ds_read_b32 v108, v106
	s_waitcnt vmcnt(0) lgkmcnt(0)
	v_mul_f32_e32 v107, v107, v108
	s_cbranch_execz .LBB51_1004
	s_branch .LBB51_1005
.LBB51_1003:
                                        ; implicit-def: $vgpr107
.LBB51_1004:
	ds_read_b32 v107, v106
.LBB51_1005:
	s_and_saveexec_b64 s[4:5], s[6:7]
	s_cbranch_execz .LBB51_1009
; %bb.1006:
	v_mov_b32_e32 v108, 0
	v_add_u32_e32 v106, 0xd4, v1
	v_add3_u32 v1, v1, v108, 4
	s_mov_b64 s[6:7], 0
.LBB51_1007:                            ; =>This Inner Loop Header: Depth=1
	buffer_load_dword v108, v1, s[0:3], 0 offen
	ds_read_b32 v109, v106
	v_add_u32_e32 v0, 1, v0
	v_cmp_lt_u32_e32 vcc, 49, v0
	v_add_u32_e32 v106, 4, v106
	v_add_u32_e32 v1, 4, v1
	s_or_b64 s[6:7], vcc, s[6:7]
	s_waitcnt vmcnt(0) lgkmcnt(0)
	v_fmac_f32_e32 v107, v108, v109
	s_andn2_b64 exec, exec, s[6:7]
	s_cbranch_execnz .LBB51_1007
; %bb.1008:
	s_or_b64 exec, exec, s[6:7]
.LBB51_1009:
	s_or_b64 exec, exec, s[4:5]
	v_mov_b32_e32 v0, 0
	ds_read_b32 v0, v0 offset:204
	s_waitcnt lgkmcnt(0)
	v_mul_f32_e32 v0, v107, v0
	buffer_store_dword v0, off, s[0:3], 0 offset:204
.LBB51_1010:
	s_or_b64 exec, exec, s[8:9]
.LBB51_1011:
	buffer_load_dword v0, off, s[0:3], 0
	buffer_load_dword v1, off, s[0:3], 0 offset:4
	buffer_load_dword v106, off, s[0:3], 0 offset:8
	;; [unrolled: 1-line block ×51, first 2 shown]
	s_waitcnt vmcnt(51)
	global_store_dword v[100:101], v0, off
	s_waitcnt vmcnt(51)
	global_store_dword v[102:103], v1, off
	;; [unrolled: 2-line block ×52, first 2 shown]
.LBB51_1012:
	s_endpgm
	.section	.rodata,"a",@progbits
	.p2align	6, 0x0
	.amdhsa_kernel _ZN9rocsolver6v33100L18trti2_kernel_smallILi52EfPfEEv13rocblas_fill_17rocblas_diagonal_T1_iil
		.amdhsa_group_segment_fixed_size 416
		.amdhsa_private_segment_fixed_size 224
		.amdhsa_kernarg_size 32
		.amdhsa_user_sgpr_count 8
		.amdhsa_user_sgpr_private_segment_buffer 1
		.amdhsa_user_sgpr_dispatch_ptr 0
		.amdhsa_user_sgpr_queue_ptr 0
		.amdhsa_user_sgpr_kernarg_segment_ptr 1
		.amdhsa_user_sgpr_dispatch_id 0
		.amdhsa_user_sgpr_flat_scratch_init 1
		.amdhsa_user_sgpr_kernarg_preload_length 0
		.amdhsa_user_sgpr_kernarg_preload_offset 0
		.amdhsa_user_sgpr_private_segment_size 0
		.amdhsa_uses_dynamic_stack 0
		.amdhsa_system_sgpr_private_segment_wavefront_offset 1
		.amdhsa_system_sgpr_workgroup_id_x 1
		.amdhsa_system_sgpr_workgroup_id_y 0
		.amdhsa_system_sgpr_workgroup_id_z 0
		.amdhsa_system_sgpr_workgroup_info 0
		.amdhsa_system_vgpr_workitem_id 0
		.amdhsa_next_free_vgpr 158
		.amdhsa_next_free_sgpr 20
		.amdhsa_accum_offset 160
		.amdhsa_reserve_vcc 1
		.amdhsa_reserve_flat_scratch 0
		.amdhsa_float_round_mode_32 0
		.amdhsa_float_round_mode_16_64 0
		.amdhsa_float_denorm_mode_32 3
		.amdhsa_float_denorm_mode_16_64 3
		.amdhsa_dx10_clamp 1
		.amdhsa_ieee_mode 1
		.amdhsa_fp16_overflow 0
		.amdhsa_tg_split 0
		.amdhsa_exception_fp_ieee_invalid_op 0
		.amdhsa_exception_fp_denorm_src 0
		.amdhsa_exception_fp_ieee_div_zero 0
		.amdhsa_exception_fp_ieee_overflow 0
		.amdhsa_exception_fp_ieee_underflow 0
		.amdhsa_exception_fp_ieee_inexact 0
		.amdhsa_exception_int_div_zero 0
	.end_amdhsa_kernel
	.section	.text._ZN9rocsolver6v33100L18trti2_kernel_smallILi52EfPfEEv13rocblas_fill_17rocblas_diagonal_T1_iil,"axG",@progbits,_ZN9rocsolver6v33100L18trti2_kernel_smallILi52EfPfEEv13rocblas_fill_17rocblas_diagonal_T1_iil,comdat
.Lfunc_end51:
	.size	_ZN9rocsolver6v33100L18trti2_kernel_smallILi52EfPfEEv13rocblas_fill_17rocblas_diagonal_T1_iil, .Lfunc_end51-_ZN9rocsolver6v33100L18trti2_kernel_smallILi52EfPfEEv13rocblas_fill_17rocblas_diagonal_T1_iil
                                        ; -- End function
	.section	.AMDGPU.csdata,"",@progbits
; Kernel info:
; codeLenInByte = 25432
; NumSgprs: 24
; NumVgprs: 158
; NumAgprs: 0
; TotalNumVgprs: 158
; ScratchSize: 224
; MemoryBound: 0
; FloatMode: 240
; IeeeMode: 1
; LDSByteSize: 416 bytes/workgroup (compile time only)
; SGPRBlocks: 2
; VGPRBlocks: 19
; NumSGPRsForWavesPerEU: 24
; NumVGPRsForWavesPerEU: 158
; AccumOffset: 160
; Occupancy: 3
; WaveLimiterHint : 0
; COMPUTE_PGM_RSRC2:SCRATCH_EN: 1
; COMPUTE_PGM_RSRC2:USER_SGPR: 8
; COMPUTE_PGM_RSRC2:TRAP_HANDLER: 0
; COMPUTE_PGM_RSRC2:TGID_X_EN: 1
; COMPUTE_PGM_RSRC2:TGID_Y_EN: 0
; COMPUTE_PGM_RSRC2:TGID_Z_EN: 0
; COMPUTE_PGM_RSRC2:TIDIG_COMP_CNT: 0
; COMPUTE_PGM_RSRC3_GFX90A:ACCUM_OFFSET: 39
; COMPUTE_PGM_RSRC3_GFX90A:TG_SPLIT: 0
	.section	.text._ZN9rocsolver6v33100L18trti2_kernel_smallILi53EfPfEEv13rocblas_fill_17rocblas_diagonal_T1_iil,"axG",@progbits,_ZN9rocsolver6v33100L18trti2_kernel_smallILi53EfPfEEv13rocblas_fill_17rocblas_diagonal_T1_iil,comdat
	.globl	_ZN9rocsolver6v33100L18trti2_kernel_smallILi53EfPfEEv13rocblas_fill_17rocblas_diagonal_T1_iil ; -- Begin function _ZN9rocsolver6v33100L18trti2_kernel_smallILi53EfPfEEv13rocblas_fill_17rocblas_diagonal_T1_iil
	.p2align	8
	.type	_ZN9rocsolver6v33100L18trti2_kernel_smallILi53EfPfEEv13rocblas_fill_17rocblas_diagonal_T1_iil,@function
_ZN9rocsolver6v33100L18trti2_kernel_smallILi53EfPfEEv13rocblas_fill_17rocblas_diagonal_T1_iil: ; @_ZN9rocsolver6v33100L18trti2_kernel_smallILi53EfPfEEv13rocblas_fill_17rocblas_diagonal_T1_iil
; %bb.0:
	s_add_u32 s0, s0, s9
	s_addc_u32 s1, s1, 0
	v_cmp_gt_u32_e32 vcc, 53, v0
	s_and_saveexec_b64 s[6:7], vcc
	s_cbranch_execz .LBB52_1032
; %bb.1:
	s_load_dwordx8 s[12:19], s[4:5], 0x0
	s_ashr_i32 s6, s8, 31
	s_waitcnt lgkmcnt(0)
	s_mul_i32 s7, s8, s19
	s_mul_hi_u32 s9, s8, s18
	s_add_i32 s7, s9, s7
	s_mul_i32 s6, s6, s18
	s_add_i32 s7, s7, s6
	s_mul_i32 s6, s8, s18
	s_ashr_i32 s5, s16, 31
	s_lshl_b64 s[6:7], s[6:7], 2
	s_mov_b32 s4, s16
	s_add_u32 s6, s14, s6
	s_addc_u32 s7, s15, s7
	s_lshl_b64 s[4:5], s[4:5], 2
	s_add_u32 s4, s6, s4
	s_addc_u32 s5, s7, s5
	s_add_i32 s6, s17, s17
	v_add_u32_e32 v4, s6, v0
	v_ashrrev_i32_e32 v5, 31, v4
	v_lshlrev_b64 v[2:3], 2, v[4:5]
	v_add_u32_e32 v6, s17, v4
	v_mov_b32_e32 v1, s5
	v_add_co_u32_e32 v2, vcc, s4, v2
	v_ashrrev_i32_e32 v7, 31, v6
	v_addc_co_u32_e32 v3, vcc, v1, v3, vcc
	v_lshlrev_b64 v[4:5], 2, v[6:7]
	v_add_u32_e32 v8, s17, v6
	v_add_co_u32_e32 v4, vcc, s4, v4
	v_ashrrev_i32_e32 v9, 31, v8
	v_addc_co_u32_e32 v5, vcc, v1, v5, vcc
	v_lshlrev_b64 v[6:7], 2, v[8:9]
	v_add_u32_e32 v10, s17, v8
	;; [unrolled: 5-line block ×48, first 2 shown]
	v_add_co_u32_e32 v98, vcc, s4, v98
	v_ashrrev_i32_e32 v103, 31, v102
	v_addc_co_u32_e32 v99, vcc, v1, v99, vcc
	v_lshlrev_b64 v[100:101], 2, v[102:103]
	v_add_co_u32_e32 v100, vcc, s4, v100
	v_add_u32_e32 v102, s17, v102
	v_addc_co_u32_e32 v101, vcc, v1, v101, vcc
	v_ashrrev_i32_e32 v103, 31, v102
	v_lshlrev_b32_e32 v1, 2, v0
	v_lshlrev_b64 v[106:107], 2, v[102:103]
	v_mov_b32_e32 v103, s5
	v_add_co_u32_e32 v102, vcc, s4, v1
	s_ashr_i32 s7, s17, 31
	s_mov_b32 s6, s17
	v_addc_co_u32_e32 v103, vcc, 0, v103, vcc
	s_lshl_b64 s[6:7], s[6:7], 2
	v_mov_b32_e32 v105, s7
	v_add_co_u32_e32 v104, vcc, s6, v102
	v_addc_co_u32_e32 v105, vcc, v103, v105, vcc
	v_mov_b32_e32 v157, s5
	v_add_co_u32_e32 v106, vcc, s4, v106
	global_load_dword v108, v1, s[4:5]
	global_load_dword v109, v[104:105], off
	global_load_dword v110, v[6:7], off
	;; [unrolled: 1-line block ×49, first 2 shown]
	v_addc_co_u32_e32 v107, vcc, v157, v107, vcc
	global_load_dword v157, v[100:101], off
	global_load_dword v159, v[98:99], off
	;; [unrolled: 1-line block ×3, first 2 shown]
	s_cmpk_lg_i32 s13, 0x84
	s_waitcnt vmcnt(52)
	buffer_store_dword v108, off, s[0:3], 0
	s_waitcnt vmcnt(52)
	buffer_store_dword v109, off, s[0:3], 0 offset:4
	s_waitcnt vmcnt(47)
	buffer_store_dword v115, off, s[0:3], 0 offset:12
	;; [unrolled: 2-line block ×3, first 2 shown]
	buffer_store_dword v110, off, s[0:3], 0 offset:16
	buffer_store_dword v111, off, s[0:3], 0 offset:20
	;; [unrolled: 1-line block ×5, first 2 shown]
	s_waitcnt vmcnt(52)
	buffer_store_dword v117, off, s[0:3], 0 offset:36
	s_waitcnt vmcnt(47)
	buffer_store_dword v123, off, s[0:3], 0 offset:44
	;; [unrolled: 2-line block ×3, first 2 shown]
	buffer_store_dword v118, off, s[0:3], 0 offset:48
	buffer_store_dword v119, off, s[0:3], 0 offset:52
	;; [unrolled: 1-line block ×5, first 2 shown]
	s_waitcnt vmcnt(52)
	buffer_store_dword v125, off, s[0:3], 0 offset:68
	s_waitcnt vmcnt(52)
	buffer_store_dword v126, off, s[0:3], 0 offset:72
	;; [unrolled: 2-line block ×5, first 2 shown]
	buffer_store_dword v129, off, s[0:3], 0 offset:92
	buffer_store_dword v130, off, s[0:3], 0 offset:88
	s_waitcnt vmcnt(51)
	buffer_store_dword v133, off, s[0:3], 0 offset:100
	buffer_store_dword v128, off, s[0:3], 0 offset:96
	s_waitcnt vmcnt(47)
	buffer_store_dword v139, off, s[0:3], 0 offset:108
	s_waitcnt vmcnt(47)
	buffer_store_dword v140, off, s[0:3], 0 offset:104
	buffer_store_dword v137, off, s[0:3], 0 offset:116
	buffer_store_dword v138, off, s[0:3], 0 offset:112
	buffer_store_dword v135, off, s[0:3], 0 offset:124
	buffer_store_dword v136, off, s[0:3], 0 offset:120
	s_waitcnt vmcnt(51)
	buffer_store_dword v141, off, s[0:3], 0 offset:132
	buffer_store_dword v134, off, s[0:3], 0 offset:128
	s_waitcnt vmcnt(47)
	buffer_store_dword v147, off, s[0:3], 0 offset:140
	s_waitcnt vmcnt(47)
	buffer_store_dword v148, off, s[0:3], 0 offset:136
	buffer_store_dword v145, off, s[0:3], 0 offset:148
	buffer_store_dword v146, off, s[0:3], 0 offset:144
	;; [unrolled: 11-line block ×3, first 2 shown]
	buffer_store_dword v151, off, s[0:3], 0 offset:188
	buffer_store_dword v152, off, s[0:3], 0 offset:184
	s_waitcnt vmcnt(51)
	buffer_store_dword v158, off, s[0:3], 0 offset:196
	buffer_store_dword v150, off, s[0:3], 0 offset:192
	s_waitcnt vmcnt(52)
	buffer_store_dword v157, off, s[0:3], 0 offset:204
	s_waitcnt vmcnt(52)
	;; [unrolled: 2-line block ×3, first 2 shown]
	buffer_store_dword v160, off, s[0:3], 0 offset:208
	s_cselect_b64 s[10:11], -1, 0
	s_cmpk_eq_i32 s13, 0x84
	v_mov_b32_e32 v134, 0
	v_mov_b32_e32 v108, -1.0
	s_cbranch_scc1 .LBB52_3
; %bb.2:
	v_lshl_add_u32 v108, v0, 2, v134
	buffer_load_dword v109, v108, s[0:3], 0 offen
	s_waitcnt vmcnt(0)
	v_div_scale_f32 v110, s[4:5], v109, v109, 1.0
	v_rcp_f32_e32 v111, v110
	v_div_scale_f32 v112, vcc, 1.0, v109, 1.0
	v_fma_f32 v113, -v110, v111, 1.0
	v_fmac_f32_e32 v111, v113, v111
	v_mul_f32_e32 v113, v112, v111
	v_fma_f32 v114, -v110, v113, v112
	v_fmac_f32_e32 v113, v114, v111
	v_fma_f32 v110, -v110, v113, v112
	v_div_fmas_f32 v110, v110, v111, v113
	v_div_fixup_f32 v109, v110, v109, 1.0
	buffer_store_dword v109, v108, s[0:3], 0 offen
	v_xor_b32_e32 v108, 0x80000000, v109
.LBB52_3:
	ds_write_b32 v1, v108
	s_cmpk_eq_i32 s12, 0x79
	v_add_u32_e32 v108, 0xe0, v1
	v_add_u32_e32 v109, 0, v1
	s_mov_b64 s[4:5], -1
	s_cbranch_scc1 .LBB52_517
; %bb.4:
	buffer_load_dword v110, off, s[0:3], 0 offset:204
	v_cmp_eq_u32_e64 s[4:5], 52, v0
	s_waitcnt vmcnt(0)
	ds_write_b32 v108, v110
	s_waitcnt lgkmcnt(0)
	; wave barrier
	s_waitcnt lgkmcnt(0)
	s_and_saveexec_b64 s[6:7], s[4:5]
	s_cbranch_execz .LBB52_10
; %bb.5:
	s_and_b64 vcc, exec, s[10:11]
	s_cbranch_vccz .LBB52_7
; %bb.6:
	buffer_load_dword v110, v109, s[0:3], 0 offen
	ds_read_b32 v111, v108
	s_waitcnt vmcnt(0) lgkmcnt(0)
	v_mul_f32_e32 v110, v110, v111
	s_cbranch_execz .LBB52_8
	s_branch .LBB52_9
.LBB52_7:
                                        ; implicit-def: $vgpr110
.LBB52_8:
	ds_read_b32 v110, v108
.LBB52_9:
	v_mov_b32_e32 v111, 0
	ds_read_b32 v111, v111 offset:204
	s_waitcnt lgkmcnt(0)
	v_mul_f32_e32 v110, v110, v111
	buffer_store_dword v110, off, s[0:3], 0 offset:204
.LBB52_10:
	s_or_b64 exec, exec, s[6:7]
	buffer_load_dword v135, off, s[0:3], 0 offset:200
	v_or_b32_e32 v110, 8, v134
	v_add_u32_e32 v111, 16, v134
	v_add_u32_e32 v112, 24, v134
	;; [unrolled: 1-line block ×24, first 2 shown]
	v_cmp_lt_u32_e64 s[8:9], 50, v0
	s_waitcnt vmcnt(0)
	ds_write_b32 v108, v135
	s_waitcnt lgkmcnt(0)
	; wave barrier
	s_waitcnt lgkmcnt(0)
	s_and_saveexec_b64 s[6:7], s[8:9]
	s_cbranch_execz .LBB52_16
; %bb.11:
	s_andn2_b64 vcc, exec, s[10:11]
	s_cbranch_vccnz .LBB52_13
; %bb.12:
	buffer_load_dword v135, v109, s[0:3], 0 offen
	ds_read_b32 v136, v108
	s_waitcnt vmcnt(0) lgkmcnt(0)
	v_mul_f32_e32 v135, v135, v136
	s_cbranch_execz .LBB52_14
	s_branch .LBB52_15
.LBB52_13:
                                        ; implicit-def: $vgpr135
.LBB52_14:
	ds_read_b32 v135, v108
.LBB52_15:
	buffer_load_dword v138, off, s[0:3], 0 offset:204
	v_mov_b32_e32 v136, 0
	ds_read2_b32 v[136:137], v136 offset0:50 offset1:107
	s_waitcnt vmcnt(0) lgkmcnt(0)
	v_fma_f32 v137, v138, v137, v135
	v_cndmask_b32_e64 v135, v135, v137, s[4:5]
	v_mul_f32_e32 v135, v135, v136
	buffer_store_dword v135, off, s[0:3], 0 offset:200
.LBB52_16:
	s_or_b64 exec, exec, s[6:7]
	buffer_load_dword v135, off, s[0:3], 0 offset:196
	v_cmp_lt_u32_e64 s[6:7], 49, v0
	s_waitcnt vmcnt(0)
	ds_write_b32 v108, v135
	s_waitcnt lgkmcnt(0)
	; wave barrier
	s_waitcnt lgkmcnt(0)
	s_and_saveexec_b64 s[4:5], s[6:7]
	s_cbranch_execz .LBB52_26
; %bb.17:
	s_andn2_b64 vcc, exec, s[10:11]
	s_cbranch_vccnz .LBB52_19
; %bb.18:
	buffer_load_dword v135, v109, s[0:3], 0 offen
	ds_read_b32 v136, v108
	s_waitcnt vmcnt(0) lgkmcnt(0)
	v_mul_f32_e32 v135, v135, v136
	s_cbranch_execz .LBB52_20
	s_branch .LBB52_21
.LBB52_19:
                                        ; implicit-def: $vgpr135
.LBB52_20:
	ds_read_b32 v135, v108
.LBB52_21:
	s_and_saveexec_b64 s[12:13], s[8:9]
	s_cbranch_execz .LBB52_25
; %bb.22:
	v_subrev_u32_e32 v136, 50, v0
	s_movk_i32 s14, 0x1a8
	s_mov_b64 s[8:9], 0
.LBB52_23:                              ; =>This Inner Loop Header: Depth=1
	buffer_load_dword v137, v134, s[0:3], 0 offen
	v_mov_b32_e32 v138, s14
	ds_read_b32 v138, v138
	v_add_u32_e32 v136, -1, v136
	s_add_i32 s14, s14, 4
	v_cmp_eq_u32_e32 vcc, 0, v136
	v_add_u32_e32 v134, 4, v134
	s_or_b64 s[8:9], vcc, s[8:9]
	s_waitcnt vmcnt(0) lgkmcnt(0)
	v_fmac_f32_e32 v135, v137, v138
	s_andn2_b64 exec, exec, s[8:9]
	s_cbranch_execnz .LBB52_23
; %bb.24:
	s_or_b64 exec, exec, s[8:9]
.LBB52_25:
	s_or_b64 exec, exec, s[12:13]
	v_mov_b32_e32 v134, 0
	ds_read_b32 v134, v134 offset:196
	s_waitcnt lgkmcnt(0)
	v_mul_f32_e32 v134, v135, v134
	buffer_store_dword v134, off, s[0:3], 0 offset:196
.LBB52_26:
	s_or_b64 exec, exec, s[4:5]
	buffer_load_dword v134, off, s[0:3], 0 offset:192
	v_cmp_lt_u32_e64 s[4:5], 48, v0
	s_waitcnt vmcnt(0)
	ds_write_b32 v108, v134
	s_waitcnt lgkmcnt(0)
	; wave barrier
	s_waitcnt lgkmcnt(0)
	s_and_saveexec_b64 s[8:9], s[4:5]
	s_cbranch_execz .LBB52_36
; %bb.27:
	s_andn2_b64 vcc, exec, s[10:11]
	s_cbranch_vccnz .LBB52_29
; %bb.28:
	buffer_load_dword v134, v109, s[0:3], 0 offen
	ds_read_b32 v135, v108
	s_waitcnt vmcnt(0) lgkmcnt(0)
	v_mul_f32_e32 v134, v134, v135
	s_cbranch_execz .LBB52_30
	s_branch .LBB52_31
.LBB52_29:
                                        ; implicit-def: $vgpr134
.LBB52_30:
	ds_read_b32 v134, v108
.LBB52_31:
	s_and_saveexec_b64 s[12:13], s[6:7]
	s_cbranch_execz .LBB52_35
; %bb.32:
	v_mov_b32_e32 v135, 0
	v_add_u32_e32 v135, 0xc4, v135
	v_subrev_u32_e32 v136, 49, v0
	s_movk_i32 s14, 0x1a4
	s_mov_b64 s[6:7], 0
.LBB52_33:                              ; =>This Inner Loop Header: Depth=1
	buffer_load_dword v137, v135, s[0:3], 0 offen
	v_mov_b32_e32 v138, s14
	ds_read_b32 v138, v138
	v_add_u32_e32 v136, -1, v136
	s_add_i32 s14, s14, 4
	v_cmp_eq_u32_e32 vcc, 0, v136
	v_add_u32_e32 v135, 4, v135
	s_or_b64 s[6:7], vcc, s[6:7]
	s_waitcnt vmcnt(0) lgkmcnt(0)
	v_fmac_f32_e32 v134, v137, v138
	s_andn2_b64 exec, exec, s[6:7]
	s_cbranch_execnz .LBB52_33
; %bb.34:
	s_or_b64 exec, exec, s[6:7]
.LBB52_35:
	s_or_b64 exec, exec, s[12:13]
	v_mov_b32_e32 v135, 0
	ds_read_b32 v135, v135 offset:192
	s_waitcnt lgkmcnt(0)
	v_mul_f32_e32 v134, v134, v135
	buffer_store_dword v134, off, s[0:3], 0 offset:192
.LBB52_36:
	s_or_b64 exec, exec, s[8:9]
	buffer_load_dword v134, off, s[0:3], 0 offset:188
	v_cmp_lt_u32_e64 s[6:7], 47, v0
	s_waitcnt vmcnt(0)
	ds_write_b32 v108, v134
	s_waitcnt lgkmcnt(0)
	; wave barrier
	s_waitcnt lgkmcnt(0)
	s_and_saveexec_b64 s[8:9], s[6:7]
	s_cbranch_execz .LBB52_46
; %bb.37:
	s_andn2_b64 vcc, exec, s[10:11]
	s_cbranch_vccnz .LBB52_39
; %bb.38:
	buffer_load_dword v134, v109, s[0:3], 0 offen
	ds_read_b32 v135, v108
	s_waitcnt vmcnt(0) lgkmcnt(0)
	v_mul_f32_e32 v134, v134, v135
	s_cbranch_execz .LBB52_40
	s_branch .LBB52_41
.LBB52_39:
                                        ; implicit-def: $vgpr134
.LBB52_40:
	ds_read_b32 v134, v108
.LBB52_41:
	s_and_saveexec_b64 s[12:13], s[4:5]
	s_cbranch_execz .LBB52_45
; %bb.42:
	v_subrev_u32_e32 v135, 48, v0
	s_movk_i32 s14, 0x1a0
	s_mov_b64 s[4:5], 0
.LBB52_43:                              ; =>This Inner Loop Header: Depth=1
	buffer_load_dword v136, v133, s[0:3], 0 offen
	v_mov_b32_e32 v137, s14
	ds_read_b32 v137, v137
	v_add_u32_e32 v135, -1, v135
	s_add_i32 s14, s14, 4
	v_cmp_eq_u32_e32 vcc, 0, v135
	v_add_u32_e32 v133, 4, v133
	s_or_b64 s[4:5], vcc, s[4:5]
	s_waitcnt vmcnt(0) lgkmcnt(0)
	v_fmac_f32_e32 v134, v136, v137
	s_andn2_b64 exec, exec, s[4:5]
	s_cbranch_execnz .LBB52_43
; %bb.44:
	s_or_b64 exec, exec, s[4:5]
.LBB52_45:
	s_or_b64 exec, exec, s[12:13]
	v_mov_b32_e32 v133, 0
	ds_read_b32 v133, v133 offset:188
	s_waitcnt lgkmcnt(0)
	v_mul_f32_e32 v133, v134, v133
	buffer_store_dword v133, off, s[0:3], 0 offset:188
.LBB52_46:
	s_or_b64 exec, exec, s[8:9]
	buffer_load_dword v133, off, s[0:3], 0 offset:184
	v_cmp_lt_u32_e64 s[4:5], 46, v0
	s_waitcnt vmcnt(0)
	ds_write_b32 v108, v133
	s_waitcnt lgkmcnt(0)
	; wave barrier
	s_waitcnt lgkmcnt(0)
	s_and_saveexec_b64 s[8:9], s[4:5]
	s_cbranch_execz .LBB52_56
; %bb.47:
	s_andn2_b64 vcc, exec, s[10:11]
	s_cbranch_vccnz .LBB52_49
; %bb.48:
	buffer_load_dword v133, v109, s[0:3], 0 offen
	ds_read_b32 v134, v108
	s_waitcnt vmcnt(0) lgkmcnt(0)
	v_mul_f32_e32 v133, v133, v134
	s_cbranch_execz .LBB52_50
	s_branch .LBB52_51
.LBB52_49:
                                        ; implicit-def: $vgpr133
.LBB52_50:
	ds_read_b32 v133, v108
.LBB52_51:
	s_and_saveexec_b64 s[12:13], s[6:7]
	s_cbranch_execz .LBB52_55
; %bb.52:
	v_mov_b32_e32 v134, 0
	v_add_u32_e32 v134, 0xbc, v134
	v_subrev_u32_e32 v135, 47, v0
	s_movk_i32 s14, 0x19c
	s_mov_b64 s[6:7], 0
.LBB52_53:                              ; =>This Inner Loop Header: Depth=1
	buffer_load_dword v136, v134, s[0:3], 0 offen
	v_mov_b32_e32 v137, s14
	ds_read_b32 v137, v137
	v_add_u32_e32 v135, -1, v135
	s_add_i32 s14, s14, 4
	v_cmp_eq_u32_e32 vcc, 0, v135
	v_add_u32_e32 v134, 4, v134
	s_or_b64 s[6:7], vcc, s[6:7]
	s_waitcnt vmcnt(0) lgkmcnt(0)
	v_fmac_f32_e32 v133, v136, v137
	s_andn2_b64 exec, exec, s[6:7]
	s_cbranch_execnz .LBB52_53
; %bb.54:
	s_or_b64 exec, exec, s[6:7]
.LBB52_55:
	s_or_b64 exec, exec, s[12:13]
	v_mov_b32_e32 v134, 0
	ds_read_b32 v134, v134 offset:184
	s_waitcnt lgkmcnt(0)
	v_mul_f32_e32 v133, v133, v134
	buffer_store_dword v133, off, s[0:3], 0 offset:184
.LBB52_56:
	s_or_b64 exec, exec, s[8:9]
	buffer_load_dword v133, off, s[0:3], 0 offset:180
	v_cmp_lt_u32_e64 s[6:7], 45, v0
	s_waitcnt vmcnt(0)
	ds_write_b32 v108, v133
	s_waitcnt lgkmcnt(0)
	; wave barrier
	s_waitcnt lgkmcnt(0)
	s_and_saveexec_b64 s[8:9], s[6:7]
	s_cbranch_execz .LBB52_66
; %bb.57:
	s_andn2_b64 vcc, exec, s[10:11]
	s_cbranch_vccnz .LBB52_59
; %bb.58:
	buffer_load_dword v133, v109, s[0:3], 0 offen
	ds_read_b32 v134, v108
	s_waitcnt vmcnt(0) lgkmcnt(0)
	v_mul_f32_e32 v133, v133, v134
	s_cbranch_execz .LBB52_60
	s_branch .LBB52_61
.LBB52_59:
                                        ; implicit-def: $vgpr133
.LBB52_60:
	ds_read_b32 v133, v108
.LBB52_61:
	s_and_saveexec_b64 s[12:13], s[4:5]
	s_cbranch_execz .LBB52_65
; %bb.62:
	v_subrev_u32_e32 v134, 46, v0
	s_movk_i32 s14, 0x198
	s_mov_b64 s[4:5], 0
.LBB52_63:                              ; =>This Inner Loop Header: Depth=1
	buffer_load_dword v135, v132, s[0:3], 0 offen
	v_mov_b32_e32 v136, s14
	ds_read_b32 v136, v136
	v_add_u32_e32 v134, -1, v134
	s_add_i32 s14, s14, 4
	v_cmp_eq_u32_e32 vcc, 0, v134
	v_add_u32_e32 v132, 4, v132
	s_or_b64 s[4:5], vcc, s[4:5]
	s_waitcnt vmcnt(0) lgkmcnt(0)
	v_fmac_f32_e32 v133, v135, v136
	s_andn2_b64 exec, exec, s[4:5]
	s_cbranch_execnz .LBB52_63
; %bb.64:
	s_or_b64 exec, exec, s[4:5]
.LBB52_65:
	s_or_b64 exec, exec, s[12:13]
	v_mov_b32_e32 v132, 0
	ds_read_b32 v132, v132 offset:180
	s_waitcnt lgkmcnt(0)
	v_mul_f32_e32 v132, v133, v132
	buffer_store_dword v132, off, s[0:3], 0 offset:180
.LBB52_66:
	s_or_b64 exec, exec, s[8:9]
	buffer_load_dword v132, off, s[0:3], 0 offset:176
	v_cmp_lt_u32_e64 s[4:5], 44, v0
	s_waitcnt vmcnt(0)
	ds_write_b32 v108, v132
	s_waitcnt lgkmcnt(0)
	; wave barrier
	s_waitcnt lgkmcnt(0)
	s_and_saveexec_b64 s[8:9], s[4:5]
	s_cbranch_execz .LBB52_76
; %bb.67:
	s_andn2_b64 vcc, exec, s[10:11]
	s_cbranch_vccnz .LBB52_69
; %bb.68:
	buffer_load_dword v132, v109, s[0:3], 0 offen
	ds_read_b32 v133, v108
	s_waitcnt vmcnt(0) lgkmcnt(0)
	v_mul_f32_e32 v132, v132, v133
	s_cbranch_execz .LBB52_70
	s_branch .LBB52_71
.LBB52_69:
                                        ; implicit-def: $vgpr132
.LBB52_70:
	ds_read_b32 v132, v108
.LBB52_71:
	s_and_saveexec_b64 s[12:13], s[6:7]
	s_cbranch_execz .LBB52_75
; %bb.72:
	v_mov_b32_e32 v133, 0
	v_add_u32_e32 v133, 0xb4, v133
	v_subrev_u32_e32 v134, 45, v0
	s_movk_i32 s14, 0x194
	s_mov_b64 s[6:7], 0
.LBB52_73:                              ; =>This Inner Loop Header: Depth=1
	buffer_load_dword v135, v133, s[0:3], 0 offen
	v_mov_b32_e32 v136, s14
	ds_read_b32 v136, v136
	v_add_u32_e32 v134, -1, v134
	s_add_i32 s14, s14, 4
	v_cmp_eq_u32_e32 vcc, 0, v134
	v_add_u32_e32 v133, 4, v133
	s_or_b64 s[6:7], vcc, s[6:7]
	s_waitcnt vmcnt(0) lgkmcnt(0)
	v_fmac_f32_e32 v132, v135, v136
	s_andn2_b64 exec, exec, s[6:7]
	s_cbranch_execnz .LBB52_73
; %bb.74:
	s_or_b64 exec, exec, s[6:7]
.LBB52_75:
	s_or_b64 exec, exec, s[12:13]
	v_mov_b32_e32 v133, 0
	ds_read_b32 v133, v133 offset:176
	s_waitcnt lgkmcnt(0)
	v_mul_f32_e32 v132, v132, v133
	buffer_store_dword v132, off, s[0:3], 0 offset:176
.LBB52_76:
	s_or_b64 exec, exec, s[8:9]
	buffer_load_dword v132, off, s[0:3], 0 offset:172
	v_cmp_lt_u32_e64 s[6:7], 43, v0
	s_waitcnt vmcnt(0)
	ds_write_b32 v108, v132
	s_waitcnt lgkmcnt(0)
	; wave barrier
	s_waitcnt lgkmcnt(0)
	s_and_saveexec_b64 s[8:9], s[6:7]
	s_cbranch_execz .LBB52_86
; %bb.77:
	s_andn2_b64 vcc, exec, s[10:11]
	s_cbranch_vccnz .LBB52_79
; %bb.78:
	buffer_load_dword v132, v109, s[0:3], 0 offen
	ds_read_b32 v133, v108
	s_waitcnt vmcnt(0) lgkmcnt(0)
	v_mul_f32_e32 v132, v132, v133
	s_cbranch_execz .LBB52_80
	s_branch .LBB52_81
.LBB52_79:
                                        ; implicit-def: $vgpr132
.LBB52_80:
	ds_read_b32 v132, v108
.LBB52_81:
	s_and_saveexec_b64 s[12:13], s[4:5]
	s_cbranch_execz .LBB52_85
; %bb.82:
	v_subrev_u32_e32 v133, 44, v0
	s_movk_i32 s14, 0x190
	s_mov_b64 s[4:5], 0
.LBB52_83:                              ; =>This Inner Loop Header: Depth=1
	buffer_load_dword v134, v131, s[0:3], 0 offen
	v_mov_b32_e32 v135, s14
	ds_read_b32 v135, v135
	v_add_u32_e32 v133, -1, v133
	s_add_i32 s14, s14, 4
	v_cmp_eq_u32_e32 vcc, 0, v133
	v_add_u32_e32 v131, 4, v131
	s_or_b64 s[4:5], vcc, s[4:5]
	s_waitcnt vmcnt(0) lgkmcnt(0)
	v_fmac_f32_e32 v132, v134, v135
	s_andn2_b64 exec, exec, s[4:5]
	s_cbranch_execnz .LBB52_83
; %bb.84:
	s_or_b64 exec, exec, s[4:5]
.LBB52_85:
	s_or_b64 exec, exec, s[12:13]
	v_mov_b32_e32 v131, 0
	ds_read_b32 v131, v131 offset:172
	s_waitcnt lgkmcnt(0)
	v_mul_f32_e32 v131, v132, v131
	buffer_store_dword v131, off, s[0:3], 0 offset:172
.LBB52_86:
	s_or_b64 exec, exec, s[8:9]
	buffer_load_dword v131, off, s[0:3], 0 offset:168
	v_cmp_lt_u32_e64 s[4:5], 42, v0
	s_waitcnt vmcnt(0)
	ds_write_b32 v108, v131
	s_waitcnt lgkmcnt(0)
	; wave barrier
	s_waitcnt lgkmcnt(0)
	s_and_saveexec_b64 s[8:9], s[4:5]
	s_cbranch_execz .LBB52_96
; %bb.87:
	s_andn2_b64 vcc, exec, s[10:11]
	s_cbranch_vccnz .LBB52_89
; %bb.88:
	buffer_load_dword v131, v109, s[0:3], 0 offen
	ds_read_b32 v132, v108
	s_waitcnt vmcnt(0) lgkmcnt(0)
	v_mul_f32_e32 v131, v131, v132
	s_cbranch_execz .LBB52_90
	s_branch .LBB52_91
.LBB52_89:
                                        ; implicit-def: $vgpr131
.LBB52_90:
	ds_read_b32 v131, v108
.LBB52_91:
	s_and_saveexec_b64 s[12:13], s[6:7]
	s_cbranch_execz .LBB52_95
; %bb.92:
	v_mov_b32_e32 v132, 0
	v_add_u32_e32 v132, 0xac, v132
	v_subrev_u32_e32 v133, 43, v0
	s_movk_i32 s14, 0x18c
	s_mov_b64 s[6:7], 0
.LBB52_93:                              ; =>This Inner Loop Header: Depth=1
	buffer_load_dword v134, v132, s[0:3], 0 offen
	v_mov_b32_e32 v135, s14
	ds_read_b32 v135, v135
	v_add_u32_e32 v133, -1, v133
	s_add_i32 s14, s14, 4
	v_cmp_eq_u32_e32 vcc, 0, v133
	v_add_u32_e32 v132, 4, v132
	s_or_b64 s[6:7], vcc, s[6:7]
	s_waitcnt vmcnt(0) lgkmcnt(0)
	v_fmac_f32_e32 v131, v134, v135
	s_andn2_b64 exec, exec, s[6:7]
	s_cbranch_execnz .LBB52_93
; %bb.94:
	s_or_b64 exec, exec, s[6:7]
.LBB52_95:
	s_or_b64 exec, exec, s[12:13]
	v_mov_b32_e32 v132, 0
	ds_read_b32 v132, v132 offset:168
	s_waitcnt lgkmcnt(0)
	v_mul_f32_e32 v131, v131, v132
	buffer_store_dword v131, off, s[0:3], 0 offset:168
.LBB52_96:
	s_or_b64 exec, exec, s[8:9]
	buffer_load_dword v131, off, s[0:3], 0 offset:164
	v_cmp_lt_u32_e64 s[6:7], 41, v0
	s_waitcnt vmcnt(0)
	ds_write_b32 v108, v131
	s_waitcnt lgkmcnt(0)
	; wave barrier
	s_waitcnt lgkmcnt(0)
	s_and_saveexec_b64 s[8:9], s[6:7]
	s_cbranch_execz .LBB52_106
; %bb.97:
	s_andn2_b64 vcc, exec, s[10:11]
	s_cbranch_vccnz .LBB52_99
; %bb.98:
	buffer_load_dword v131, v109, s[0:3], 0 offen
	ds_read_b32 v132, v108
	s_waitcnt vmcnt(0) lgkmcnt(0)
	v_mul_f32_e32 v131, v131, v132
	s_cbranch_execz .LBB52_100
	s_branch .LBB52_101
.LBB52_99:
                                        ; implicit-def: $vgpr131
.LBB52_100:
	ds_read_b32 v131, v108
.LBB52_101:
	s_and_saveexec_b64 s[12:13], s[4:5]
	s_cbranch_execz .LBB52_105
; %bb.102:
	v_subrev_u32_e32 v132, 42, v0
	s_movk_i32 s14, 0x188
	s_mov_b64 s[4:5], 0
.LBB52_103:                             ; =>This Inner Loop Header: Depth=1
	buffer_load_dword v133, v130, s[0:3], 0 offen
	v_mov_b32_e32 v134, s14
	ds_read_b32 v134, v134
	v_add_u32_e32 v132, -1, v132
	s_add_i32 s14, s14, 4
	v_cmp_eq_u32_e32 vcc, 0, v132
	v_add_u32_e32 v130, 4, v130
	s_or_b64 s[4:5], vcc, s[4:5]
	s_waitcnt vmcnt(0) lgkmcnt(0)
	v_fmac_f32_e32 v131, v133, v134
	s_andn2_b64 exec, exec, s[4:5]
	s_cbranch_execnz .LBB52_103
; %bb.104:
	s_or_b64 exec, exec, s[4:5]
.LBB52_105:
	s_or_b64 exec, exec, s[12:13]
	v_mov_b32_e32 v130, 0
	ds_read_b32 v130, v130 offset:164
	s_waitcnt lgkmcnt(0)
	v_mul_f32_e32 v130, v131, v130
	buffer_store_dword v130, off, s[0:3], 0 offset:164
.LBB52_106:
	s_or_b64 exec, exec, s[8:9]
	buffer_load_dword v130, off, s[0:3], 0 offset:160
	v_cmp_lt_u32_e64 s[4:5], 40, v0
	s_waitcnt vmcnt(0)
	ds_write_b32 v108, v130
	s_waitcnt lgkmcnt(0)
	; wave barrier
	s_waitcnt lgkmcnt(0)
	s_and_saveexec_b64 s[8:9], s[4:5]
	s_cbranch_execz .LBB52_116
; %bb.107:
	s_andn2_b64 vcc, exec, s[10:11]
	s_cbranch_vccnz .LBB52_109
; %bb.108:
	buffer_load_dword v130, v109, s[0:3], 0 offen
	ds_read_b32 v131, v108
	s_waitcnt vmcnt(0) lgkmcnt(0)
	v_mul_f32_e32 v130, v130, v131
	s_cbranch_execz .LBB52_110
	s_branch .LBB52_111
.LBB52_109:
                                        ; implicit-def: $vgpr130
.LBB52_110:
	ds_read_b32 v130, v108
.LBB52_111:
	s_and_saveexec_b64 s[12:13], s[6:7]
	s_cbranch_execz .LBB52_115
; %bb.112:
	v_mov_b32_e32 v131, 0
	v_add_u32_e32 v131, 0xa4, v131
	v_subrev_u32_e32 v132, 41, v0
	s_movk_i32 s14, 0x184
	s_mov_b64 s[6:7], 0
.LBB52_113:                             ; =>This Inner Loop Header: Depth=1
	buffer_load_dword v133, v131, s[0:3], 0 offen
	v_mov_b32_e32 v134, s14
	ds_read_b32 v134, v134
	v_add_u32_e32 v132, -1, v132
	s_add_i32 s14, s14, 4
	v_cmp_eq_u32_e32 vcc, 0, v132
	v_add_u32_e32 v131, 4, v131
	s_or_b64 s[6:7], vcc, s[6:7]
	s_waitcnt vmcnt(0) lgkmcnt(0)
	v_fmac_f32_e32 v130, v133, v134
	s_andn2_b64 exec, exec, s[6:7]
	s_cbranch_execnz .LBB52_113
; %bb.114:
	s_or_b64 exec, exec, s[6:7]
.LBB52_115:
	s_or_b64 exec, exec, s[12:13]
	v_mov_b32_e32 v131, 0
	ds_read_b32 v131, v131 offset:160
	s_waitcnt lgkmcnt(0)
	v_mul_f32_e32 v130, v130, v131
	buffer_store_dword v130, off, s[0:3], 0 offset:160
.LBB52_116:
	s_or_b64 exec, exec, s[8:9]
	buffer_load_dword v130, off, s[0:3], 0 offset:156
	v_cmp_lt_u32_e64 s[6:7], 39, v0
	s_waitcnt vmcnt(0)
	ds_write_b32 v108, v130
	s_waitcnt lgkmcnt(0)
	; wave barrier
	s_waitcnt lgkmcnt(0)
	s_and_saveexec_b64 s[8:9], s[6:7]
	s_cbranch_execz .LBB52_126
; %bb.117:
	s_andn2_b64 vcc, exec, s[10:11]
	s_cbranch_vccnz .LBB52_119
; %bb.118:
	buffer_load_dword v130, v109, s[0:3], 0 offen
	ds_read_b32 v131, v108
	s_waitcnt vmcnt(0) lgkmcnt(0)
	v_mul_f32_e32 v130, v130, v131
	s_cbranch_execz .LBB52_120
	s_branch .LBB52_121
.LBB52_119:
                                        ; implicit-def: $vgpr130
.LBB52_120:
	ds_read_b32 v130, v108
.LBB52_121:
	s_and_saveexec_b64 s[12:13], s[4:5]
	s_cbranch_execz .LBB52_125
; %bb.122:
	v_subrev_u32_e32 v131, 40, v0
	s_movk_i32 s14, 0x180
	s_mov_b64 s[4:5], 0
.LBB52_123:                             ; =>This Inner Loop Header: Depth=1
	buffer_load_dword v132, v129, s[0:3], 0 offen
	v_mov_b32_e32 v133, s14
	ds_read_b32 v133, v133
	v_add_u32_e32 v131, -1, v131
	s_add_i32 s14, s14, 4
	v_cmp_eq_u32_e32 vcc, 0, v131
	v_add_u32_e32 v129, 4, v129
	s_or_b64 s[4:5], vcc, s[4:5]
	s_waitcnt vmcnt(0) lgkmcnt(0)
	v_fmac_f32_e32 v130, v132, v133
	s_andn2_b64 exec, exec, s[4:5]
	s_cbranch_execnz .LBB52_123
; %bb.124:
	s_or_b64 exec, exec, s[4:5]
.LBB52_125:
	s_or_b64 exec, exec, s[12:13]
	v_mov_b32_e32 v129, 0
	ds_read_b32 v129, v129 offset:156
	s_waitcnt lgkmcnt(0)
	v_mul_f32_e32 v129, v130, v129
	buffer_store_dword v129, off, s[0:3], 0 offset:156
.LBB52_126:
	s_or_b64 exec, exec, s[8:9]
	buffer_load_dword v129, off, s[0:3], 0 offset:152
	v_cmp_lt_u32_e64 s[4:5], 38, v0
	s_waitcnt vmcnt(0)
	ds_write_b32 v108, v129
	s_waitcnt lgkmcnt(0)
	; wave barrier
	s_waitcnt lgkmcnt(0)
	s_and_saveexec_b64 s[8:9], s[4:5]
	s_cbranch_execz .LBB52_136
; %bb.127:
	s_andn2_b64 vcc, exec, s[10:11]
	s_cbranch_vccnz .LBB52_129
; %bb.128:
	buffer_load_dword v129, v109, s[0:3], 0 offen
	ds_read_b32 v130, v108
	s_waitcnt vmcnt(0) lgkmcnt(0)
	v_mul_f32_e32 v129, v129, v130
	s_cbranch_execz .LBB52_130
	s_branch .LBB52_131
.LBB52_129:
                                        ; implicit-def: $vgpr129
.LBB52_130:
	ds_read_b32 v129, v108
.LBB52_131:
	s_and_saveexec_b64 s[12:13], s[6:7]
	s_cbranch_execz .LBB52_135
; %bb.132:
	v_mov_b32_e32 v130, 0
	v_add_u32_e32 v130, 0x9c, v130
	v_subrev_u32_e32 v131, 39, v0
	s_movk_i32 s14, 0x17c
	s_mov_b64 s[6:7], 0
.LBB52_133:                             ; =>This Inner Loop Header: Depth=1
	buffer_load_dword v132, v130, s[0:3], 0 offen
	v_mov_b32_e32 v133, s14
	ds_read_b32 v133, v133
	v_add_u32_e32 v131, -1, v131
	s_add_i32 s14, s14, 4
	v_cmp_eq_u32_e32 vcc, 0, v131
	v_add_u32_e32 v130, 4, v130
	s_or_b64 s[6:7], vcc, s[6:7]
	s_waitcnt vmcnt(0) lgkmcnt(0)
	v_fmac_f32_e32 v129, v132, v133
	s_andn2_b64 exec, exec, s[6:7]
	s_cbranch_execnz .LBB52_133
; %bb.134:
	s_or_b64 exec, exec, s[6:7]
.LBB52_135:
	s_or_b64 exec, exec, s[12:13]
	v_mov_b32_e32 v130, 0
	ds_read_b32 v130, v130 offset:152
	s_waitcnt lgkmcnt(0)
	v_mul_f32_e32 v129, v129, v130
	buffer_store_dword v129, off, s[0:3], 0 offset:152
.LBB52_136:
	s_or_b64 exec, exec, s[8:9]
	buffer_load_dword v129, off, s[0:3], 0 offset:148
	v_cmp_lt_u32_e64 s[6:7], 37, v0
	s_waitcnt vmcnt(0)
	ds_write_b32 v108, v129
	s_waitcnt lgkmcnt(0)
	; wave barrier
	s_waitcnt lgkmcnt(0)
	s_and_saveexec_b64 s[8:9], s[6:7]
	s_cbranch_execz .LBB52_146
; %bb.137:
	s_andn2_b64 vcc, exec, s[10:11]
	s_cbranch_vccnz .LBB52_139
; %bb.138:
	buffer_load_dword v129, v109, s[0:3], 0 offen
	ds_read_b32 v130, v108
	s_waitcnt vmcnt(0) lgkmcnt(0)
	v_mul_f32_e32 v129, v129, v130
	s_cbranch_execz .LBB52_140
	s_branch .LBB52_141
.LBB52_139:
                                        ; implicit-def: $vgpr129
.LBB52_140:
	ds_read_b32 v129, v108
.LBB52_141:
	s_and_saveexec_b64 s[12:13], s[4:5]
	s_cbranch_execz .LBB52_145
; %bb.142:
	v_subrev_u32_e32 v130, 38, v0
	s_movk_i32 s14, 0x178
	s_mov_b64 s[4:5], 0
.LBB52_143:                             ; =>This Inner Loop Header: Depth=1
	buffer_load_dword v131, v128, s[0:3], 0 offen
	v_mov_b32_e32 v132, s14
	ds_read_b32 v132, v132
	v_add_u32_e32 v130, -1, v130
	s_add_i32 s14, s14, 4
	v_cmp_eq_u32_e32 vcc, 0, v130
	v_add_u32_e32 v128, 4, v128
	s_or_b64 s[4:5], vcc, s[4:5]
	s_waitcnt vmcnt(0) lgkmcnt(0)
	v_fmac_f32_e32 v129, v131, v132
	s_andn2_b64 exec, exec, s[4:5]
	s_cbranch_execnz .LBB52_143
; %bb.144:
	s_or_b64 exec, exec, s[4:5]
.LBB52_145:
	s_or_b64 exec, exec, s[12:13]
	v_mov_b32_e32 v128, 0
	ds_read_b32 v128, v128 offset:148
	s_waitcnt lgkmcnt(0)
	v_mul_f32_e32 v128, v129, v128
	buffer_store_dword v128, off, s[0:3], 0 offset:148
.LBB52_146:
	s_or_b64 exec, exec, s[8:9]
	buffer_load_dword v128, off, s[0:3], 0 offset:144
	v_cmp_lt_u32_e64 s[4:5], 36, v0
	s_waitcnt vmcnt(0)
	ds_write_b32 v108, v128
	s_waitcnt lgkmcnt(0)
	; wave barrier
	s_waitcnt lgkmcnt(0)
	s_and_saveexec_b64 s[8:9], s[4:5]
	s_cbranch_execz .LBB52_156
; %bb.147:
	s_andn2_b64 vcc, exec, s[10:11]
	s_cbranch_vccnz .LBB52_149
; %bb.148:
	buffer_load_dword v128, v109, s[0:3], 0 offen
	ds_read_b32 v129, v108
	s_waitcnt vmcnt(0) lgkmcnt(0)
	v_mul_f32_e32 v128, v128, v129
	s_cbranch_execz .LBB52_150
	s_branch .LBB52_151
.LBB52_149:
                                        ; implicit-def: $vgpr128
.LBB52_150:
	ds_read_b32 v128, v108
.LBB52_151:
	s_and_saveexec_b64 s[12:13], s[6:7]
	s_cbranch_execz .LBB52_155
; %bb.152:
	v_mov_b32_e32 v129, 0
	v_add_u32_e32 v129, 0x94, v129
	v_subrev_u32_e32 v130, 37, v0
	s_movk_i32 s14, 0x174
	s_mov_b64 s[6:7], 0
.LBB52_153:                             ; =>This Inner Loop Header: Depth=1
	buffer_load_dword v131, v129, s[0:3], 0 offen
	v_mov_b32_e32 v132, s14
	ds_read_b32 v132, v132
	v_add_u32_e32 v130, -1, v130
	s_add_i32 s14, s14, 4
	v_cmp_eq_u32_e32 vcc, 0, v130
	v_add_u32_e32 v129, 4, v129
	s_or_b64 s[6:7], vcc, s[6:7]
	s_waitcnt vmcnt(0) lgkmcnt(0)
	v_fmac_f32_e32 v128, v131, v132
	s_andn2_b64 exec, exec, s[6:7]
	s_cbranch_execnz .LBB52_153
; %bb.154:
	s_or_b64 exec, exec, s[6:7]
.LBB52_155:
	s_or_b64 exec, exec, s[12:13]
	v_mov_b32_e32 v129, 0
	ds_read_b32 v129, v129 offset:144
	s_waitcnt lgkmcnt(0)
	v_mul_f32_e32 v128, v128, v129
	buffer_store_dword v128, off, s[0:3], 0 offset:144
.LBB52_156:
	s_or_b64 exec, exec, s[8:9]
	buffer_load_dword v128, off, s[0:3], 0 offset:140
	v_cmp_lt_u32_e64 s[6:7], 35, v0
	s_waitcnt vmcnt(0)
	ds_write_b32 v108, v128
	s_waitcnt lgkmcnt(0)
	; wave barrier
	s_waitcnt lgkmcnt(0)
	s_and_saveexec_b64 s[8:9], s[6:7]
	s_cbranch_execz .LBB52_166
; %bb.157:
	s_andn2_b64 vcc, exec, s[10:11]
	s_cbranch_vccnz .LBB52_159
; %bb.158:
	buffer_load_dword v128, v109, s[0:3], 0 offen
	ds_read_b32 v129, v108
	s_waitcnt vmcnt(0) lgkmcnt(0)
	v_mul_f32_e32 v128, v128, v129
	s_cbranch_execz .LBB52_160
	s_branch .LBB52_161
.LBB52_159:
                                        ; implicit-def: $vgpr128
.LBB52_160:
	ds_read_b32 v128, v108
.LBB52_161:
	s_and_saveexec_b64 s[12:13], s[4:5]
	s_cbranch_execz .LBB52_165
; %bb.162:
	v_subrev_u32_e32 v129, 36, v0
	s_movk_i32 s14, 0x170
	s_mov_b64 s[4:5], 0
.LBB52_163:                             ; =>This Inner Loop Header: Depth=1
	buffer_load_dword v130, v127, s[0:3], 0 offen
	v_mov_b32_e32 v131, s14
	ds_read_b32 v131, v131
	v_add_u32_e32 v129, -1, v129
	s_add_i32 s14, s14, 4
	v_cmp_eq_u32_e32 vcc, 0, v129
	v_add_u32_e32 v127, 4, v127
	s_or_b64 s[4:5], vcc, s[4:5]
	s_waitcnt vmcnt(0) lgkmcnt(0)
	v_fmac_f32_e32 v128, v130, v131
	s_andn2_b64 exec, exec, s[4:5]
	s_cbranch_execnz .LBB52_163
; %bb.164:
	s_or_b64 exec, exec, s[4:5]
.LBB52_165:
	s_or_b64 exec, exec, s[12:13]
	v_mov_b32_e32 v127, 0
	ds_read_b32 v127, v127 offset:140
	s_waitcnt lgkmcnt(0)
	v_mul_f32_e32 v127, v128, v127
	buffer_store_dword v127, off, s[0:3], 0 offset:140
.LBB52_166:
	s_or_b64 exec, exec, s[8:9]
	buffer_load_dword v127, off, s[0:3], 0 offset:136
	v_cmp_lt_u32_e64 s[4:5], 34, v0
	s_waitcnt vmcnt(0)
	ds_write_b32 v108, v127
	s_waitcnt lgkmcnt(0)
	; wave barrier
	s_waitcnt lgkmcnt(0)
	s_and_saveexec_b64 s[8:9], s[4:5]
	s_cbranch_execz .LBB52_176
; %bb.167:
	s_andn2_b64 vcc, exec, s[10:11]
	s_cbranch_vccnz .LBB52_169
; %bb.168:
	buffer_load_dword v127, v109, s[0:3], 0 offen
	ds_read_b32 v128, v108
	s_waitcnt vmcnt(0) lgkmcnt(0)
	v_mul_f32_e32 v127, v127, v128
	s_cbranch_execz .LBB52_170
	s_branch .LBB52_171
.LBB52_169:
                                        ; implicit-def: $vgpr127
.LBB52_170:
	ds_read_b32 v127, v108
.LBB52_171:
	s_and_saveexec_b64 s[12:13], s[6:7]
	s_cbranch_execz .LBB52_175
; %bb.172:
	v_mov_b32_e32 v128, 0
	v_add_u32_e32 v128, 0x8c, v128
	v_subrev_u32_e32 v129, 35, v0
	s_movk_i32 s14, 0x16c
	s_mov_b64 s[6:7], 0
.LBB52_173:                             ; =>This Inner Loop Header: Depth=1
	buffer_load_dword v130, v128, s[0:3], 0 offen
	v_mov_b32_e32 v131, s14
	ds_read_b32 v131, v131
	v_add_u32_e32 v129, -1, v129
	s_add_i32 s14, s14, 4
	v_cmp_eq_u32_e32 vcc, 0, v129
	v_add_u32_e32 v128, 4, v128
	s_or_b64 s[6:7], vcc, s[6:7]
	s_waitcnt vmcnt(0) lgkmcnt(0)
	v_fmac_f32_e32 v127, v130, v131
	s_andn2_b64 exec, exec, s[6:7]
	s_cbranch_execnz .LBB52_173
; %bb.174:
	s_or_b64 exec, exec, s[6:7]
.LBB52_175:
	s_or_b64 exec, exec, s[12:13]
	v_mov_b32_e32 v128, 0
	ds_read_b32 v128, v128 offset:136
	s_waitcnt lgkmcnt(0)
	v_mul_f32_e32 v127, v127, v128
	buffer_store_dword v127, off, s[0:3], 0 offset:136
.LBB52_176:
	s_or_b64 exec, exec, s[8:9]
	buffer_load_dword v127, off, s[0:3], 0 offset:132
	v_cmp_lt_u32_e64 s[6:7], 33, v0
	s_waitcnt vmcnt(0)
	ds_write_b32 v108, v127
	s_waitcnt lgkmcnt(0)
	; wave barrier
	s_waitcnt lgkmcnt(0)
	s_and_saveexec_b64 s[8:9], s[6:7]
	s_cbranch_execz .LBB52_186
; %bb.177:
	s_andn2_b64 vcc, exec, s[10:11]
	s_cbranch_vccnz .LBB52_179
; %bb.178:
	buffer_load_dword v127, v109, s[0:3], 0 offen
	ds_read_b32 v128, v108
	s_waitcnt vmcnt(0) lgkmcnt(0)
	v_mul_f32_e32 v127, v127, v128
	s_cbranch_execz .LBB52_180
	s_branch .LBB52_181
.LBB52_179:
                                        ; implicit-def: $vgpr127
.LBB52_180:
	ds_read_b32 v127, v108
.LBB52_181:
	s_and_saveexec_b64 s[12:13], s[4:5]
	s_cbranch_execz .LBB52_185
; %bb.182:
	v_subrev_u32_e32 v128, 34, v0
	s_movk_i32 s14, 0x168
	s_mov_b64 s[4:5], 0
.LBB52_183:                             ; =>This Inner Loop Header: Depth=1
	buffer_load_dword v129, v126, s[0:3], 0 offen
	v_mov_b32_e32 v130, s14
	ds_read_b32 v130, v130
	v_add_u32_e32 v128, -1, v128
	s_add_i32 s14, s14, 4
	v_cmp_eq_u32_e32 vcc, 0, v128
	v_add_u32_e32 v126, 4, v126
	s_or_b64 s[4:5], vcc, s[4:5]
	s_waitcnt vmcnt(0) lgkmcnt(0)
	v_fmac_f32_e32 v127, v129, v130
	s_andn2_b64 exec, exec, s[4:5]
	s_cbranch_execnz .LBB52_183
; %bb.184:
	s_or_b64 exec, exec, s[4:5]
.LBB52_185:
	s_or_b64 exec, exec, s[12:13]
	v_mov_b32_e32 v126, 0
	ds_read_b32 v126, v126 offset:132
	s_waitcnt lgkmcnt(0)
	v_mul_f32_e32 v126, v127, v126
	buffer_store_dword v126, off, s[0:3], 0 offset:132
.LBB52_186:
	s_or_b64 exec, exec, s[8:9]
	buffer_load_dword v126, off, s[0:3], 0 offset:128
	v_cmp_lt_u32_e64 s[4:5], 32, v0
	s_waitcnt vmcnt(0)
	ds_write_b32 v108, v126
	s_waitcnt lgkmcnt(0)
	; wave barrier
	s_waitcnt lgkmcnt(0)
	s_and_saveexec_b64 s[8:9], s[4:5]
	s_cbranch_execz .LBB52_196
; %bb.187:
	s_andn2_b64 vcc, exec, s[10:11]
	s_cbranch_vccnz .LBB52_189
; %bb.188:
	buffer_load_dword v126, v109, s[0:3], 0 offen
	ds_read_b32 v127, v108
	s_waitcnt vmcnt(0) lgkmcnt(0)
	v_mul_f32_e32 v126, v126, v127
	s_cbranch_execz .LBB52_190
	s_branch .LBB52_191
.LBB52_189:
                                        ; implicit-def: $vgpr126
.LBB52_190:
	ds_read_b32 v126, v108
.LBB52_191:
	s_and_saveexec_b64 s[12:13], s[6:7]
	s_cbranch_execz .LBB52_195
; %bb.192:
	v_mov_b32_e32 v127, 0
	v_add_u32_e32 v127, 0x84, v127
	v_subrev_u32_e32 v128, 33, v0
	s_movk_i32 s14, 0x164
	s_mov_b64 s[6:7], 0
.LBB52_193:                             ; =>This Inner Loop Header: Depth=1
	buffer_load_dword v129, v127, s[0:3], 0 offen
	v_mov_b32_e32 v130, s14
	ds_read_b32 v130, v130
	v_add_u32_e32 v128, -1, v128
	s_add_i32 s14, s14, 4
	v_cmp_eq_u32_e32 vcc, 0, v128
	v_add_u32_e32 v127, 4, v127
	s_or_b64 s[6:7], vcc, s[6:7]
	s_waitcnt vmcnt(0) lgkmcnt(0)
	v_fmac_f32_e32 v126, v129, v130
	s_andn2_b64 exec, exec, s[6:7]
	s_cbranch_execnz .LBB52_193
; %bb.194:
	s_or_b64 exec, exec, s[6:7]
.LBB52_195:
	s_or_b64 exec, exec, s[12:13]
	v_mov_b32_e32 v127, 0
	ds_read_b32 v127, v127 offset:128
	s_waitcnt lgkmcnt(0)
	v_mul_f32_e32 v126, v126, v127
	buffer_store_dword v126, off, s[0:3], 0 offset:128
.LBB52_196:
	s_or_b64 exec, exec, s[8:9]
	buffer_load_dword v126, off, s[0:3], 0 offset:124
	v_cmp_lt_u32_e64 s[6:7], 31, v0
	s_waitcnt vmcnt(0)
	ds_write_b32 v108, v126
	s_waitcnt lgkmcnt(0)
	; wave barrier
	s_waitcnt lgkmcnt(0)
	s_and_saveexec_b64 s[8:9], s[6:7]
	s_cbranch_execz .LBB52_206
; %bb.197:
	s_andn2_b64 vcc, exec, s[10:11]
	s_cbranch_vccnz .LBB52_199
; %bb.198:
	buffer_load_dword v126, v109, s[0:3], 0 offen
	ds_read_b32 v127, v108
	s_waitcnt vmcnt(0) lgkmcnt(0)
	v_mul_f32_e32 v126, v126, v127
	s_cbranch_execz .LBB52_200
	s_branch .LBB52_201
.LBB52_199:
                                        ; implicit-def: $vgpr126
.LBB52_200:
	ds_read_b32 v126, v108
.LBB52_201:
	s_and_saveexec_b64 s[12:13], s[4:5]
	s_cbranch_execz .LBB52_205
; %bb.202:
	v_subrev_u32_e32 v127, 32, v0
	s_movk_i32 s14, 0x160
	s_mov_b64 s[4:5], 0
.LBB52_203:                             ; =>This Inner Loop Header: Depth=1
	buffer_load_dword v128, v125, s[0:3], 0 offen
	v_mov_b32_e32 v129, s14
	ds_read_b32 v129, v129
	v_add_u32_e32 v127, -1, v127
	s_add_i32 s14, s14, 4
	v_cmp_eq_u32_e32 vcc, 0, v127
	v_add_u32_e32 v125, 4, v125
	s_or_b64 s[4:5], vcc, s[4:5]
	s_waitcnt vmcnt(0) lgkmcnt(0)
	v_fmac_f32_e32 v126, v128, v129
	s_andn2_b64 exec, exec, s[4:5]
	s_cbranch_execnz .LBB52_203
; %bb.204:
	s_or_b64 exec, exec, s[4:5]
.LBB52_205:
	s_or_b64 exec, exec, s[12:13]
	v_mov_b32_e32 v125, 0
	ds_read_b32 v125, v125 offset:124
	s_waitcnt lgkmcnt(0)
	v_mul_f32_e32 v125, v126, v125
	buffer_store_dword v125, off, s[0:3], 0 offset:124
.LBB52_206:
	s_or_b64 exec, exec, s[8:9]
	buffer_load_dword v125, off, s[0:3], 0 offset:120
	v_cmp_lt_u32_e64 s[4:5], 30, v0
	s_waitcnt vmcnt(0)
	ds_write_b32 v108, v125
	s_waitcnt lgkmcnt(0)
	; wave barrier
	s_waitcnt lgkmcnt(0)
	s_and_saveexec_b64 s[8:9], s[4:5]
	s_cbranch_execz .LBB52_216
; %bb.207:
	s_andn2_b64 vcc, exec, s[10:11]
	s_cbranch_vccnz .LBB52_209
; %bb.208:
	buffer_load_dword v125, v109, s[0:3], 0 offen
	ds_read_b32 v126, v108
	s_waitcnt vmcnt(0) lgkmcnt(0)
	v_mul_f32_e32 v125, v125, v126
	s_cbranch_execz .LBB52_210
	s_branch .LBB52_211
.LBB52_209:
                                        ; implicit-def: $vgpr125
.LBB52_210:
	ds_read_b32 v125, v108
.LBB52_211:
	s_and_saveexec_b64 s[12:13], s[6:7]
	s_cbranch_execz .LBB52_215
; %bb.212:
	v_mov_b32_e32 v126, 0
	v_add_u32_e32 v126, 0x7c, v126
	v_subrev_u32_e32 v127, 31, v0
	s_movk_i32 s14, 0x15c
	s_mov_b64 s[6:7], 0
.LBB52_213:                             ; =>This Inner Loop Header: Depth=1
	buffer_load_dword v128, v126, s[0:3], 0 offen
	v_mov_b32_e32 v129, s14
	ds_read_b32 v129, v129
	v_add_u32_e32 v127, -1, v127
	s_add_i32 s14, s14, 4
	v_cmp_eq_u32_e32 vcc, 0, v127
	v_add_u32_e32 v126, 4, v126
	s_or_b64 s[6:7], vcc, s[6:7]
	s_waitcnt vmcnt(0) lgkmcnt(0)
	v_fmac_f32_e32 v125, v128, v129
	s_andn2_b64 exec, exec, s[6:7]
	s_cbranch_execnz .LBB52_213
; %bb.214:
	s_or_b64 exec, exec, s[6:7]
.LBB52_215:
	s_or_b64 exec, exec, s[12:13]
	v_mov_b32_e32 v126, 0
	ds_read_b32 v126, v126 offset:120
	s_waitcnt lgkmcnt(0)
	v_mul_f32_e32 v125, v125, v126
	buffer_store_dword v125, off, s[0:3], 0 offset:120
.LBB52_216:
	s_or_b64 exec, exec, s[8:9]
	buffer_load_dword v125, off, s[0:3], 0 offset:116
	v_cmp_lt_u32_e64 s[6:7], 29, v0
	s_waitcnt vmcnt(0)
	ds_write_b32 v108, v125
	s_waitcnt lgkmcnt(0)
	; wave barrier
	s_waitcnt lgkmcnt(0)
	s_and_saveexec_b64 s[8:9], s[6:7]
	s_cbranch_execz .LBB52_226
; %bb.217:
	s_andn2_b64 vcc, exec, s[10:11]
	s_cbranch_vccnz .LBB52_219
; %bb.218:
	buffer_load_dword v125, v109, s[0:3], 0 offen
	ds_read_b32 v126, v108
	s_waitcnt vmcnt(0) lgkmcnt(0)
	v_mul_f32_e32 v125, v125, v126
	s_cbranch_execz .LBB52_220
	s_branch .LBB52_221
.LBB52_219:
                                        ; implicit-def: $vgpr125
.LBB52_220:
	ds_read_b32 v125, v108
.LBB52_221:
	s_and_saveexec_b64 s[12:13], s[4:5]
	s_cbranch_execz .LBB52_225
; %bb.222:
	v_subrev_u32_e32 v126, 30, v0
	s_movk_i32 s14, 0x158
	s_mov_b64 s[4:5], 0
.LBB52_223:                             ; =>This Inner Loop Header: Depth=1
	buffer_load_dword v127, v124, s[0:3], 0 offen
	v_mov_b32_e32 v128, s14
	ds_read_b32 v128, v128
	v_add_u32_e32 v126, -1, v126
	s_add_i32 s14, s14, 4
	v_cmp_eq_u32_e32 vcc, 0, v126
	v_add_u32_e32 v124, 4, v124
	s_or_b64 s[4:5], vcc, s[4:5]
	s_waitcnt vmcnt(0) lgkmcnt(0)
	v_fmac_f32_e32 v125, v127, v128
	s_andn2_b64 exec, exec, s[4:5]
	s_cbranch_execnz .LBB52_223
; %bb.224:
	s_or_b64 exec, exec, s[4:5]
.LBB52_225:
	s_or_b64 exec, exec, s[12:13]
	v_mov_b32_e32 v124, 0
	ds_read_b32 v124, v124 offset:116
	s_waitcnt lgkmcnt(0)
	v_mul_f32_e32 v124, v125, v124
	buffer_store_dword v124, off, s[0:3], 0 offset:116
.LBB52_226:
	s_or_b64 exec, exec, s[8:9]
	buffer_load_dword v124, off, s[0:3], 0 offset:112
	v_cmp_lt_u32_e64 s[4:5], 28, v0
	s_waitcnt vmcnt(0)
	ds_write_b32 v108, v124
	s_waitcnt lgkmcnt(0)
	; wave barrier
	s_waitcnt lgkmcnt(0)
	s_and_saveexec_b64 s[8:9], s[4:5]
	s_cbranch_execz .LBB52_236
; %bb.227:
	s_andn2_b64 vcc, exec, s[10:11]
	s_cbranch_vccnz .LBB52_229
; %bb.228:
	buffer_load_dword v124, v109, s[0:3], 0 offen
	ds_read_b32 v125, v108
	s_waitcnt vmcnt(0) lgkmcnt(0)
	v_mul_f32_e32 v124, v124, v125
	s_cbranch_execz .LBB52_230
	s_branch .LBB52_231
.LBB52_229:
                                        ; implicit-def: $vgpr124
.LBB52_230:
	ds_read_b32 v124, v108
.LBB52_231:
	s_and_saveexec_b64 s[12:13], s[6:7]
	s_cbranch_execz .LBB52_235
; %bb.232:
	v_mov_b32_e32 v125, 0
	v_add_u32_e32 v125, 0x74, v125
	v_subrev_u32_e32 v126, 29, v0
	s_movk_i32 s14, 0x154
	s_mov_b64 s[6:7], 0
.LBB52_233:                             ; =>This Inner Loop Header: Depth=1
	buffer_load_dword v127, v125, s[0:3], 0 offen
	v_mov_b32_e32 v128, s14
	ds_read_b32 v128, v128
	v_add_u32_e32 v126, -1, v126
	s_add_i32 s14, s14, 4
	v_cmp_eq_u32_e32 vcc, 0, v126
	v_add_u32_e32 v125, 4, v125
	s_or_b64 s[6:7], vcc, s[6:7]
	s_waitcnt vmcnt(0) lgkmcnt(0)
	v_fmac_f32_e32 v124, v127, v128
	s_andn2_b64 exec, exec, s[6:7]
	s_cbranch_execnz .LBB52_233
; %bb.234:
	s_or_b64 exec, exec, s[6:7]
.LBB52_235:
	s_or_b64 exec, exec, s[12:13]
	v_mov_b32_e32 v125, 0
	ds_read_b32 v125, v125 offset:112
	s_waitcnt lgkmcnt(0)
	v_mul_f32_e32 v124, v124, v125
	buffer_store_dword v124, off, s[0:3], 0 offset:112
.LBB52_236:
	s_or_b64 exec, exec, s[8:9]
	buffer_load_dword v124, off, s[0:3], 0 offset:108
	v_cmp_lt_u32_e64 s[6:7], 27, v0
	s_waitcnt vmcnt(0)
	ds_write_b32 v108, v124
	s_waitcnt lgkmcnt(0)
	; wave barrier
	s_waitcnt lgkmcnt(0)
	s_and_saveexec_b64 s[8:9], s[6:7]
	s_cbranch_execz .LBB52_246
; %bb.237:
	s_andn2_b64 vcc, exec, s[10:11]
	s_cbranch_vccnz .LBB52_239
; %bb.238:
	buffer_load_dword v124, v109, s[0:3], 0 offen
	ds_read_b32 v125, v108
	s_waitcnt vmcnt(0) lgkmcnt(0)
	v_mul_f32_e32 v124, v124, v125
	s_cbranch_execz .LBB52_240
	s_branch .LBB52_241
.LBB52_239:
                                        ; implicit-def: $vgpr124
.LBB52_240:
	ds_read_b32 v124, v108
.LBB52_241:
	s_and_saveexec_b64 s[12:13], s[4:5]
	s_cbranch_execz .LBB52_245
; %bb.242:
	v_subrev_u32_e32 v125, 28, v0
	s_movk_i32 s14, 0x150
	s_mov_b64 s[4:5], 0
.LBB52_243:                             ; =>This Inner Loop Header: Depth=1
	buffer_load_dword v126, v123, s[0:3], 0 offen
	v_mov_b32_e32 v127, s14
	ds_read_b32 v127, v127
	v_add_u32_e32 v125, -1, v125
	s_add_i32 s14, s14, 4
	v_cmp_eq_u32_e32 vcc, 0, v125
	v_add_u32_e32 v123, 4, v123
	s_or_b64 s[4:5], vcc, s[4:5]
	s_waitcnt vmcnt(0) lgkmcnt(0)
	v_fmac_f32_e32 v124, v126, v127
	s_andn2_b64 exec, exec, s[4:5]
	s_cbranch_execnz .LBB52_243
; %bb.244:
	s_or_b64 exec, exec, s[4:5]
.LBB52_245:
	s_or_b64 exec, exec, s[12:13]
	v_mov_b32_e32 v123, 0
	ds_read_b32 v123, v123 offset:108
	s_waitcnt lgkmcnt(0)
	v_mul_f32_e32 v123, v124, v123
	buffer_store_dword v123, off, s[0:3], 0 offset:108
.LBB52_246:
	s_or_b64 exec, exec, s[8:9]
	buffer_load_dword v123, off, s[0:3], 0 offset:104
	v_cmp_lt_u32_e64 s[4:5], 26, v0
	s_waitcnt vmcnt(0)
	ds_write_b32 v108, v123
	s_waitcnt lgkmcnt(0)
	; wave barrier
	s_waitcnt lgkmcnt(0)
	s_and_saveexec_b64 s[8:9], s[4:5]
	s_cbranch_execz .LBB52_256
; %bb.247:
	s_andn2_b64 vcc, exec, s[10:11]
	s_cbranch_vccnz .LBB52_249
; %bb.248:
	buffer_load_dword v123, v109, s[0:3], 0 offen
	ds_read_b32 v124, v108
	s_waitcnt vmcnt(0) lgkmcnt(0)
	v_mul_f32_e32 v123, v123, v124
	s_cbranch_execz .LBB52_250
	s_branch .LBB52_251
.LBB52_249:
                                        ; implicit-def: $vgpr123
.LBB52_250:
	ds_read_b32 v123, v108
.LBB52_251:
	s_and_saveexec_b64 s[12:13], s[6:7]
	s_cbranch_execz .LBB52_255
; %bb.252:
	v_mov_b32_e32 v124, 0
	v_add_u32_e32 v124, 0x6c, v124
	v_subrev_u32_e32 v125, 27, v0
	s_movk_i32 s14, 0x14c
	s_mov_b64 s[6:7], 0
.LBB52_253:                             ; =>This Inner Loop Header: Depth=1
	buffer_load_dword v126, v124, s[0:3], 0 offen
	v_mov_b32_e32 v127, s14
	ds_read_b32 v127, v127
	v_add_u32_e32 v125, -1, v125
	s_add_i32 s14, s14, 4
	v_cmp_eq_u32_e32 vcc, 0, v125
	v_add_u32_e32 v124, 4, v124
	s_or_b64 s[6:7], vcc, s[6:7]
	s_waitcnt vmcnt(0) lgkmcnt(0)
	v_fmac_f32_e32 v123, v126, v127
	s_andn2_b64 exec, exec, s[6:7]
	s_cbranch_execnz .LBB52_253
; %bb.254:
	s_or_b64 exec, exec, s[6:7]
.LBB52_255:
	s_or_b64 exec, exec, s[12:13]
	v_mov_b32_e32 v124, 0
	ds_read_b32 v124, v124 offset:104
	s_waitcnt lgkmcnt(0)
	v_mul_f32_e32 v123, v123, v124
	buffer_store_dword v123, off, s[0:3], 0 offset:104
.LBB52_256:
	s_or_b64 exec, exec, s[8:9]
	buffer_load_dword v123, off, s[0:3], 0 offset:100
	v_cmp_lt_u32_e64 s[6:7], 25, v0
	s_waitcnt vmcnt(0)
	ds_write_b32 v108, v123
	s_waitcnt lgkmcnt(0)
	; wave barrier
	s_waitcnt lgkmcnt(0)
	s_and_saveexec_b64 s[8:9], s[6:7]
	s_cbranch_execz .LBB52_266
; %bb.257:
	s_andn2_b64 vcc, exec, s[10:11]
	s_cbranch_vccnz .LBB52_259
; %bb.258:
	buffer_load_dword v123, v109, s[0:3], 0 offen
	ds_read_b32 v124, v108
	s_waitcnt vmcnt(0) lgkmcnt(0)
	v_mul_f32_e32 v123, v123, v124
	s_cbranch_execz .LBB52_260
	s_branch .LBB52_261
.LBB52_259:
                                        ; implicit-def: $vgpr123
.LBB52_260:
	ds_read_b32 v123, v108
.LBB52_261:
	s_and_saveexec_b64 s[12:13], s[4:5]
	s_cbranch_execz .LBB52_265
; %bb.262:
	v_subrev_u32_e32 v124, 26, v0
	s_movk_i32 s14, 0x148
	s_mov_b64 s[4:5], 0
.LBB52_263:                             ; =>This Inner Loop Header: Depth=1
	buffer_load_dword v125, v122, s[0:3], 0 offen
	v_mov_b32_e32 v126, s14
	ds_read_b32 v126, v126
	v_add_u32_e32 v124, -1, v124
	s_add_i32 s14, s14, 4
	v_cmp_eq_u32_e32 vcc, 0, v124
	v_add_u32_e32 v122, 4, v122
	s_or_b64 s[4:5], vcc, s[4:5]
	s_waitcnt vmcnt(0) lgkmcnt(0)
	v_fmac_f32_e32 v123, v125, v126
	s_andn2_b64 exec, exec, s[4:5]
	s_cbranch_execnz .LBB52_263
; %bb.264:
	s_or_b64 exec, exec, s[4:5]
.LBB52_265:
	s_or_b64 exec, exec, s[12:13]
	v_mov_b32_e32 v122, 0
	ds_read_b32 v122, v122 offset:100
	s_waitcnt lgkmcnt(0)
	v_mul_f32_e32 v122, v123, v122
	buffer_store_dword v122, off, s[0:3], 0 offset:100
.LBB52_266:
	s_or_b64 exec, exec, s[8:9]
	buffer_load_dword v122, off, s[0:3], 0 offset:96
	v_cmp_lt_u32_e64 s[4:5], 24, v0
	s_waitcnt vmcnt(0)
	ds_write_b32 v108, v122
	s_waitcnt lgkmcnt(0)
	; wave barrier
	s_waitcnt lgkmcnt(0)
	s_and_saveexec_b64 s[8:9], s[4:5]
	s_cbranch_execz .LBB52_276
; %bb.267:
	s_andn2_b64 vcc, exec, s[10:11]
	s_cbranch_vccnz .LBB52_269
; %bb.268:
	buffer_load_dword v122, v109, s[0:3], 0 offen
	ds_read_b32 v123, v108
	s_waitcnt vmcnt(0) lgkmcnt(0)
	v_mul_f32_e32 v122, v122, v123
	s_cbranch_execz .LBB52_270
	s_branch .LBB52_271
.LBB52_269:
                                        ; implicit-def: $vgpr122
.LBB52_270:
	ds_read_b32 v122, v108
.LBB52_271:
	s_and_saveexec_b64 s[12:13], s[6:7]
	s_cbranch_execz .LBB52_275
; %bb.272:
	v_mov_b32_e32 v123, 0
	v_add_u32_e32 v123, 0x64, v123
	v_subrev_u32_e32 v124, 25, v0
	s_movk_i32 s14, 0x144
	s_mov_b64 s[6:7], 0
.LBB52_273:                             ; =>This Inner Loop Header: Depth=1
	buffer_load_dword v125, v123, s[0:3], 0 offen
	v_mov_b32_e32 v126, s14
	ds_read_b32 v126, v126
	v_add_u32_e32 v124, -1, v124
	s_add_i32 s14, s14, 4
	v_cmp_eq_u32_e32 vcc, 0, v124
	v_add_u32_e32 v123, 4, v123
	s_or_b64 s[6:7], vcc, s[6:7]
	s_waitcnt vmcnt(0) lgkmcnt(0)
	v_fmac_f32_e32 v122, v125, v126
	s_andn2_b64 exec, exec, s[6:7]
	s_cbranch_execnz .LBB52_273
; %bb.274:
	s_or_b64 exec, exec, s[6:7]
.LBB52_275:
	s_or_b64 exec, exec, s[12:13]
	v_mov_b32_e32 v123, 0
	ds_read_b32 v123, v123 offset:96
	s_waitcnt lgkmcnt(0)
	v_mul_f32_e32 v122, v122, v123
	buffer_store_dword v122, off, s[0:3], 0 offset:96
.LBB52_276:
	s_or_b64 exec, exec, s[8:9]
	buffer_load_dword v122, off, s[0:3], 0 offset:92
	v_cmp_lt_u32_e64 s[6:7], 23, v0
	s_waitcnt vmcnt(0)
	ds_write_b32 v108, v122
	s_waitcnt lgkmcnt(0)
	; wave barrier
	s_waitcnt lgkmcnt(0)
	s_and_saveexec_b64 s[8:9], s[6:7]
	s_cbranch_execz .LBB52_286
; %bb.277:
	s_andn2_b64 vcc, exec, s[10:11]
	s_cbranch_vccnz .LBB52_279
; %bb.278:
	buffer_load_dword v122, v109, s[0:3], 0 offen
	ds_read_b32 v123, v108
	s_waitcnt vmcnt(0) lgkmcnt(0)
	v_mul_f32_e32 v122, v122, v123
	s_cbranch_execz .LBB52_280
	s_branch .LBB52_281
.LBB52_279:
                                        ; implicit-def: $vgpr122
.LBB52_280:
	ds_read_b32 v122, v108
.LBB52_281:
	s_and_saveexec_b64 s[12:13], s[4:5]
	s_cbranch_execz .LBB52_285
; %bb.282:
	v_subrev_u32_e32 v123, 24, v0
	s_movk_i32 s14, 0x140
	s_mov_b64 s[4:5], 0
.LBB52_283:                             ; =>This Inner Loop Header: Depth=1
	buffer_load_dword v124, v121, s[0:3], 0 offen
	v_mov_b32_e32 v125, s14
	ds_read_b32 v125, v125
	v_add_u32_e32 v123, -1, v123
	s_add_i32 s14, s14, 4
	v_cmp_eq_u32_e32 vcc, 0, v123
	v_add_u32_e32 v121, 4, v121
	s_or_b64 s[4:5], vcc, s[4:5]
	s_waitcnt vmcnt(0) lgkmcnt(0)
	v_fmac_f32_e32 v122, v124, v125
	s_andn2_b64 exec, exec, s[4:5]
	s_cbranch_execnz .LBB52_283
; %bb.284:
	s_or_b64 exec, exec, s[4:5]
.LBB52_285:
	s_or_b64 exec, exec, s[12:13]
	v_mov_b32_e32 v121, 0
	ds_read_b32 v121, v121 offset:92
	s_waitcnt lgkmcnt(0)
	v_mul_f32_e32 v121, v122, v121
	buffer_store_dword v121, off, s[0:3], 0 offset:92
.LBB52_286:
	s_or_b64 exec, exec, s[8:9]
	buffer_load_dword v121, off, s[0:3], 0 offset:88
	v_cmp_lt_u32_e64 s[4:5], 22, v0
	s_waitcnt vmcnt(0)
	ds_write_b32 v108, v121
	s_waitcnt lgkmcnt(0)
	; wave barrier
	s_waitcnt lgkmcnt(0)
	s_and_saveexec_b64 s[8:9], s[4:5]
	s_cbranch_execz .LBB52_296
; %bb.287:
	s_andn2_b64 vcc, exec, s[10:11]
	s_cbranch_vccnz .LBB52_289
; %bb.288:
	buffer_load_dword v121, v109, s[0:3], 0 offen
	ds_read_b32 v122, v108
	s_waitcnt vmcnt(0) lgkmcnt(0)
	v_mul_f32_e32 v121, v121, v122
	s_cbranch_execz .LBB52_290
	s_branch .LBB52_291
.LBB52_289:
                                        ; implicit-def: $vgpr121
.LBB52_290:
	ds_read_b32 v121, v108
.LBB52_291:
	s_and_saveexec_b64 s[12:13], s[6:7]
	s_cbranch_execz .LBB52_295
; %bb.292:
	v_mov_b32_e32 v122, 0
	v_add_u32_e32 v122, 0x5c, v122
	v_subrev_u32_e32 v123, 23, v0
	s_movk_i32 s14, 0x13c
	s_mov_b64 s[6:7], 0
.LBB52_293:                             ; =>This Inner Loop Header: Depth=1
	buffer_load_dword v124, v122, s[0:3], 0 offen
	v_mov_b32_e32 v125, s14
	ds_read_b32 v125, v125
	v_add_u32_e32 v123, -1, v123
	s_add_i32 s14, s14, 4
	v_cmp_eq_u32_e32 vcc, 0, v123
	v_add_u32_e32 v122, 4, v122
	s_or_b64 s[6:7], vcc, s[6:7]
	s_waitcnt vmcnt(0) lgkmcnt(0)
	v_fmac_f32_e32 v121, v124, v125
	s_andn2_b64 exec, exec, s[6:7]
	s_cbranch_execnz .LBB52_293
; %bb.294:
	s_or_b64 exec, exec, s[6:7]
.LBB52_295:
	s_or_b64 exec, exec, s[12:13]
	v_mov_b32_e32 v122, 0
	ds_read_b32 v122, v122 offset:88
	s_waitcnt lgkmcnt(0)
	v_mul_f32_e32 v121, v121, v122
	buffer_store_dword v121, off, s[0:3], 0 offset:88
.LBB52_296:
	s_or_b64 exec, exec, s[8:9]
	buffer_load_dword v121, off, s[0:3], 0 offset:84
	v_cmp_lt_u32_e64 s[6:7], 21, v0
	s_waitcnt vmcnt(0)
	ds_write_b32 v108, v121
	s_waitcnt lgkmcnt(0)
	; wave barrier
	s_waitcnt lgkmcnt(0)
	s_and_saveexec_b64 s[8:9], s[6:7]
	s_cbranch_execz .LBB52_306
; %bb.297:
	s_andn2_b64 vcc, exec, s[10:11]
	s_cbranch_vccnz .LBB52_299
; %bb.298:
	buffer_load_dword v121, v109, s[0:3], 0 offen
	ds_read_b32 v122, v108
	s_waitcnt vmcnt(0) lgkmcnt(0)
	v_mul_f32_e32 v121, v121, v122
	s_cbranch_execz .LBB52_300
	s_branch .LBB52_301
.LBB52_299:
                                        ; implicit-def: $vgpr121
.LBB52_300:
	ds_read_b32 v121, v108
.LBB52_301:
	s_and_saveexec_b64 s[12:13], s[4:5]
	s_cbranch_execz .LBB52_305
; %bb.302:
	v_subrev_u32_e32 v122, 22, v0
	s_movk_i32 s14, 0x138
	s_mov_b64 s[4:5], 0
.LBB52_303:                             ; =>This Inner Loop Header: Depth=1
	buffer_load_dword v123, v120, s[0:3], 0 offen
	v_mov_b32_e32 v124, s14
	ds_read_b32 v124, v124
	v_add_u32_e32 v122, -1, v122
	s_add_i32 s14, s14, 4
	v_cmp_eq_u32_e32 vcc, 0, v122
	v_add_u32_e32 v120, 4, v120
	s_or_b64 s[4:5], vcc, s[4:5]
	s_waitcnt vmcnt(0) lgkmcnt(0)
	v_fmac_f32_e32 v121, v123, v124
	s_andn2_b64 exec, exec, s[4:5]
	s_cbranch_execnz .LBB52_303
; %bb.304:
	s_or_b64 exec, exec, s[4:5]
.LBB52_305:
	s_or_b64 exec, exec, s[12:13]
	v_mov_b32_e32 v120, 0
	ds_read_b32 v120, v120 offset:84
	s_waitcnt lgkmcnt(0)
	v_mul_f32_e32 v120, v121, v120
	buffer_store_dword v120, off, s[0:3], 0 offset:84
.LBB52_306:
	s_or_b64 exec, exec, s[8:9]
	buffer_load_dword v120, off, s[0:3], 0 offset:80
	v_cmp_lt_u32_e64 s[4:5], 20, v0
	s_waitcnt vmcnt(0)
	ds_write_b32 v108, v120
	s_waitcnt lgkmcnt(0)
	; wave barrier
	s_waitcnt lgkmcnt(0)
	s_and_saveexec_b64 s[8:9], s[4:5]
	s_cbranch_execz .LBB52_316
; %bb.307:
	s_andn2_b64 vcc, exec, s[10:11]
	s_cbranch_vccnz .LBB52_309
; %bb.308:
	buffer_load_dword v120, v109, s[0:3], 0 offen
	ds_read_b32 v121, v108
	s_waitcnt vmcnt(0) lgkmcnt(0)
	v_mul_f32_e32 v120, v120, v121
	s_cbranch_execz .LBB52_310
	s_branch .LBB52_311
.LBB52_309:
                                        ; implicit-def: $vgpr120
.LBB52_310:
	ds_read_b32 v120, v108
.LBB52_311:
	s_and_saveexec_b64 s[12:13], s[6:7]
	s_cbranch_execz .LBB52_315
; %bb.312:
	v_mov_b32_e32 v121, 0
	v_add_u32_e32 v121, 0x54, v121
	v_subrev_u32_e32 v122, 21, v0
	s_movk_i32 s14, 0x134
	s_mov_b64 s[6:7], 0
.LBB52_313:                             ; =>This Inner Loop Header: Depth=1
	buffer_load_dword v123, v121, s[0:3], 0 offen
	v_mov_b32_e32 v124, s14
	ds_read_b32 v124, v124
	v_add_u32_e32 v122, -1, v122
	s_add_i32 s14, s14, 4
	v_cmp_eq_u32_e32 vcc, 0, v122
	v_add_u32_e32 v121, 4, v121
	s_or_b64 s[6:7], vcc, s[6:7]
	s_waitcnt vmcnt(0) lgkmcnt(0)
	v_fmac_f32_e32 v120, v123, v124
	s_andn2_b64 exec, exec, s[6:7]
	s_cbranch_execnz .LBB52_313
; %bb.314:
	s_or_b64 exec, exec, s[6:7]
.LBB52_315:
	s_or_b64 exec, exec, s[12:13]
	v_mov_b32_e32 v121, 0
	ds_read_b32 v121, v121 offset:80
	s_waitcnt lgkmcnt(0)
	v_mul_f32_e32 v120, v120, v121
	buffer_store_dword v120, off, s[0:3], 0 offset:80
.LBB52_316:
	s_or_b64 exec, exec, s[8:9]
	buffer_load_dword v120, off, s[0:3], 0 offset:76
	v_cmp_lt_u32_e64 s[6:7], 19, v0
	s_waitcnt vmcnt(0)
	ds_write_b32 v108, v120
	s_waitcnt lgkmcnt(0)
	; wave barrier
	s_waitcnt lgkmcnt(0)
	s_and_saveexec_b64 s[8:9], s[6:7]
	s_cbranch_execz .LBB52_326
; %bb.317:
	s_andn2_b64 vcc, exec, s[10:11]
	s_cbranch_vccnz .LBB52_319
; %bb.318:
	buffer_load_dword v120, v109, s[0:3], 0 offen
	ds_read_b32 v121, v108
	s_waitcnt vmcnt(0) lgkmcnt(0)
	v_mul_f32_e32 v120, v120, v121
	s_cbranch_execz .LBB52_320
	s_branch .LBB52_321
.LBB52_319:
                                        ; implicit-def: $vgpr120
.LBB52_320:
	ds_read_b32 v120, v108
.LBB52_321:
	s_and_saveexec_b64 s[12:13], s[4:5]
	s_cbranch_execz .LBB52_325
; %bb.322:
	v_subrev_u32_e32 v121, 20, v0
	s_movk_i32 s14, 0x130
	s_mov_b64 s[4:5], 0
.LBB52_323:                             ; =>This Inner Loop Header: Depth=1
	buffer_load_dword v122, v119, s[0:3], 0 offen
	v_mov_b32_e32 v123, s14
	ds_read_b32 v123, v123
	v_add_u32_e32 v121, -1, v121
	s_add_i32 s14, s14, 4
	v_cmp_eq_u32_e32 vcc, 0, v121
	v_add_u32_e32 v119, 4, v119
	s_or_b64 s[4:5], vcc, s[4:5]
	s_waitcnt vmcnt(0) lgkmcnt(0)
	v_fmac_f32_e32 v120, v122, v123
	s_andn2_b64 exec, exec, s[4:5]
	s_cbranch_execnz .LBB52_323
; %bb.324:
	s_or_b64 exec, exec, s[4:5]
.LBB52_325:
	s_or_b64 exec, exec, s[12:13]
	v_mov_b32_e32 v119, 0
	ds_read_b32 v119, v119 offset:76
	s_waitcnt lgkmcnt(0)
	v_mul_f32_e32 v119, v120, v119
	buffer_store_dword v119, off, s[0:3], 0 offset:76
.LBB52_326:
	s_or_b64 exec, exec, s[8:9]
	buffer_load_dword v119, off, s[0:3], 0 offset:72
	v_cmp_lt_u32_e64 s[4:5], 18, v0
	s_waitcnt vmcnt(0)
	ds_write_b32 v108, v119
	s_waitcnt lgkmcnt(0)
	; wave barrier
	s_waitcnt lgkmcnt(0)
	s_and_saveexec_b64 s[8:9], s[4:5]
	s_cbranch_execz .LBB52_336
; %bb.327:
	s_andn2_b64 vcc, exec, s[10:11]
	s_cbranch_vccnz .LBB52_329
; %bb.328:
	buffer_load_dword v119, v109, s[0:3], 0 offen
	ds_read_b32 v120, v108
	s_waitcnt vmcnt(0) lgkmcnt(0)
	v_mul_f32_e32 v119, v119, v120
	s_cbranch_execz .LBB52_330
	s_branch .LBB52_331
.LBB52_329:
                                        ; implicit-def: $vgpr119
.LBB52_330:
	ds_read_b32 v119, v108
.LBB52_331:
	s_and_saveexec_b64 s[12:13], s[6:7]
	s_cbranch_execz .LBB52_335
; %bb.332:
	v_mov_b32_e32 v120, 0
	v_add_u32_e32 v120, 0x4c, v120
	v_subrev_u32_e32 v121, 19, v0
	s_movk_i32 s14, 0x12c
	s_mov_b64 s[6:7], 0
.LBB52_333:                             ; =>This Inner Loop Header: Depth=1
	buffer_load_dword v122, v120, s[0:3], 0 offen
	v_mov_b32_e32 v123, s14
	ds_read_b32 v123, v123
	v_add_u32_e32 v121, -1, v121
	s_add_i32 s14, s14, 4
	v_cmp_eq_u32_e32 vcc, 0, v121
	v_add_u32_e32 v120, 4, v120
	s_or_b64 s[6:7], vcc, s[6:7]
	s_waitcnt vmcnt(0) lgkmcnt(0)
	v_fmac_f32_e32 v119, v122, v123
	s_andn2_b64 exec, exec, s[6:7]
	s_cbranch_execnz .LBB52_333
; %bb.334:
	s_or_b64 exec, exec, s[6:7]
.LBB52_335:
	s_or_b64 exec, exec, s[12:13]
	v_mov_b32_e32 v120, 0
	ds_read_b32 v120, v120 offset:72
	s_waitcnt lgkmcnt(0)
	v_mul_f32_e32 v119, v119, v120
	buffer_store_dword v119, off, s[0:3], 0 offset:72
.LBB52_336:
	s_or_b64 exec, exec, s[8:9]
	buffer_load_dword v119, off, s[0:3], 0 offset:68
	v_cmp_lt_u32_e64 s[6:7], 17, v0
	s_waitcnt vmcnt(0)
	ds_write_b32 v108, v119
	s_waitcnt lgkmcnt(0)
	; wave barrier
	s_waitcnt lgkmcnt(0)
	s_and_saveexec_b64 s[8:9], s[6:7]
	s_cbranch_execz .LBB52_346
; %bb.337:
	s_andn2_b64 vcc, exec, s[10:11]
	s_cbranch_vccnz .LBB52_339
; %bb.338:
	buffer_load_dword v119, v109, s[0:3], 0 offen
	ds_read_b32 v120, v108
	s_waitcnt vmcnt(0) lgkmcnt(0)
	v_mul_f32_e32 v119, v119, v120
	s_cbranch_execz .LBB52_340
	s_branch .LBB52_341
.LBB52_339:
                                        ; implicit-def: $vgpr119
.LBB52_340:
	ds_read_b32 v119, v108
.LBB52_341:
	s_and_saveexec_b64 s[12:13], s[4:5]
	s_cbranch_execz .LBB52_345
; %bb.342:
	v_subrev_u32_e32 v120, 18, v0
	s_movk_i32 s14, 0x128
	s_mov_b64 s[4:5], 0
.LBB52_343:                             ; =>This Inner Loop Header: Depth=1
	buffer_load_dword v121, v118, s[0:3], 0 offen
	v_mov_b32_e32 v122, s14
	ds_read_b32 v122, v122
	v_add_u32_e32 v120, -1, v120
	s_add_i32 s14, s14, 4
	v_cmp_eq_u32_e32 vcc, 0, v120
	v_add_u32_e32 v118, 4, v118
	s_or_b64 s[4:5], vcc, s[4:5]
	s_waitcnt vmcnt(0) lgkmcnt(0)
	v_fmac_f32_e32 v119, v121, v122
	s_andn2_b64 exec, exec, s[4:5]
	s_cbranch_execnz .LBB52_343
; %bb.344:
	s_or_b64 exec, exec, s[4:5]
.LBB52_345:
	s_or_b64 exec, exec, s[12:13]
	v_mov_b32_e32 v118, 0
	ds_read_b32 v118, v118 offset:68
	s_waitcnt lgkmcnt(0)
	v_mul_f32_e32 v118, v119, v118
	buffer_store_dword v118, off, s[0:3], 0 offset:68
.LBB52_346:
	s_or_b64 exec, exec, s[8:9]
	buffer_load_dword v118, off, s[0:3], 0 offset:64
	v_cmp_lt_u32_e64 s[4:5], 16, v0
	s_waitcnt vmcnt(0)
	ds_write_b32 v108, v118
	s_waitcnt lgkmcnt(0)
	; wave barrier
	s_waitcnt lgkmcnt(0)
	s_and_saveexec_b64 s[8:9], s[4:5]
	s_cbranch_execz .LBB52_356
; %bb.347:
	s_andn2_b64 vcc, exec, s[10:11]
	s_cbranch_vccnz .LBB52_349
; %bb.348:
	buffer_load_dword v118, v109, s[0:3], 0 offen
	ds_read_b32 v119, v108
	s_waitcnt vmcnt(0) lgkmcnt(0)
	v_mul_f32_e32 v118, v118, v119
	s_cbranch_execz .LBB52_350
	s_branch .LBB52_351
.LBB52_349:
                                        ; implicit-def: $vgpr118
.LBB52_350:
	ds_read_b32 v118, v108
.LBB52_351:
	s_and_saveexec_b64 s[12:13], s[6:7]
	s_cbranch_execz .LBB52_355
; %bb.352:
	v_mov_b32_e32 v119, 0
	v_add_u32_e32 v119, 0x44, v119
	v_subrev_u32_e32 v120, 17, v0
	s_movk_i32 s14, 0x124
	s_mov_b64 s[6:7], 0
.LBB52_353:                             ; =>This Inner Loop Header: Depth=1
	buffer_load_dword v121, v119, s[0:3], 0 offen
	v_mov_b32_e32 v122, s14
	ds_read_b32 v122, v122
	v_add_u32_e32 v120, -1, v120
	s_add_i32 s14, s14, 4
	v_cmp_eq_u32_e32 vcc, 0, v120
	v_add_u32_e32 v119, 4, v119
	s_or_b64 s[6:7], vcc, s[6:7]
	s_waitcnt vmcnt(0) lgkmcnt(0)
	v_fmac_f32_e32 v118, v121, v122
	s_andn2_b64 exec, exec, s[6:7]
	s_cbranch_execnz .LBB52_353
; %bb.354:
	s_or_b64 exec, exec, s[6:7]
.LBB52_355:
	s_or_b64 exec, exec, s[12:13]
	v_mov_b32_e32 v119, 0
	ds_read_b32 v119, v119 offset:64
	s_waitcnt lgkmcnt(0)
	v_mul_f32_e32 v118, v118, v119
	buffer_store_dword v118, off, s[0:3], 0 offset:64
.LBB52_356:
	s_or_b64 exec, exec, s[8:9]
	buffer_load_dword v118, off, s[0:3], 0 offset:60
	v_cmp_lt_u32_e64 s[6:7], 15, v0
	s_waitcnt vmcnt(0)
	ds_write_b32 v108, v118
	s_waitcnt lgkmcnt(0)
	; wave barrier
	s_waitcnt lgkmcnt(0)
	s_and_saveexec_b64 s[8:9], s[6:7]
	s_cbranch_execz .LBB52_366
; %bb.357:
	s_andn2_b64 vcc, exec, s[10:11]
	s_cbranch_vccnz .LBB52_359
; %bb.358:
	buffer_load_dword v118, v109, s[0:3], 0 offen
	ds_read_b32 v119, v108
	s_waitcnt vmcnt(0) lgkmcnt(0)
	v_mul_f32_e32 v118, v118, v119
	s_cbranch_execz .LBB52_360
	s_branch .LBB52_361
.LBB52_359:
                                        ; implicit-def: $vgpr118
.LBB52_360:
	ds_read_b32 v118, v108
.LBB52_361:
	s_and_saveexec_b64 s[12:13], s[4:5]
	s_cbranch_execz .LBB52_365
; %bb.362:
	v_add_u32_e32 v119, -16, v0
	s_movk_i32 s14, 0x120
	s_mov_b64 s[4:5], 0
.LBB52_363:                             ; =>This Inner Loop Header: Depth=1
	buffer_load_dword v120, v117, s[0:3], 0 offen
	v_mov_b32_e32 v121, s14
	ds_read_b32 v121, v121
	v_add_u32_e32 v119, -1, v119
	s_add_i32 s14, s14, 4
	v_cmp_eq_u32_e32 vcc, 0, v119
	v_add_u32_e32 v117, 4, v117
	s_or_b64 s[4:5], vcc, s[4:5]
	s_waitcnt vmcnt(0) lgkmcnt(0)
	v_fmac_f32_e32 v118, v120, v121
	s_andn2_b64 exec, exec, s[4:5]
	s_cbranch_execnz .LBB52_363
; %bb.364:
	s_or_b64 exec, exec, s[4:5]
.LBB52_365:
	s_or_b64 exec, exec, s[12:13]
	v_mov_b32_e32 v117, 0
	ds_read_b32 v117, v117 offset:60
	s_waitcnt lgkmcnt(0)
	v_mul_f32_e32 v117, v118, v117
	buffer_store_dword v117, off, s[0:3], 0 offset:60
.LBB52_366:
	s_or_b64 exec, exec, s[8:9]
	buffer_load_dword v117, off, s[0:3], 0 offset:56
	v_cmp_lt_u32_e64 s[4:5], 14, v0
	s_waitcnt vmcnt(0)
	ds_write_b32 v108, v117
	s_waitcnt lgkmcnt(0)
	; wave barrier
	s_waitcnt lgkmcnt(0)
	s_and_saveexec_b64 s[8:9], s[4:5]
	s_cbranch_execz .LBB52_376
; %bb.367:
	s_andn2_b64 vcc, exec, s[10:11]
	s_cbranch_vccnz .LBB52_369
; %bb.368:
	buffer_load_dword v117, v109, s[0:3], 0 offen
	ds_read_b32 v118, v108
	s_waitcnt vmcnt(0) lgkmcnt(0)
	v_mul_f32_e32 v117, v117, v118
	s_cbranch_execz .LBB52_370
	s_branch .LBB52_371
.LBB52_369:
                                        ; implicit-def: $vgpr117
.LBB52_370:
	ds_read_b32 v117, v108
.LBB52_371:
	s_and_saveexec_b64 s[12:13], s[6:7]
	s_cbranch_execz .LBB52_375
; %bb.372:
	v_mov_b32_e32 v118, 0
	v_add_u32_e32 v118, 60, v118
	v_add_u32_e32 v119, -15, v0
	s_movk_i32 s14, 0x11c
	s_mov_b64 s[6:7], 0
.LBB52_373:                             ; =>This Inner Loop Header: Depth=1
	buffer_load_dword v120, v118, s[0:3], 0 offen
	v_mov_b32_e32 v121, s14
	ds_read_b32 v121, v121
	v_add_u32_e32 v119, -1, v119
	s_add_i32 s14, s14, 4
	v_cmp_eq_u32_e32 vcc, 0, v119
	v_add_u32_e32 v118, 4, v118
	s_or_b64 s[6:7], vcc, s[6:7]
	s_waitcnt vmcnt(0) lgkmcnt(0)
	v_fmac_f32_e32 v117, v120, v121
	s_andn2_b64 exec, exec, s[6:7]
	s_cbranch_execnz .LBB52_373
; %bb.374:
	s_or_b64 exec, exec, s[6:7]
.LBB52_375:
	s_or_b64 exec, exec, s[12:13]
	v_mov_b32_e32 v118, 0
	ds_read_b32 v118, v118 offset:56
	s_waitcnt lgkmcnt(0)
	v_mul_f32_e32 v117, v117, v118
	buffer_store_dword v117, off, s[0:3], 0 offset:56
.LBB52_376:
	s_or_b64 exec, exec, s[8:9]
	buffer_load_dword v117, off, s[0:3], 0 offset:52
	v_cmp_lt_u32_e64 s[6:7], 13, v0
	s_waitcnt vmcnt(0)
	ds_write_b32 v108, v117
	s_waitcnt lgkmcnt(0)
	; wave barrier
	s_waitcnt lgkmcnt(0)
	s_and_saveexec_b64 s[8:9], s[6:7]
	s_cbranch_execz .LBB52_386
; %bb.377:
	s_andn2_b64 vcc, exec, s[10:11]
	s_cbranch_vccnz .LBB52_379
; %bb.378:
	buffer_load_dword v117, v109, s[0:3], 0 offen
	ds_read_b32 v118, v108
	s_waitcnt vmcnt(0) lgkmcnt(0)
	v_mul_f32_e32 v117, v117, v118
	s_cbranch_execz .LBB52_380
	s_branch .LBB52_381
.LBB52_379:
                                        ; implicit-def: $vgpr117
.LBB52_380:
	ds_read_b32 v117, v108
.LBB52_381:
	s_and_saveexec_b64 s[12:13], s[4:5]
	s_cbranch_execz .LBB52_385
; %bb.382:
	v_add_u32_e32 v118, -14, v0
	s_movk_i32 s14, 0x118
	s_mov_b64 s[4:5], 0
.LBB52_383:                             ; =>This Inner Loop Header: Depth=1
	buffer_load_dword v119, v116, s[0:3], 0 offen
	v_mov_b32_e32 v120, s14
	ds_read_b32 v120, v120
	v_add_u32_e32 v118, -1, v118
	s_add_i32 s14, s14, 4
	v_cmp_eq_u32_e32 vcc, 0, v118
	v_add_u32_e32 v116, 4, v116
	s_or_b64 s[4:5], vcc, s[4:5]
	s_waitcnt vmcnt(0) lgkmcnt(0)
	v_fmac_f32_e32 v117, v119, v120
	s_andn2_b64 exec, exec, s[4:5]
	s_cbranch_execnz .LBB52_383
; %bb.384:
	s_or_b64 exec, exec, s[4:5]
.LBB52_385:
	s_or_b64 exec, exec, s[12:13]
	v_mov_b32_e32 v116, 0
	ds_read_b32 v116, v116 offset:52
	s_waitcnt lgkmcnt(0)
	v_mul_f32_e32 v116, v117, v116
	buffer_store_dword v116, off, s[0:3], 0 offset:52
.LBB52_386:
	s_or_b64 exec, exec, s[8:9]
	buffer_load_dword v116, off, s[0:3], 0 offset:48
	v_cmp_lt_u32_e64 s[4:5], 12, v0
	s_waitcnt vmcnt(0)
	ds_write_b32 v108, v116
	s_waitcnt lgkmcnt(0)
	; wave barrier
	s_waitcnt lgkmcnt(0)
	s_and_saveexec_b64 s[8:9], s[4:5]
	s_cbranch_execz .LBB52_396
; %bb.387:
	s_andn2_b64 vcc, exec, s[10:11]
	s_cbranch_vccnz .LBB52_389
; %bb.388:
	buffer_load_dword v116, v109, s[0:3], 0 offen
	ds_read_b32 v117, v108
	s_waitcnt vmcnt(0) lgkmcnt(0)
	v_mul_f32_e32 v116, v116, v117
	s_cbranch_execz .LBB52_390
	s_branch .LBB52_391
.LBB52_389:
                                        ; implicit-def: $vgpr116
.LBB52_390:
	ds_read_b32 v116, v108
.LBB52_391:
	s_and_saveexec_b64 s[12:13], s[6:7]
	s_cbranch_execz .LBB52_395
; %bb.392:
	v_mov_b32_e32 v117, 0
	v_add_u32_e32 v117, 52, v117
	v_add_u32_e32 v118, -13, v0
	s_movk_i32 s14, 0x114
	s_mov_b64 s[6:7], 0
.LBB52_393:                             ; =>This Inner Loop Header: Depth=1
	buffer_load_dword v119, v117, s[0:3], 0 offen
	v_mov_b32_e32 v120, s14
	ds_read_b32 v120, v120
	v_add_u32_e32 v118, -1, v118
	s_add_i32 s14, s14, 4
	v_cmp_eq_u32_e32 vcc, 0, v118
	v_add_u32_e32 v117, 4, v117
	s_or_b64 s[6:7], vcc, s[6:7]
	s_waitcnt vmcnt(0) lgkmcnt(0)
	v_fmac_f32_e32 v116, v119, v120
	s_andn2_b64 exec, exec, s[6:7]
	s_cbranch_execnz .LBB52_393
; %bb.394:
	s_or_b64 exec, exec, s[6:7]
.LBB52_395:
	s_or_b64 exec, exec, s[12:13]
	v_mov_b32_e32 v117, 0
	ds_read_b32 v117, v117 offset:48
	s_waitcnt lgkmcnt(0)
	v_mul_f32_e32 v116, v116, v117
	buffer_store_dword v116, off, s[0:3], 0 offset:48
.LBB52_396:
	s_or_b64 exec, exec, s[8:9]
	buffer_load_dword v116, off, s[0:3], 0 offset:44
	v_cmp_lt_u32_e64 s[6:7], 11, v0
	s_waitcnt vmcnt(0)
	ds_write_b32 v108, v116
	s_waitcnt lgkmcnt(0)
	; wave barrier
	s_waitcnt lgkmcnt(0)
	s_and_saveexec_b64 s[8:9], s[6:7]
	s_cbranch_execz .LBB52_406
; %bb.397:
	s_andn2_b64 vcc, exec, s[10:11]
	s_cbranch_vccnz .LBB52_399
; %bb.398:
	buffer_load_dword v116, v109, s[0:3], 0 offen
	ds_read_b32 v117, v108
	s_waitcnt vmcnt(0) lgkmcnt(0)
	v_mul_f32_e32 v116, v116, v117
	s_cbranch_execz .LBB52_400
	s_branch .LBB52_401
.LBB52_399:
                                        ; implicit-def: $vgpr116
.LBB52_400:
	ds_read_b32 v116, v108
.LBB52_401:
	s_and_saveexec_b64 s[12:13], s[4:5]
	s_cbranch_execz .LBB52_405
; %bb.402:
	v_add_u32_e32 v117, -12, v0
	s_movk_i32 s14, 0x110
	s_mov_b64 s[4:5], 0
.LBB52_403:                             ; =>This Inner Loop Header: Depth=1
	buffer_load_dword v118, v115, s[0:3], 0 offen
	v_mov_b32_e32 v119, s14
	ds_read_b32 v119, v119
	v_add_u32_e32 v117, -1, v117
	s_add_i32 s14, s14, 4
	v_cmp_eq_u32_e32 vcc, 0, v117
	v_add_u32_e32 v115, 4, v115
	s_or_b64 s[4:5], vcc, s[4:5]
	s_waitcnt vmcnt(0) lgkmcnt(0)
	v_fmac_f32_e32 v116, v118, v119
	s_andn2_b64 exec, exec, s[4:5]
	s_cbranch_execnz .LBB52_403
; %bb.404:
	s_or_b64 exec, exec, s[4:5]
.LBB52_405:
	s_or_b64 exec, exec, s[12:13]
	v_mov_b32_e32 v115, 0
	ds_read_b32 v115, v115 offset:44
	s_waitcnt lgkmcnt(0)
	v_mul_f32_e32 v115, v116, v115
	buffer_store_dword v115, off, s[0:3], 0 offset:44
.LBB52_406:
	s_or_b64 exec, exec, s[8:9]
	buffer_load_dword v115, off, s[0:3], 0 offset:40
	v_cmp_lt_u32_e64 s[4:5], 10, v0
	s_waitcnt vmcnt(0)
	ds_write_b32 v108, v115
	s_waitcnt lgkmcnt(0)
	; wave barrier
	s_waitcnt lgkmcnt(0)
	s_and_saveexec_b64 s[8:9], s[4:5]
	s_cbranch_execz .LBB52_416
; %bb.407:
	s_andn2_b64 vcc, exec, s[10:11]
	s_cbranch_vccnz .LBB52_409
; %bb.408:
	buffer_load_dword v115, v109, s[0:3], 0 offen
	ds_read_b32 v116, v108
	s_waitcnt vmcnt(0) lgkmcnt(0)
	v_mul_f32_e32 v115, v115, v116
	s_cbranch_execz .LBB52_410
	s_branch .LBB52_411
.LBB52_409:
                                        ; implicit-def: $vgpr115
.LBB52_410:
	ds_read_b32 v115, v108
.LBB52_411:
	s_and_saveexec_b64 s[12:13], s[6:7]
	s_cbranch_execz .LBB52_415
; %bb.412:
	v_mov_b32_e32 v116, 0
	v_add_u32_e32 v116, 44, v116
	v_add_u32_e32 v117, -11, v0
	s_movk_i32 s14, 0x10c
	s_mov_b64 s[6:7], 0
.LBB52_413:                             ; =>This Inner Loop Header: Depth=1
	buffer_load_dword v118, v116, s[0:3], 0 offen
	v_mov_b32_e32 v119, s14
	ds_read_b32 v119, v119
	v_add_u32_e32 v117, -1, v117
	s_add_i32 s14, s14, 4
	v_cmp_eq_u32_e32 vcc, 0, v117
	v_add_u32_e32 v116, 4, v116
	s_or_b64 s[6:7], vcc, s[6:7]
	s_waitcnt vmcnt(0) lgkmcnt(0)
	v_fmac_f32_e32 v115, v118, v119
	s_andn2_b64 exec, exec, s[6:7]
	s_cbranch_execnz .LBB52_413
; %bb.414:
	s_or_b64 exec, exec, s[6:7]
.LBB52_415:
	s_or_b64 exec, exec, s[12:13]
	v_mov_b32_e32 v116, 0
	ds_read_b32 v116, v116 offset:40
	s_waitcnt lgkmcnt(0)
	v_mul_f32_e32 v115, v115, v116
	buffer_store_dword v115, off, s[0:3], 0 offset:40
.LBB52_416:
	s_or_b64 exec, exec, s[8:9]
	buffer_load_dword v115, off, s[0:3], 0 offset:36
	v_cmp_lt_u32_e64 s[6:7], 9, v0
	s_waitcnt vmcnt(0)
	ds_write_b32 v108, v115
	s_waitcnt lgkmcnt(0)
	; wave barrier
	s_waitcnt lgkmcnt(0)
	s_and_saveexec_b64 s[8:9], s[6:7]
	s_cbranch_execz .LBB52_426
; %bb.417:
	s_andn2_b64 vcc, exec, s[10:11]
	s_cbranch_vccnz .LBB52_419
; %bb.418:
	buffer_load_dword v115, v109, s[0:3], 0 offen
	ds_read_b32 v116, v108
	s_waitcnt vmcnt(0) lgkmcnt(0)
	v_mul_f32_e32 v115, v115, v116
	s_cbranch_execz .LBB52_420
	s_branch .LBB52_421
.LBB52_419:
                                        ; implicit-def: $vgpr115
.LBB52_420:
	ds_read_b32 v115, v108
.LBB52_421:
	s_and_saveexec_b64 s[12:13], s[4:5]
	s_cbranch_execz .LBB52_425
; %bb.422:
	v_add_u32_e32 v116, -10, v0
	s_movk_i32 s14, 0x108
	s_mov_b64 s[4:5], 0
.LBB52_423:                             ; =>This Inner Loop Header: Depth=1
	buffer_load_dword v117, v114, s[0:3], 0 offen
	v_mov_b32_e32 v118, s14
	ds_read_b32 v118, v118
	v_add_u32_e32 v116, -1, v116
	s_add_i32 s14, s14, 4
	v_cmp_eq_u32_e32 vcc, 0, v116
	v_add_u32_e32 v114, 4, v114
	s_or_b64 s[4:5], vcc, s[4:5]
	s_waitcnt vmcnt(0) lgkmcnt(0)
	v_fmac_f32_e32 v115, v117, v118
	s_andn2_b64 exec, exec, s[4:5]
	s_cbranch_execnz .LBB52_423
; %bb.424:
	s_or_b64 exec, exec, s[4:5]
.LBB52_425:
	s_or_b64 exec, exec, s[12:13]
	v_mov_b32_e32 v114, 0
	ds_read_b32 v114, v114 offset:36
	s_waitcnt lgkmcnt(0)
	v_mul_f32_e32 v114, v115, v114
	buffer_store_dword v114, off, s[0:3], 0 offset:36
.LBB52_426:
	s_or_b64 exec, exec, s[8:9]
	buffer_load_dword v114, off, s[0:3], 0 offset:32
	v_cmp_lt_u32_e64 s[4:5], 8, v0
	s_waitcnt vmcnt(0)
	ds_write_b32 v108, v114
	s_waitcnt lgkmcnt(0)
	; wave barrier
	s_waitcnt lgkmcnt(0)
	s_and_saveexec_b64 s[8:9], s[4:5]
	s_cbranch_execz .LBB52_436
; %bb.427:
	s_andn2_b64 vcc, exec, s[10:11]
	s_cbranch_vccnz .LBB52_429
; %bb.428:
	buffer_load_dword v114, v109, s[0:3], 0 offen
	ds_read_b32 v115, v108
	s_waitcnt vmcnt(0) lgkmcnt(0)
	v_mul_f32_e32 v114, v114, v115
	s_cbranch_execz .LBB52_430
	s_branch .LBB52_431
.LBB52_429:
                                        ; implicit-def: $vgpr114
.LBB52_430:
	ds_read_b32 v114, v108
.LBB52_431:
	s_and_saveexec_b64 s[12:13], s[6:7]
	s_cbranch_execz .LBB52_435
; %bb.432:
	v_mov_b32_e32 v115, 0
	v_add_u32_e32 v115, 36, v115
	v_add_u32_e32 v116, -9, v0
	s_movk_i32 s14, 0x104
	s_mov_b64 s[6:7], 0
.LBB52_433:                             ; =>This Inner Loop Header: Depth=1
	buffer_load_dword v117, v115, s[0:3], 0 offen
	v_mov_b32_e32 v118, s14
	ds_read_b32 v118, v118
	v_add_u32_e32 v116, -1, v116
	s_add_i32 s14, s14, 4
	v_cmp_eq_u32_e32 vcc, 0, v116
	v_add_u32_e32 v115, 4, v115
	s_or_b64 s[6:7], vcc, s[6:7]
	s_waitcnt vmcnt(0) lgkmcnt(0)
	v_fmac_f32_e32 v114, v117, v118
	s_andn2_b64 exec, exec, s[6:7]
	s_cbranch_execnz .LBB52_433
; %bb.434:
	s_or_b64 exec, exec, s[6:7]
.LBB52_435:
	s_or_b64 exec, exec, s[12:13]
	v_mov_b32_e32 v115, 0
	ds_read_b32 v115, v115 offset:32
	s_waitcnt lgkmcnt(0)
	v_mul_f32_e32 v114, v114, v115
	buffer_store_dword v114, off, s[0:3], 0 offset:32
.LBB52_436:
	s_or_b64 exec, exec, s[8:9]
	buffer_load_dword v114, off, s[0:3], 0 offset:28
	v_cmp_lt_u32_e64 s[6:7], 7, v0
	s_waitcnt vmcnt(0)
	ds_write_b32 v108, v114
	s_waitcnt lgkmcnt(0)
	; wave barrier
	s_waitcnt lgkmcnt(0)
	s_and_saveexec_b64 s[8:9], s[6:7]
	s_cbranch_execz .LBB52_446
; %bb.437:
	s_andn2_b64 vcc, exec, s[10:11]
	s_cbranch_vccnz .LBB52_439
; %bb.438:
	buffer_load_dword v114, v109, s[0:3], 0 offen
	ds_read_b32 v115, v108
	s_waitcnt vmcnt(0) lgkmcnt(0)
	v_mul_f32_e32 v114, v114, v115
	s_cbranch_execz .LBB52_440
	s_branch .LBB52_441
.LBB52_439:
                                        ; implicit-def: $vgpr114
.LBB52_440:
	ds_read_b32 v114, v108
.LBB52_441:
	s_and_saveexec_b64 s[12:13], s[4:5]
	s_cbranch_execz .LBB52_445
; %bb.442:
	v_add_u32_e32 v115, -8, v0
	s_movk_i32 s14, 0x100
	s_mov_b64 s[4:5], 0
.LBB52_443:                             ; =>This Inner Loop Header: Depth=1
	buffer_load_dword v116, v113, s[0:3], 0 offen
	v_mov_b32_e32 v117, s14
	ds_read_b32 v117, v117
	v_add_u32_e32 v115, -1, v115
	s_add_i32 s14, s14, 4
	v_cmp_eq_u32_e32 vcc, 0, v115
	v_add_u32_e32 v113, 4, v113
	s_or_b64 s[4:5], vcc, s[4:5]
	s_waitcnt vmcnt(0) lgkmcnt(0)
	v_fmac_f32_e32 v114, v116, v117
	s_andn2_b64 exec, exec, s[4:5]
	s_cbranch_execnz .LBB52_443
; %bb.444:
	s_or_b64 exec, exec, s[4:5]
.LBB52_445:
	s_or_b64 exec, exec, s[12:13]
	v_mov_b32_e32 v113, 0
	ds_read_b32 v113, v113 offset:28
	s_waitcnt lgkmcnt(0)
	v_mul_f32_e32 v113, v114, v113
	buffer_store_dword v113, off, s[0:3], 0 offset:28
.LBB52_446:
	s_or_b64 exec, exec, s[8:9]
	buffer_load_dword v113, off, s[0:3], 0 offset:24
	v_cmp_lt_u32_e64 s[4:5], 6, v0
	s_waitcnt vmcnt(0)
	ds_write_b32 v108, v113
	s_waitcnt lgkmcnt(0)
	; wave barrier
	s_waitcnt lgkmcnt(0)
	s_and_saveexec_b64 s[8:9], s[4:5]
	s_cbranch_execz .LBB52_456
; %bb.447:
	s_andn2_b64 vcc, exec, s[10:11]
	s_cbranch_vccnz .LBB52_449
; %bb.448:
	buffer_load_dword v113, v109, s[0:3], 0 offen
	ds_read_b32 v114, v108
	s_waitcnt vmcnt(0) lgkmcnt(0)
	v_mul_f32_e32 v113, v113, v114
	s_cbranch_execz .LBB52_450
	s_branch .LBB52_451
.LBB52_449:
                                        ; implicit-def: $vgpr113
.LBB52_450:
	ds_read_b32 v113, v108
.LBB52_451:
	s_and_saveexec_b64 s[12:13], s[6:7]
	s_cbranch_execz .LBB52_455
; %bb.452:
	v_mov_b32_e32 v114, 0
	v_add_u32_e32 v114, 28, v114
	v_add_u32_e32 v115, -7, v0
	s_movk_i32 s14, 0xfc
	s_mov_b64 s[6:7], 0
.LBB52_453:                             ; =>This Inner Loop Header: Depth=1
	buffer_load_dword v116, v114, s[0:3], 0 offen
	v_mov_b32_e32 v117, s14
	ds_read_b32 v117, v117
	v_add_u32_e32 v115, -1, v115
	s_add_i32 s14, s14, 4
	v_cmp_eq_u32_e32 vcc, 0, v115
	v_add_u32_e32 v114, 4, v114
	s_or_b64 s[6:7], vcc, s[6:7]
	s_waitcnt vmcnt(0) lgkmcnt(0)
	v_fmac_f32_e32 v113, v116, v117
	s_andn2_b64 exec, exec, s[6:7]
	s_cbranch_execnz .LBB52_453
; %bb.454:
	s_or_b64 exec, exec, s[6:7]
.LBB52_455:
	s_or_b64 exec, exec, s[12:13]
	v_mov_b32_e32 v114, 0
	ds_read_b32 v114, v114 offset:24
	s_waitcnt lgkmcnt(0)
	v_mul_f32_e32 v113, v113, v114
	buffer_store_dword v113, off, s[0:3], 0 offset:24
.LBB52_456:
	s_or_b64 exec, exec, s[8:9]
	buffer_load_dword v113, off, s[0:3], 0 offset:20
	v_cmp_lt_u32_e64 s[6:7], 5, v0
	s_waitcnt vmcnt(0)
	ds_write_b32 v108, v113
	s_waitcnt lgkmcnt(0)
	; wave barrier
	s_waitcnt lgkmcnt(0)
	s_and_saveexec_b64 s[8:9], s[6:7]
	s_cbranch_execz .LBB52_466
; %bb.457:
	s_andn2_b64 vcc, exec, s[10:11]
	s_cbranch_vccnz .LBB52_459
; %bb.458:
	buffer_load_dword v113, v109, s[0:3], 0 offen
	ds_read_b32 v114, v108
	s_waitcnt vmcnt(0) lgkmcnt(0)
	v_mul_f32_e32 v113, v113, v114
	s_cbranch_execz .LBB52_460
	s_branch .LBB52_461
.LBB52_459:
                                        ; implicit-def: $vgpr113
.LBB52_460:
	ds_read_b32 v113, v108
.LBB52_461:
	s_and_saveexec_b64 s[12:13], s[4:5]
	s_cbranch_execz .LBB52_465
; %bb.462:
	v_add_u32_e32 v114, -6, v0
	s_movk_i32 s14, 0xf8
	s_mov_b64 s[4:5], 0
.LBB52_463:                             ; =>This Inner Loop Header: Depth=1
	buffer_load_dword v115, v112, s[0:3], 0 offen
	v_mov_b32_e32 v116, s14
	ds_read_b32 v116, v116
	v_add_u32_e32 v114, -1, v114
	s_add_i32 s14, s14, 4
	v_cmp_eq_u32_e32 vcc, 0, v114
	v_add_u32_e32 v112, 4, v112
	s_or_b64 s[4:5], vcc, s[4:5]
	s_waitcnt vmcnt(0) lgkmcnt(0)
	v_fmac_f32_e32 v113, v115, v116
	s_andn2_b64 exec, exec, s[4:5]
	s_cbranch_execnz .LBB52_463
; %bb.464:
	s_or_b64 exec, exec, s[4:5]
.LBB52_465:
	s_or_b64 exec, exec, s[12:13]
	v_mov_b32_e32 v112, 0
	ds_read_b32 v112, v112 offset:20
	s_waitcnt lgkmcnt(0)
	v_mul_f32_e32 v112, v113, v112
	buffer_store_dword v112, off, s[0:3], 0 offset:20
.LBB52_466:
	s_or_b64 exec, exec, s[8:9]
	buffer_load_dword v112, off, s[0:3], 0 offset:16
	v_cmp_lt_u32_e64 s[4:5], 4, v0
	s_waitcnt vmcnt(0)
	ds_write_b32 v108, v112
	s_waitcnt lgkmcnt(0)
	; wave barrier
	s_waitcnt lgkmcnt(0)
	s_and_saveexec_b64 s[8:9], s[4:5]
	s_cbranch_execz .LBB52_476
; %bb.467:
	s_andn2_b64 vcc, exec, s[10:11]
	s_cbranch_vccnz .LBB52_469
; %bb.468:
	buffer_load_dword v112, v109, s[0:3], 0 offen
	ds_read_b32 v113, v108
	s_waitcnt vmcnt(0) lgkmcnt(0)
	v_mul_f32_e32 v112, v112, v113
	s_cbranch_execz .LBB52_470
	s_branch .LBB52_471
.LBB52_469:
                                        ; implicit-def: $vgpr112
.LBB52_470:
	ds_read_b32 v112, v108
.LBB52_471:
	s_and_saveexec_b64 s[12:13], s[6:7]
	s_cbranch_execz .LBB52_475
; %bb.472:
	v_mov_b32_e32 v113, 0
	v_add_u32_e32 v113, 20, v113
	v_add_u32_e32 v114, -5, v0
	s_movk_i32 s14, 0xf4
	s_mov_b64 s[6:7], 0
.LBB52_473:                             ; =>This Inner Loop Header: Depth=1
	buffer_load_dword v115, v113, s[0:3], 0 offen
	v_mov_b32_e32 v116, s14
	ds_read_b32 v116, v116
	v_add_u32_e32 v114, -1, v114
	s_add_i32 s14, s14, 4
	v_cmp_eq_u32_e32 vcc, 0, v114
	v_add_u32_e32 v113, 4, v113
	s_or_b64 s[6:7], vcc, s[6:7]
	s_waitcnt vmcnt(0) lgkmcnt(0)
	v_fmac_f32_e32 v112, v115, v116
	s_andn2_b64 exec, exec, s[6:7]
	s_cbranch_execnz .LBB52_473
; %bb.474:
	s_or_b64 exec, exec, s[6:7]
.LBB52_475:
	s_or_b64 exec, exec, s[12:13]
	v_mov_b32_e32 v113, 0
	ds_read_b32 v113, v113 offset:16
	s_waitcnt lgkmcnt(0)
	v_mul_f32_e32 v112, v112, v113
	buffer_store_dword v112, off, s[0:3], 0 offset:16
.LBB52_476:
	s_or_b64 exec, exec, s[8:9]
	buffer_load_dword v112, off, s[0:3], 0 offset:12
	v_cmp_lt_u32_e64 s[6:7], 3, v0
	s_waitcnt vmcnt(0)
	ds_write_b32 v108, v112
	s_waitcnt lgkmcnt(0)
	; wave barrier
	s_waitcnt lgkmcnt(0)
	s_and_saveexec_b64 s[8:9], s[6:7]
	s_cbranch_execz .LBB52_486
; %bb.477:
	s_andn2_b64 vcc, exec, s[10:11]
	s_cbranch_vccnz .LBB52_479
; %bb.478:
	buffer_load_dword v112, v109, s[0:3], 0 offen
	ds_read_b32 v113, v108
	s_waitcnt vmcnt(0) lgkmcnt(0)
	v_mul_f32_e32 v112, v112, v113
	s_cbranch_execz .LBB52_480
	s_branch .LBB52_481
.LBB52_479:
                                        ; implicit-def: $vgpr112
.LBB52_480:
	ds_read_b32 v112, v108
.LBB52_481:
	s_and_saveexec_b64 s[12:13], s[4:5]
	s_cbranch_execz .LBB52_485
; %bb.482:
	v_add_u32_e32 v113, -4, v0
	s_movk_i32 s14, 0xf0
	s_mov_b64 s[4:5], 0
.LBB52_483:                             ; =>This Inner Loop Header: Depth=1
	buffer_load_dword v114, v111, s[0:3], 0 offen
	v_mov_b32_e32 v115, s14
	ds_read_b32 v115, v115
	v_add_u32_e32 v113, -1, v113
	s_add_i32 s14, s14, 4
	v_cmp_eq_u32_e32 vcc, 0, v113
	v_add_u32_e32 v111, 4, v111
	s_or_b64 s[4:5], vcc, s[4:5]
	s_waitcnt vmcnt(0) lgkmcnt(0)
	v_fmac_f32_e32 v112, v114, v115
	s_andn2_b64 exec, exec, s[4:5]
	s_cbranch_execnz .LBB52_483
; %bb.484:
	s_or_b64 exec, exec, s[4:5]
.LBB52_485:
	s_or_b64 exec, exec, s[12:13]
	v_mov_b32_e32 v111, 0
	ds_read_b32 v111, v111 offset:12
	s_waitcnt lgkmcnt(0)
	v_mul_f32_e32 v111, v112, v111
	buffer_store_dword v111, off, s[0:3], 0 offset:12
.LBB52_486:
	s_or_b64 exec, exec, s[8:9]
	buffer_load_dword v111, off, s[0:3], 0 offset:8
	v_cmp_lt_u32_e64 s[4:5], 2, v0
	s_waitcnt vmcnt(0)
	ds_write_b32 v108, v111
	s_waitcnt lgkmcnt(0)
	; wave barrier
	s_waitcnt lgkmcnt(0)
	s_and_saveexec_b64 s[8:9], s[4:5]
	s_cbranch_execz .LBB52_496
; %bb.487:
	s_andn2_b64 vcc, exec, s[10:11]
	s_cbranch_vccnz .LBB52_489
; %bb.488:
	buffer_load_dword v111, v109, s[0:3], 0 offen
	ds_read_b32 v112, v108
	s_waitcnt vmcnt(0) lgkmcnt(0)
	v_mul_f32_e32 v111, v111, v112
	s_cbranch_execz .LBB52_490
	s_branch .LBB52_491
.LBB52_489:
                                        ; implicit-def: $vgpr111
.LBB52_490:
	ds_read_b32 v111, v108
.LBB52_491:
	s_and_saveexec_b64 s[12:13], s[6:7]
	s_cbranch_execz .LBB52_495
; %bb.492:
	v_mov_b32_e32 v112, 0
	v_or_b32_e32 v112, 12, v112
	v_add_u32_e32 v113, -3, v0
	s_movk_i32 s14, 0xec
	s_mov_b64 s[6:7], 0
.LBB52_493:                             ; =>This Inner Loop Header: Depth=1
	buffer_load_dword v114, v112, s[0:3], 0 offen
	v_mov_b32_e32 v115, s14
	ds_read_b32 v115, v115
	v_add_u32_e32 v113, -1, v113
	s_add_i32 s14, s14, 4
	v_cmp_eq_u32_e32 vcc, 0, v113
	v_add_u32_e32 v112, 4, v112
	s_or_b64 s[6:7], vcc, s[6:7]
	s_waitcnt vmcnt(0) lgkmcnt(0)
	v_fmac_f32_e32 v111, v114, v115
	s_andn2_b64 exec, exec, s[6:7]
	s_cbranch_execnz .LBB52_493
; %bb.494:
	s_or_b64 exec, exec, s[6:7]
.LBB52_495:
	s_or_b64 exec, exec, s[12:13]
	v_mov_b32_e32 v112, 0
	ds_read_b32 v112, v112 offset:8
	s_waitcnt lgkmcnt(0)
	v_mul_f32_e32 v111, v111, v112
	buffer_store_dword v111, off, s[0:3], 0 offset:8
.LBB52_496:
	s_or_b64 exec, exec, s[8:9]
	buffer_load_dword v111, off, s[0:3], 0 offset:4
	v_cmp_lt_u32_e64 s[6:7], 1, v0
	s_waitcnt vmcnt(0)
	ds_write_b32 v108, v111
	s_waitcnt lgkmcnt(0)
	; wave barrier
	s_waitcnt lgkmcnt(0)
	s_and_saveexec_b64 s[8:9], s[6:7]
	s_cbranch_execz .LBB52_506
; %bb.497:
	s_andn2_b64 vcc, exec, s[10:11]
	s_cbranch_vccnz .LBB52_499
; %bb.498:
	buffer_load_dword v111, v109, s[0:3], 0 offen
	ds_read_b32 v112, v108
	s_waitcnt vmcnt(0) lgkmcnt(0)
	v_mul_f32_e32 v111, v111, v112
	s_cbranch_execz .LBB52_500
	s_branch .LBB52_501
.LBB52_499:
                                        ; implicit-def: $vgpr111
.LBB52_500:
	ds_read_b32 v111, v108
.LBB52_501:
	s_and_saveexec_b64 s[12:13], s[4:5]
	s_cbranch_execz .LBB52_505
; %bb.502:
	v_add_u32_e32 v112, -2, v0
	s_movk_i32 s14, 0xe8
	s_mov_b64 s[4:5], 0
.LBB52_503:                             ; =>This Inner Loop Header: Depth=1
	buffer_load_dword v113, v110, s[0:3], 0 offen
	v_mov_b32_e32 v114, s14
	ds_read_b32 v114, v114
	v_add_u32_e32 v112, -1, v112
	s_add_i32 s14, s14, 4
	v_cmp_eq_u32_e32 vcc, 0, v112
	v_add_u32_e32 v110, 4, v110
	s_or_b64 s[4:5], vcc, s[4:5]
	s_waitcnt vmcnt(0) lgkmcnt(0)
	v_fmac_f32_e32 v111, v113, v114
	s_andn2_b64 exec, exec, s[4:5]
	s_cbranch_execnz .LBB52_503
; %bb.504:
	s_or_b64 exec, exec, s[4:5]
.LBB52_505:
	s_or_b64 exec, exec, s[12:13]
	v_mov_b32_e32 v110, 0
	ds_read_b32 v110, v110 offset:4
	s_waitcnt lgkmcnt(0)
	v_mul_f32_e32 v110, v111, v110
	buffer_store_dword v110, off, s[0:3], 0 offset:4
.LBB52_506:
	s_or_b64 exec, exec, s[8:9]
	buffer_load_dword v110, off, s[0:3], 0
	v_cmp_ne_u32_e32 vcc, 0, v0
	s_waitcnt vmcnt(0)
	ds_write_b32 v108, v110
	s_waitcnt lgkmcnt(0)
	; wave barrier
	s_waitcnt lgkmcnt(0)
	s_and_saveexec_b64 s[4:5], vcc
	s_cbranch_execz .LBB52_516
; %bb.507:
	s_andn2_b64 vcc, exec, s[10:11]
	s_cbranch_vccnz .LBB52_509
; %bb.508:
	buffer_load_dword v110, v109, s[0:3], 0 offen
	ds_read_b32 v111, v108
	s_waitcnt vmcnt(0) lgkmcnt(0)
	v_mul_f32_e32 v110, v110, v111
	s_cbranch_execz .LBB52_510
	s_branch .LBB52_511
.LBB52_509:
                                        ; implicit-def: $vgpr110
.LBB52_510:
	ds_read_b32 v110, v108
.LBB52_511:
	s_and_saveexec_b64 s[8:9], s[6:7]
	s_cbranch_execz .LBB52_515
; %bb.512:
	v_mov_b32_e32 v111, 0
	v_or_b32_e32 v111, 4, v111
	v_add_u32_e32 v112, -1, v0
	s_movk_i32 s12, 0xe4
	s_mov_b64 s[6:7], 0
.LBB52_513:                             ; =>This Inner Loop Header: Depth=1
	buffer_load_dword v113, v111, s[0:3], 0 offen
	v_mov_b32_e32 v114, s12
	ds_read_b32 v114, v114
	v_add_u32_e32 v112, -1, v112
	s_add_i32 s12, s12, 4
	v_cmp_eq_u32_e32 vcc, 0, v112
	v_add_u32_e32 v111, 4, v111
	s_or_b64 s[6:7], vcc, s[6:7]
	s_waitcnt vmcnt(0) lgkmcnt(0)
	v_fmac_f32_e32 v110, v113, v114
	s_andn2_b64 exec, exec, s[6:7]
	s_cbranch_execnz .LBB52_513
; %bb.514:
	s_or_b64 exec, exec, s[6:7]
.LBB52_515:
	s_or_b64 exec, exec, s[8:9]
	v_mov_b32_e32 v111, 0
	ds_read_b32 v111, v111
	s_waitcnt lgkmcnt(0)
	v_mul_f32_e32 v110, v110, v111
	buffer_store_dword v110, off, s[0:3], 0
.LBB52_516:
	s_or_b64 exec, exec, s[4:5]
	s_mov_b64 s[4:5], 0
.LBB52_517:
	s_and_b64 vcc, exec, s[4:5]
	s_cbranch_vccz .LBB52_1031
; %bb.518:
	buffer_load_dword v110, off, s[0:3], 0 offset:4
	v_cmp_eq_u32_e64 s[6:7], 0, v0
	s_waitcnt vmcnt(0)
	ds_write_b32 v108, v110
	s_waitcnt lgkmcnt(0)
	; wave barrier
	s_waitcnt lgkmcnt(0)
	s_and_saveexec_b64 s[4:5], s[6:7]
	s_cbranch_execz .LBB52_524
; %bb.519:
	s_and_b64 vcc, exec, s[10:11]
	s_cbranch_vccz .LBB52_521
; %bb.520:
	buffer_load_dword v110, v109, s[0:3], 0 offen
	ds_read_b32 v111, v108
	s_waitcnt vmcnt(0) lgkmcnt(0)
	v_mul_f32_e32 v110, v110, v111
	s_cbranch_execz .LBB52_522
	s_branch .LBB52_523
.LBB52_521:
                                        ; implicit-def: $vgpr110
.LBB52_522:
	ds_read_b32 v110, v108
.LBB52_523:
	v_mov_b32_e32 v111, 0
	ds_read_b32 v111, v111 offset:4
	s_waitcnt lgkmcnt(0)
	v_mul_f32_e32 v110, v110, v111
	buffer_store_dword v110, off, s[0:3], 0 offset:4
.LBB52_524:
	s_or_b64 exec, exec, s[4:5]
	buffer_load_dword v110, off, s[0:3], 0 offset:8
	v_cndmask_b32_e64 v111, 0, 1, s[10:11]
	v_cmp_gt_u32_e32 vcc, 2, v0
	v_cmp_ne_u32_e64 s[4:5], 1, v111
	s_waitcnt vmcnt(0)
	ds_write_b32 v108, v110
	s_waitcnt lgkmcnt(0)
	; wave barrier
	s_waitcnt lgkmcnt(0)
	s_and_saveexec_b64 s[8:9], vcc
	s_cbranch_execz .LBB52_532
; %bb.525:
	s_and_b64 vcc, exec, s[4:5]
	s_cbranch_vccnz .LBB52_527
; %bb.526:
	buffer_load_dword v110, v109, s[0:3], 0 offen
	ds_read_b32 v111, v108
	s_waitcnt vmcnt(0) lgkmcnt(0)
	v_mul_f32_e32 v110, v110, v111
	s_cbranch_execz .LBB52_528
	s_branch .LBB52_529
.LBB52_527:
                                        ; implicit-def: $vgpr110
.LBB52_528:
	ds_read_b32 v110, v108
.LBB52_529:
	s_and_saveexec_b64 s[10:11], s[6:7]
	s_cbranch_execz .LBB52_531
; %bb.530:
	buffer_load_dword v111, v109, s[0:3], 0 offen offset:4
	ds_read_b32 v112, v108 offset:4
	s_waitcnt vmcnt(0) lgkmcnt(0)
	v_fmac_f32_e32 v110, v111, v112
.LBB52_531:
	s_or_b64 exec, exec, s[10:11]
	v_mov_b32_e32 v111, 0
	ds_read_b32 v111, v111 offset:8
	s_waitcnt lgkmcnt(0)
	v_mul_f32_e32 v110, v110, v111
	buffer_store_dword v110, off, s[0:3], 0 offset:8
.LBB52_532:
	s_or_b64 exec, exec, s[8:9]
	buffer_load_dword v110, off, s[0:3], 0 offset:12
	v_cmp_gt_u32_e32 vcc, 3, v0
	s_waitcnt vmcnt(0)
	ds_write_b32 v108, v110
	s_waitcnt lgkmcnt(0)
	; wave barrier
	s_waitcnt lgkmcnt(0)
	s_and_saveexec_b64 s[8:9], vcc
	s_cbranch_execz .LBB52_540
; %bb.533:
	s_and_b64 vcc, exec, s[4:5]
	s_cbranch_vccnz .LBB52_535
; %bb.534:
	buffer_load_dword v110, v109, s[0:3], 0 offen
	ds_read_b32 v111, v108
	s_waitcnt vmcnt(0) lgkmcnt(0)
	v_mul_f32_e32 v110, v110, v111
	s_cbranch_execz .LBB52_536
	s_branch .LBB52_537
.LBB52_535:
                                        ; implicit-def: $vgpr110
.LBB52_536:
	ds_read_b32 v110, v108
.LBB52_537:
	v_cmp_ne_u32_e32 vcc, 2, v0
	s_and_saveexec_b64 s[10:11], vcc
	s_cbranch_execz .LBB52_539
; %bb.538:
	buffer_load_dword v111, v109, s[0:3], 0 offen offset:4
	buffer_load_dword v112, off, s[0:3], 0 offset:8
	v_mov_b32_e32 v113, 0
	ds_read_b32 v114, v108 offset:4
	ds_read_b32 v113, v113 offset:232
	s_waitcnt vmcnt(1) lgkmcnt(1)
	v_fmac_f32_e32 v110, v111, v114
	s_waitcnt vmcnt(0) lgkmcnt(0)
	v_fma_f32 v111, v112, v113, v110
	v_cndmask_b32_e64 v110, v110, v111, s[6:7]
.LBB52_539:
	s_or_b64 exec, exec, s[10:11]
	v_mov_b32_e32 v111, 0
	ds_read_b32 v111, v111 offset:12
	s_waitcnt lgkmcnt(0)
	v_mul_f32_e32 v110, v110, v111
	buffer_store_dword v110, off, s[0:3], 0 offset:12
.LBB52_540:
	s_or_b64 exec, exec, s[8:9]
	buffer_load_dword v110, off, s[0:3], 0 offset:16
	v_cmp_gt_u32_e32 vcc, 4, v0
	s_waitcnt vmcnt(0)
	ds_write_b32 v108, v110
	s_waitcnt lgkmcnt(0)
	; wave barrier
	s_waitcnt lgkmcnt(0)
	s_and_saveexec_b64 s[6:7], vcc
	s_cbranch_execz .LBB52_550
; %bb.541:
	s_and_b64 vcc, exec, s[4:5]
	s_cbranch_vccnz .LBB52_543
; %bb.542:
	buffer_load_dword v110, v109, s[0:3], 0 offen
	ds_read_b32 v111, v108
	s_waitcnt vmcnt(0) lgkmcnt(0)
	v_mul_f32_e32 v110, v110, v111
	s_cbranch_execz .LBB52_544
	s_branch .LBB52_545
.LBB52_543:
                                        ; implicit-def: $vgpr110
.LBB52_544:
	ds_read_b32 v110, v108
.LBB52_545:
	v_cmp_ne_u32_e32 vcc, 3, v0
	s_and_saveexec_b64 s[8:9], vcc
	s_cbranch_execz .LBB52_549
; %bb.546:
	v_mov_b32_e32 v112, 0
	v_add_u32_e32 v111, 0xe4, v1
	v_add3_u32 v112, v1, v112, 4
	s_mov_b64 s[10:11], 0
	v_mov_b32_e32 v113, v0
.LBB52_547:                             ; =>This Inner Loop Header: Depth=1
	buffer_load_dword v114, v112, s[0:3], 0 offen
	ds_read_b32 v115, v111
	v_add_u32_e32 v113, 1, v113
	v_cmp_lt_u32_e32 vcc, 2, v113
	v_add_u32_e32 v111, 4, v111
	v_add_u32_e32 v112, 4, v112
	s_or_b64 s[10:11], vcc, s[10:11]
	s_waitcnt vmcnt(0) lgkmcnt(0)
	v_fmac_f32_e32 v110, v114, v115
	s_andn2_b64 exec, exec, s[10:11]
	s_cbranch_execnz .LBB52_547
; %bb.548:
	s_or_b64 exec, exec, s[10:11]
.LBB52_549:
	s_or_b64 exec, exec, s[8:9]
	v_mov_b32_e32 v111, 0
	ds_read_b32 v111, v111 offset:16
	s_waitcnt lgkmcnt(0)
	v_mul_f32_e32 v110, v110, v111
	buffer_store_dword v110, off, s[0:3], 0 offset:16
.LBB52_550:
	s_or_b64 exec, exec, s[6:7]
	buffer_load_dword v110, off, s[0:3], 0 offset:20
	v_cmp_gt_u32_e32 vcc, 5, v0
	s_waitcnt vmcnt(0)
	ds_write_b32 v108, v110
	s_waitcnt lgkmcnt(0)
	; wave barrier
	s_waitcnt lgkmcnt(0)
	s_and_saveexec_b64 s[6:7], vcc
	s_cbranch_execz .LBB52_560
; %bb.551:
	s_and_b64 vcc, exec, s[4:5]
	s_cbranch_vccnz .LBB52_553
; %bb.552:
	buffer_load_dword v110, v109, s[0:3], 0 offen
	ds_read_b32 v111, v108
	s_waitcnt vmcnt(0) lgkmcnt(0)
	v_mul_f32_e32 v110, v110, v111
	s_cbranch_execz .LBB52_554
	s_branch .LBB52_555
.LBB52_553:
                                        ; implicit-def: $vgpr110
.LBB52_554:
	ds_read_b32 v110, v108
.LBB52_555:
	v_cmp_ne_u32_e32 vcc, 4, v0
	s_and_saveexec_b64 s[8:9], vcc
	s_cbranch_execz .LBB52_559
; %bb.556:
	v_mov_b32_e32 v112, 0
	v_add_u32_e32 v111, 0xe4, v1
	v_add3_u32 v112, v1, v112, 4
	s_mov_b64 s[10:11], 0
	v_mov_b32_e32 v113, v0
.LBB52_557:                             ; =>This Inner Loop Header: Depth=1
	buffer_load_dword v114, v112, s[0:3], 0 offen
	ds_read_b32 v115, v111
	v_add_u32_e32 v113, 1, v113
	v_cmp_lt_u32_e32 vcc, 3, v113
	v_add_u32_e32 v111, 4, v111
	v_add_u32_e32 v112, 4, v112
	s_or_b64 s[10:11], vcc, s[10:11]
	s_waitcnt vmcnt(0) lgkmcnt(0)
	v_fmac_f32_e32 v110, v114, v115
	s_andn2_b64 exec, exec, s[10:11]
	s_cbranch_execnz .LBB52_557
; %bb.558:
	s_or_b64 exec, exec, s[10:11]
.LBB52_559:
	s_or_b64 exec, exec, s[8:9]
	v_mov_b32_e32 v111, 0
	ds_read_b32 v111, v111 offset:20
	s_waitcnt lgkmcnt(0)
	v_mul_f32_e32 v110, v110, v111
	buffer_store_dword v110, off, s[0:3], 0 offset:20
.LBB52_560:
	;; [unrolled: 56-line block ×46, first 2 shown]
	s_or_b64 exec, exec, s[6:7]
	buffer_load_dword v110, off, s[0:3], 0 offset:200
	v_cmp_gt_u32_e32 vcc, 50, v0
	s_waitcnt vmcnt(0)
	ds_write_b32 v108, v110
	s_waitcnt lgkmcnt(0)
	; wave barrier
	s_waitcnt lgkmcnt(0)
	s_and_saveexec_b64 s[6:7], vcc
	s_cbranch_execz .LBB52_1010
; %bb.1001:
	s_and_b64 vcc, exec, s[4:5]
	s_cbranch_vccnz .LBB52_1003
; %bb.1002:
	buffer_load_dword v110, v109, s[0:3], 0 offen
	ds_read_b32 v111, v108
	s_waitcnt vmcnt(0) lgkmcnt(0)
	v_mul_f32_e32 v110, v110, v111
	s_cbranch_execz .LBB52_1004
	s_branch .LBB52_1005
.LBB52_1003:
                                        ; implicit-def: $vgpr110
.LBB52_1004:
	ds_read_b32 v110, v108
.LBB52_1005:
	v_cmp_ne_u32_e32 vcc, 49, v0
	s_and_saveexec_b64 s[8:9], vcc
	s_cbranch_execz .LBB52_1009
; %bb.1006:
	v_mov_b32_e32 v112, 0
	v_add_u32_e32 v111, 0xe4, v1
	v_add3_u32 v112, v1, v112, 4
	s_mov_b64 s[10:11], 0
	v_mov_b32_e32 v113, v0
.LBB52_1007:                            ; =>This Inner Loop Header: Depth=1
	buffer_load_dword v114, v112, s[0:3], 0 offen
	ds_read_b32 v115, v111
	v_add_u32_e32 v113, 1, v113
	v_cmp_lt_u32_e32 vcc, 48, v113
	v_add_u32_e32 v111, 4, v111
	v_add_u32_e32 v112, 4, v112
	s_or_b64 s[10:11], vcc, s[10:11]
	s_waitcnt vmcnt(0) lgkmcnt(0)
	v_fmac_f32_e32 v110, v114, v115
	s_andn2_b64 exec, exec, s[10:11]
	s_cbranch_execnz .LBB52_1007
; %bb.1008:
	s_or_b64 exec, exec, s[10:11]
.LBB52_1009:
	s_or_b64 exec, exec, s[8:9]
	v_mov_b32_e32 v111, 0
	ds_read_b32 v111, v111 offset:200
	s_waitcnt lgkmcnt(0)
	v_mul_f32_e32 v110, v110, v111
	buffer_store_dword v110, off, s[0:3], 0 offset:200
.LBB52_1010:
	s_or_b64 exec, exec, s[6:7]
	buffer_load_dword v110, off, s[0:3], 0 offset:204
	v_cmp_gt_u32_e64 s[6:7], 51, v0
	s_waitcnt vmcnt(0)
	ds_write_b32 v108, v110
	s_waitcnt lgkmcnt(0)
	; wave barrier
	s_waitcnt lgkmcnt(0)
	s_and_saveexec_b64 s[8:9], s[6:7]
	s_cbranch_execz .LBB52_1020
; %bb.1011:
	s_and_b64 vcc, exec, s[4:5]
	s_cbranch_vccnz .LBB52_1013
; %bb.1012:
	buffer_load_dword v110, v109, s[0:3], 0 offen
	ds_read_b32 v111, v108
	s_waitcnt vmcnt(0) lgkmcnt(0)
	v_mul_f32_e32 v110, v110, v111
	s_cbranch_execz .LBB52_1014
	s_branch .LBB52_1015
.LBB52_1013:
                                        ; implicit-def: $vgpr110
.LBB52_1014:
	ds_read_b32 v110, v108
.LBB52_1015:
	v_cmp_ne_u32_e32 vcc, 50, v0
	s_and_saveexec_b64 s[10:11], vcc
	s_cbranch_execz .LBB52_1019
; %bb.1016:
	v_mov_b32_e32 v112, 0
	v_add_u32_e32 v111, 0xe4, v1
	v_add3_u32 v112, v1, v112, 4
	s_mov_b64 s[12:13], 0
	v_mov_b32_e32 v113, v0
.LBB52_1017:                            ; =>This Inner Loop Header: Depth=1
	buffer_load_dword v114, v112, s[0:3], 0 offen
	ds_read_b32 v115, v111
	v_add_u32_e32 v113, 1, v113
	v_cmp_lt_u32_e32 vcc, 49, v113
	v_add_u32_e32 v111, 4, v111
	v_add_u32_e32 v112, 4, v112
	s_or_b64 s[12:13], vcc, s[12:13]
	s_waitcnt vmcnt(0) lgkmcnt(0)
	v_fmac_f32_e32 v110, v114, v115
	s_andn2_b64 exec, exec, s[12:13]
	s_cbranch_execnz .LBB52_1017
; %bb.1018:
	s_or_b64 exec, exec, s[12:13]
.LBB52_1019:
	s_or_b64 exec, exec, s[10:11]
	v_mov_b32_e32 v111, 0
	ds_read_b32 v111, v111 offset:204
	s_waitcnt lgkmcnt(0)
	v_mul_f32_e32 v110, v110, v111
	buffer_store_dword v110, off, s[0:3], 0 offset:204
.LBB52_1020:
	s_or_b64 exec, exec, s[8:9]
	buffer_load_dword v110, off, s[0:3], 0 offset:208
	v_cmp_ne_u32_e32 vcc, 52, v0
	s_waitcnt vmcnt(0)
	ds_write_b32 v108, v110
	s_waitcnt lgkmcnt(0)
	; wave barrier
	s_waitcnt lgkmcnt(0)
	s_and_saveexec_b64 s[8:9], vcc
	s_cbranch_execz .LBB52_1030
; %bb.1021:
	s_and_b64 vcc, exec, s[4:5]
	s_cbranch_vccnz .LBB52_1023
; %bb.1022:
	buffer_load_dword v109, v109, s[0:3], 0 offen
	ds_read_b32 v110, v108
	s_waitcnt vmcnt(0) lgkmcnt(0)
	v_mul_f32_e32 v109, v109, v110
	s_cbranch_execz .LBB52_1024
	s_branch .LBB52_1025
.LBB52_1023:
                                        ; implicit-def: $vgpr109
.LBB52_1024:
	ds_read_b32 v109, v108
.LBB52_1025:
	s_and_saveexec_b64 s[4:5], s[6:7]
	s_cbranch_execz .LBB52_1029
; %bb.1026:
	v_mov_b32_e32 v110, 0
	v_add_u32_e32 v108, 0xe4, v1
	v_add3_u32 v1, v1, v110, 4
	s_mov_b64 s[6:7], 0
.LBB52_1027:                            ; =>This Inner Loop Header: Depth=1
	buffer_load_dword v110, v1, s[0:3], 0 offen
	ds_read_b32 v111, v108
	v_add_u32_e32 v0, 1, v0
	v_cmp_lt_u32_e32 vcc, 50, v0
	v_add_u32_e32 v108, 4, v108
	v_add_u32_e32 v1, 4, v1
	s_or_b64 s[6:7], vcc, s[6:7]
	s_waitcnt vmcnt(0) lgkmcnt(0)
	v_fmac_f32_e32 v109, v110, v111
	s_andn2_b64 exec, exec, s[6:7]
	s_cbranch_execnz .LBB52_1027
; %bb.1028:
	s_or_b64 exec, exec, s[6:7]
.LBB52_1029:
	s_or_b64 exec, exec, s[4:5]
	v_mov_b32_e32 v0, 0
	ds_read_b32 v0, v0 offset:208
	s_waitcnt lgkmcnt(0)
	v_mul_f32_e32 v0, v109, v0
	buffer_store_dword v0, off, s[0:3], 0 offset:208
.LBB52_1030:
	s_or_b64 exec, exec, s[8:9]
.LBB52_1031:
	buffer_load_dword v0, off, s[0:3], 0
	buffer_load_dword v1, off, s[0:3], 0 offset:4
	buffer_load_dword v108, off, s[0:3], 0 offset:8
	;; [unrolled: 1-line block ×52, first 2 shown]
	s_waitcnt vmcnt(52)
	global_store_dword v[102:103], v0, off
	s_waitcnt vmcnt(52)
	global_store_dword v[104:105], v1, off
	;; [unrolled: 2-line block ×53, first 2 shown]
.LBB52_1032:
	s_endpgm
	.section	.rodata,"a",@progbits
	.p2align	6, 0x0
	.amdhsa_kernel _ZN9rocsolver6v33100L18trti2_kernel_smallILi53EfPfEEv13rocblas_fill_17rocblas_diagonal_T1_iil
		.amdhsa_group_segment_fixed_size 436
		.amdhsa_private_segment_fixed_size 224
		.amdhsa_kernarg_size 32
		.amdhsa_user_sgpr_count 8
		.amdhsa_user_sgpr_private_segment_buffer 1
		.amdhsa_user_sgpr_dispatch_ptr 0
		.amdhsa_user_sgpr_queue_ptr 0
		.amdhsa_user_sgpr_kernarg_segment_ptr 1
		.amdhsa_user_sgpr_dispatch_id 0
		.amdhsa_user_sgpr_flat_scratch_init 1
		.amdhsa_user_sgpr_kernarg_preload_length 0
		.amdhsa_user_sgpr_kernarg_preload_offset 0
		.amdhsa_user_sgpr_private_segment_size 0
		.amdhsa_uses_dynamic_stack 0
		.amdhsa_system_sgpr_private_segment_wavefront_offset 1
		.amdhsa_system_sgpr_workgroup_id_x 1
		.amdhsa_system_sgpr_workgroup_id_y 0
		.amdhsa_system_sgpr_workgroup_id_z 0
		.amdhsa_system_sgpr_workgroup_info 0
		.amdhsa_system_vgpr_workitem_id 0
		.amdhsa_next_free_vgpr 161
		.amdhsa_next_free_sgpr 20
		.amdhsa_accum_offset 164
		.amdhsa_reserve_vcc 1
		.amdhsa_reserve_flat_scratch 0
		.amdhsa_float_round_mode_32 0
		.amdhsa_float_round_mode_16_64 0
		.amdhsa_float_denorm_mode_32 3
		.amdhsa_float_denorm_mode_16_64 3
		.amdhsa_dx10_clamp 1
		.amdhsa_ieee_mode 1
		.amdhsa_fp16_overflow 0
		.amdhsa_tg_split 0
		.amdhsa_exception_fp_ieee_invalid_op 0
		.amdhsa_exception_fp_denorm_src 0
		.amdhsa_exception_fp_ieee_div_zero 0
		.amdhsa_exception_fp_ieee_overflow 0
		.amdhsa_exception_fp_ieee_underflow 0
		.amdhsa_exception_fp_ieee_inexact 0
		.amdhsa_exception_int_div_zero 0
	.end_amdhsa_kernel
	.section	.text._ZN9rocsolver6v33100L18trti2_kernel_smallILi53EfPfEEv13rocblas_fill_17rocblas_diagonal_T1_iil,"axG",@progbits,_ZN9rocsolver6v33100L18trti2_kernel_smallILi53EfPfEEv13rocblas_fill_17rocblas_diagonal_T1_iil,comdat
.Lfunc_end52:
	.size	_ZN9rocsolver6v33100L18trti2_kernel_smallILi53EfPfEEv13rocblas_fill_17rocblas_diagonal_T1_iil, .Lfunc_end52-_ZN9rocsolver6v33100L18trti2_kernel_smallILi53EfPfEEv13rocblas_fill_17rocblas_diagonal_T1_iil
                                        ; -- End function
	.section	.AMDGPU.csdata,"",@progbits
; Kernel info:
; codeLenInByte = 25932
; NumSgprs: 24
; NumVgprs: 161
; NumAgprs: 0
; TotalNumVgprs: 161
; ScratchSize: 224
; MemoryBound: 0
; FloatMode: 240
; IeeeMode: 1
; LDSByteSize: 436 bytes/workgroup (compile time only)
; SGPRBlocks: 2
; VGPRBlocks: 20
; NumSGPRsForWavesPerEU: 24
; NumVGPRsForWavesPerEU: 161
; AccumOffset: 164
; Occupancy: 3
; WaveLimiterHint : 0
; COMPUTE_PGM_RSRC2:SCRATCH_EN: 1
; COMPUTE_PGM_RSRC2:USER_SGPR: 8
; COMPUTE_PGM_RSRC2:TRAP_HANDLER: 0
; COMPUTE_PGM_RSRC2:TGID_X_EN: 1
; COMPUTE_PGM_RSRC2:TGID_Y_EN: 0
; COMPUTE_PGM_RSRC2:TGID_Z_EN: 0
; COMPUTE_PGM_RSRC2:TIDIG_COMP_CNT: 0
; COMPUTE_PGM_RSRC3_GFX90A:ACCUM_OFFSET: 40
; COMPUTE_PGM_RSRC3_GFX90A:TG_SPLIT: 0
	.section	.text._ZN9rocsolver6v33100L18trti2_kernel_smallILi54EfPfEEv13rocblas_fill_17rocblas_diagonal_T1_iil,"axG",@progbits,_ZN9rocsolver6v33100L18trti2_kernel_smallILi54EfPfEEv13rocblas_fill_17rocblas_diagonal_T1_iil,comdat
	.globl	_ZN9rocsolver6v33100L18trti2_kernel_smallILi54EfPfEEv13rocblas_fill_17rocblas_diagonal_T1_iil ; -- Begin function _ZN9rocsolver6v33100L18trti2_kernel_smallILi54EfPfEEv13rocblas_fill_17rocblas_diagonal_T1_iil
	.p2align	8
	.type	_ZN9rocsolver6v33100L18trti2_kernel_smallILi54EfPfEEv13rocblas_fill_17rocblas_diagonal_T1_iil,@function
_ZN9rocsolver6v33100L18trti2_kernel_smallILi54EfPfEEv13rocblas_fill_17rocblas_diagonal_T1_iil: ; @_ZN9rocsolver6v33100L18trti2_kernel_smallILi54EfPfEEv13rocblas_fill_17rocblas_diagonal_T1_iil
; %bb.0:
	s_add_u32 s0, s0, s9
	s_addc_u32 s1, s1, 0
	v_cmp_gt_u32_e32 vcc, 54, v0
	s_and_saveexec_b64 s[6:7], vcc
	s_cbranch_execz .LBB53_1052
; %bb.1:
	s_load_dwordx8 s[12:19], s[4:5], 0x0
	s_ashr_i32 s6, s8, 31
	s_waitcnt lgkmcnt(0)
	s_mul_i32 s7, s8, s19
	s_mul_hi_u32 s9, s8, s18
	s_add_i32 s7, s9, s7
	s_mul_i32 s6, s6, s18
	s_add_i32 s7, s7, s6
	s_mul_i32 s6, s8, s18
	s_ashr_i32 s5, s16, 31
	s_lshl_b64 s[6:7], s[6:7], 2
	s_mov_b32 s4, s16
	s_add_u32 s6, s14, s6
	s_addc_u32 s7, s15, s7
	s_lshl_b64 s[4:5], s[4:5], 2
	s_add_u32 s4, s6, s4
	s_addc_u32 s5, s7, s5
	s_add_i32 s6, s17, s17
	v_add_u32_e32 v4, s6, v0
	v_ashrrev_i32_e32 v5, 31, v4
	v_lshlrev_b64 v[2:3], 2, v[4:5]
	v_add_u32_e32 v6, s17, v4
	v_mov_b32_e32 v1, s5
	v_add_co_u32_e32 v2, vcc, s4, v2
	v_ashrrev_i32_e32 v7, 31, v6
	v_addc_co_u32_e32 v3, vcc, v1, v3, vcc
	v_lshlrev_b64 v[4:5], 2, v[6:7]
	v_add_u32_e32 v8, s17, v6
	v_add_co_u32_e32 v4, vcc, s4, v4
	v_ashrrev_i32_e32 v9, 31, v8
	v_addc_co_u32_e32 v5, vcc, v1, v5, vcc
	v_lshlrev_b64 v[6:7], 2, v[8:9]
	v_add_u32_e32 v10, s17, v8
	;; [unrolled: 5-line block ×49, first 2 shown]
	v_add_co_u32_e32 v100, vcc, s4, v100
	v_ashrrev_i32_e32 v105, 31, v104
	v_addc_co_u32_e32 v101, vcc, v1, v101, vcc
	v_lshlrev_b64 v[102:103], 2, v[104:105]
	v_add_co_u32_e32 v102, vcc, s4, v102
	v_add_u32_e32 v104, s17, v104
	v_addc_co_u32_e32 v103, vcc, v1, v103, vcc
	v_ashrrev_i32_e32 v105, 31, v104
	v_lshlrev_b32_e32 v1, 2, v0
	v_lshlrev_b64 v[108:109], 2, v[104:105]
	v_mov_b32_e32 v105, s5
	v_add_co_u32_e32 v104, vcc, s4, v1
	s_ashr_i32 s7, s17, 31
	s_mov_b32 s6, s17
	v_addc_co_u32_e32 v105, vcc, 0, v105, vcc
	s_lshl_b64 s[6:7], s[6:7], 2
	v_mov_b32_e32 v107, s7
	v_add_co_u32_e32 v106, vcc, s6, v104
	v_addc_co_u32_e32 v107, vcc, v105, v107, vcc
	v_mov_b32_e32 v110, s5
	v_add_co_u32_e32 v108, vcc, s4, v108
	global_load_dword v111, v1, s[4:5]
	global_load_dword v112, v[106:107], off
	global_load_dword v113, v[6:7], off
	;; [unrolled: 1-line block ×14, first 2 shown]
                                        ; kill: killed $sgpr5
	global_load_dword v126, v[20:21], off
	global_load_dword v127, v[18:19], off
	;; [unrolled: 1-line block ×34, first 2 shown]
	v_addc_co_u32_e32 v109, vcc, v110, v109, vcc
	global_load_dword v110, v[96:97], off
	global_load_dword v160, v[102:103], off
	;; [unrolled: 1-line block ×5, first 2 shown]
	s_cmpk_lg_i32 s13, 0x84
	s_waitcnt vmcnt(53)
	buffer_store_dword v111, off, s[0:3], 0
	s_waitcnt vmcnt(53)
	buffer_store_dword v112, off, s[0:3], 0 offset:4
	s_waitcnt vmcnt(48)
	buffer_store_dword v118, off, s[0:3], 0 offset:12
	;; [unrolled: 2-line block ×3, first 2 shown]
	buffer_store_dword v113, off, s[0:3], 0 offset:16
	buffer_store_dword v114, off, s[0:3], 0 offset:20
	;; [unrolled: 1-line block ×5, first 2 shown]
	s_waitcnt vmcnt(53)
	buffer_store_dword v120, off, s[0:3], 0 offset:36
	s_waitcnt vmcnt(48)
	buffer_store_dword v126, off, s[0:3], 0 offset:44
	;; [unrolled: 2-line block ×3, first 2 shown]
	buffer_store_dword v121, off, s[0:3], 0 offset:48
	buffer_store_dword v122, off, s[0:3], 0 offset:52
	;; [unrolled: 1-line block ×5, first 2 shown]
	s_waitcnt vmcnt(53)
	buffer_store_dword v128, off, s[0:3], 0 offset:68
	s_waitcnt vmcnt(53)
	buffer_store_dword v129, off, s[0:3], 0 offset:72
	;; [unrolled: 2-line block ×5, first 2 shown]
	buffer_store_dword v132, off, s[0:3], 0 offset:92
	buffer_store_dword v133, off, s[0:3], 0 offset:88
	s_waitcnt vmcnt(52)
	buffer_store_dword v136, off, s[0:3], 0 offset:100
	buffer_store_dword v131, off, s[0:3], 0 offset:96
	s_waitcnt vmcnt(48)
	buffer_store_dword v142, off, s[0:3], 0 offset:108
	s_waitcnt vmcnt(48)
	buffer_store_dword v143, off, s[0:3], 0 offset:104
	buffer_store_dword v140, off, s[0:3], 0 offset:116
	buffer_store_dword v141, off, s[0:3], 0 offset:112
	buffer_store_dword v138, off, s[0:3], 0 offset:124
	buffer_store_dword v139, off, s[0:3], 0 offset:120
	s_waitcnt vmcnt(52)
	buffer_store_dword v144, off, s[0:3], 0 offset:132
	buffer_store_dword v137, off, s[0:3], 0 offset:128
	s_waitcnt vmcnt(48)
	buffer_store_dword v150, off, s[0:3], 0 offset:140
	s_waitcnt vmcnt(48)
	buffer_store_dword v151, off, s[0:3], 0 offset:136
	buffer_store_dword v148, off, s[0:3], 0 offset:148
	buffer_store_dword v149, off, s[0:3], 0 offset:144
	;; [unrolled: 11-line block ×3, first 2 shown]
	buffer_store_dword v154, off, s[0:3], 0 offset:188
	buffer_store_dword v155, off, s[0:3], 0 offset:184
	s_waitcnt vmcnt(52)
	buffer_store_dword v110, off, s[0:3], 0 offset:196
	buffer_store_dword v153, off, s[0:3], 0 offset:192
	s_waitcnt vmcnt(52)
	buffer_store_dword v161, off, s[0:3], 0 offset:204
	s_waitcnt vmcnt(52)
	;; [unrolled: 2-line block ×3, first 2 shown]
	buffer_store_dword v163, off, s[0:3], 0 offset:212
	buffer_store_dword v160, off, s[0:3], 0 offset:208
	s_cselect_b64 s[8:9], -1, 0
	s_cmpk_eq_i32 s13, 0x84
	v_mov_b32_e32 v136, 0
	v_mov_b32_e32 v110, -1.0
	s_cbranch_scc1 .LBB53_3
; %bb.2:
	v_lshl_add_u32 v110, v0, 2, v136
	buffer_load_dword v111, v110, s[0:3], 0 offen
	s_waitcnt vmcnt(0)
	v_div_scale_f32 v112, s[4:5], v111, v111, 1.0
	v_rcp_f32_e32 v113, v112
	v_div_scale_f32 v114, vcc, 1.0, v111, 1.0
	v_fma_f32 v115, -v112, v113, 1.0
	v_fmac_f32_e32 v113, v115, v113
	v_mul_f32_e32 v115, v114, v113
	v_fma_f32 v116, -v112, v115, v114
	v_fmac_f32_e32 v115, v116, v113
	v_fma_f32 v112, -v112, v115, v114
	v_div_fmas_f32 v112, v112, v113, v115
	v_div_fixup_f32 v111, v112, v111, 1.0
	buffer_store_dword v111, v110, s[0:3], 0 offen
	v_xor_b32_e32 v110, 0x80000000, v111
.LBB53_3:
	ds_write_b32 v1, v110
	s_cmpk_eq_i32 s12, 0x79
	v_add_u32_e32 v110, 0xe0, v1
	v_add_u32_e32 v111, 0, v1
	s_mov_b64 s[4:5], -1
	s_cbranch_scc1 .LBB53_527
; %bb.4:
	buffer_load_dword v112, off, s[0:3], 0 offset:208
	v_cmp_eq_u32_e64 s[4:5], 53, v0
	s_waitcnt vmcnt(0)
	ds_write_b32 v110, v112
	s_waitcnt lgkmcnt(0)
	; wave barrier
	s_waitcnt lgkmcnt(0)
	s_and_saveexec_b64 s[6:7], s[4:5]
	s_cbranch_execz .LBB53_10
; %bb.5:
	s_and_b64 vcc, exec, s[8:9]
	s_cbranch_vccz .LBB53_7
; %bb.6:
	buffer_load_dword v112, v111, s[0:3], 0 offen
	ds_read_b32 v113, v110
	s_waitcnt vmcnt(0) lgkmcnt(0)
	v_mul_f32_e32 v112, v112, v113
	s_cbranch_execz .LBB53_8
	s_branch .LBB53_9
.LBB53_7:
                                        ; implicit-def: $vgpr112
.LBB53_8:
	ds_read_b32 v112, v110
.LBB53_9:
	v_mov_b32_e32 v113, 0
	ds_read_b32 v113, v113 offset:208
	s_waitcnt lgkmcnt(0)
	v_mul_f32_e32 v112, v112, v113
	buffer_store_dword v112, off, s[0:3], 0 offset:208
.LBB53_10:
	s_or_b64 exec, exec, s[6:7]
	buffer_load_dword v137, off, s[0:3], 0 offset:204
	v_or_b32_e32 v112, 8, v136
	v_add_u32_e32 v113, 16, v136
	v_add_u32_e32 v114, 24, v136
	;; [unrolled: 1-line block ×24, first 2 shown]
	v_cmp_lt_u32_e64 s[6:7], 51, v0
	s_waitcnt vmcnt(0)
	ds_write_b32 v110, v137
	s_waitcnt lgkmcnt(0)
	; wave barrier
	s_waitcnt lgkmcnt(0)
	s_and_saveexec_b64 s[10:11], s[6:7]
	s_cbranch_execz .LBB53_16
; %bb.11:
	s_andn2_b64 vcc, exec, s[8:9]
	s_cbranch_vccnz .LBB53_13
; %bb.12:
	buffer_load_dword v137, v111, s[0:3], 0 offen
	ds_read_b32 v138, v110
	s_waitcnt vmcnt(0) lgkmcnt(0)
	v_mul_f32_e32 v137, v137, v138
	s_cbranch_execz .LBB53_14
	s_branch .LBB53_15
.LBB53_13:
                                        ; implicit-def: $vgpr137
.LBB53_14:
	ds_read_b32 v137, v110
.LBB53_15:
	buffer_load_dword v140, off, s[0:3], 0 offset:208
	v_mov_b32_e32 v138, 0
	ds_read2_b32 v[138:139], v138 offset0:51 offset1:108
	s_waitcnt vmcnt(0) lgkmcnt(0)
	v_fma_f32 v139, v140, v139, v137
	v_cndmask_b32_e64 v137, v137, v139, s[4:5]
	v_mul_f32_e32 v137, v137, v138
	buffer_store_dword v137, off, s[0:3], 0 offset:204
.LBB53_16:
	s_or_b64 exec, exec, s[10:11]
	buffer_load_dword v137, off, s[0:3], 0 offset:200
	v_cmp_lt_u32_e64 s[4:5], 50, v0
	s_waitcnt vmcnt(0)
	ds_write_b32 v110, v137
	s_waitcnt lgkmcnt(0)
	; wave barrier
	s_waitcnt lgkmcnt(0)
	s_and_saveexec_b64 s[10:11], s[4:5]
	s_cbranch_execz .LBB53_26
; %bb.17:
	s_andn2_b64 vcc, exec, s[8:9]
	s_cbranch_vccnz .LBB53_19
; %bb.18:
	buffer_load_dword v137, v111, s[0:3], 0 offen
	ds_read_b32 v138, v110
	s_waitcnt vmcnt(0) lgkmcnt(0)
	v_mul_f32_e32 v137, v137, v138
	s_cbranch_execz .LBB53_20
	s_branch .LBB53_21
.LBB53_19:
                                        ; implicit-def: $vgpr137
.LBB53_20:
	ds_read_b32 v137, v110
.LBB53_21:
	s_and_saveexec_b64 s[12:13], s[6:7]
	s_cbranch_execz .LBB53_25
; %bb.22:
	v_mov_b32_e32 v138, 0
	v_add_u32_e32 v138, 0xcc, v138
	v_subrev_u32_e32 v139, 51, v0
	s_movk_i32 s14, 0x1ac
	s_mov_b64 s[6:7], 0
.LBB53_23:                              ; =>This Inner Loop Header: Depth=1
	buffer_load_dword v140, v138, s[0:3], 0 offen
	v_mov_b32_e32 v141, s14
	ds_read_b32 v141, v141
	v_add_u32_e32 v139, -1, v139
	s_add_i32 s14, s14, 4
	v_cmp_eq_u32_e32 vcc, 0, v139
	v_add_u32_e32 v138, 4, v138
	s_or_b64 s[6:7], vcc, s[6:7]
	s_waitcnt vmcnt(0) lgkmcnt(0)
	v_fmac_f32_e32 v137, v140, v141
	s_andn2_b64 exec, exec, s[6:7]
	s_cbranch_execnz .LBB53_23
; %bb.24:
	s_or_b64 exec, exec, s[6:7]
.LBB53_25:
	s_or_b64 exec, exec, s[12:13]
	v_mov_b32_e32 v138, 0
	ds_read_b32 v138, v138 offset:200
	s_waitcnt lgkmcnt(0)
	v_mul_f32_e32 v137, v137, v138
	buffer_store_dword v137, off, s[0:3], 0 offset:200
.LBB53_26:
	s_or_b64 exec, exec, s[10:11]
	buffer_load_dword v137, off, s[0:3], 0 offset:196
	v_cmp_lt_u32_e64 s[6:7], 49, v0
	s_waitcnt vmcnt(0)
	ds_write_b32 v110, v137
	s_waitcnt lgkmcnt(0)
	; wave barrier
	s_waitcnt lgkmcnt(0)
	s_and_saveexec_b64 s[10:11], s[6:7]
	s_cbranch_execz .LBB53_36
; %bb.27:
	s_andn2_b64 vcc, exec, s[8:9]
	s_cbranch_vccnz .LBB53_29
; %bb.28:
	buffer_load_dword v137, v111, s[0:3], 0 offen
	ds_read_b32 v138, v110
	s_waitcnt vmcnt(0) lgkmcnt(0)
	v_mul_f32_e32 v137, v137, v138
	s_cbranch_execz .LBB53_30
	s_branch .LBB53_31
.LBB53_29:
                                        ; implicit-def: $vgpr137
.LBB53_30:
	ds_read_b32 v137, v110
.LBB53_31:
	s_and_saveexec_b64 s[12:13], s[4:5]
	s_cbranch_execz .LBB53_35
; %bb.32:
	v_subrev_u32_e32 v138, 50, v0
	s_movk_i32 s14, 0x1a8
	s_mov_b64 s[4:5], 0
.LBB53_33:                              ; =>This Inner Loop Header: Depth=1
	buffer_load_dword v139, v136, s[0:3], 0 offen
	v_mov_b32_e32 v140, s14
	ds_read_b32 v140, v140
	v_add_u32_e32 v138, -1, v138
	s_add_i32 s14, s14, 4
	v_cmp_eq_u32_e32 vcc, 0, v138
	v_add_u32_e32 v136, 4, v136
	s_or_b64 s[4:5], vcc, s[4:5]
	s_waitcnt vmcnt(0) lgkmcnt(0)
	v_fmac_f32_e32 v137, v139, v140
	s_andn2_b64 exec, exec, s[4:5]
	s_cbranch_execnz .LBB53_33
; %bb.34:
	s_or_b64 exec, exec, s[4:5]
.LBB53_35:
	s_or_b64 exec, exec, s[12:13]
	v_mov_b32_e32 v136, 0
	ds_read_b32 v136, v136 offset:196
	s_waitcnt lgkmcnt(0)
	v_mul_f32_e32 v136, v137, v136
	buffer_store_dword v136, off, s[0:3], 0 offset:196
.LBB53_36:
	s_or_b64 exec, exec, s[10:11]
	buffer_load_dword v136, off, s[0:3], 0 offset:192
	v_cmp_lt_u32_e64 s[4:5], 48, v0
	s_waitcnt vmcnt(0)
	ds_write_b32 v110, v136
	s_waitcnt lgkmcnt(0)
	; wave barrier
	s_waitcnt lgkmcnt(0)
	s_and_saveexec_b64 s[10:11], s[4:5]
	s_cbranch_execz .LBB53_46
; %bb.37:
	s_andn2_b64 vcc, exec, s[8:9]
	s_cbranch_vccnz .LBB53_39
; %bb.38:
	buffer_load_dword v136, v111, s[0:3], 0 offen
	ds_read_b32 v137, v110
	s_waitcnt vmcnt(0) lgkmcnt(0)
	v_mul_f32_e32 v136, v136, v137
	s_cbranch_execz .LBB53_40
	s_branch .LBB53_41
.LBB53_39:
                                        ; implicit-def: $vgpr136
.LBB53_40:
	ds_read_b32 v136, v110
.LBB53_41:
	s_and_saveexec_b64 s[12:13], s[6:7]
	s_cbranch_execz .LBB53_45
; %bb.42:
	v_mov_b32_e32 v137, 0
	v_add_u32_e32 v137, 0xc4, v137
	v_subrev_u32_e32 v138, 49, v0
	s_movk_i32 s14, 0x1a4
	s_mov_b64 s[6:7], 0
.LBB53_43:                              ; =>This Inner Loop Header: Depth=1
	buffer_load_dword v139, v137, s[0:3], 0 offen
	v_mov_b32_e32 v140, s14
	ds_read_b32 v140, v140
	v_add_u32_e32 v138, -1, v138
	s_add_i32 s14, s14, 4
	v_cmp_eq_u32_e32 vcc, 0, v138
	v_add_u32_e32 v137, 4, v137
	s_or_b64 s[6:7], vcc, s[6:7]
	s_waitcnt vmcnt(0) lgkmcnt(0)
	v_fmac_f32_e32 v136, v139, v140
	s_andn2_b64 exec, exec, s[6:7]
	s_cbranch_execnz .LBB53_43
; %bb.44:
	s_or_b64 exec, exec, s[6:7]
.LBB53_45:
	s_or_b64 exec, exec, s[12:13]
	v_mov_b32_e32 v137, 0
	ds_read_b32 v137, v137 offset:192
	s_waitcnt lgkmcnt(0)
	v_mul_f32_e32 v136, v136, v137
	buffer_store_dword v136, off, s[0:3], 0 offset:192
.LBB53_46:
	s_or_b64 exec, exec, s[10:11]
	buffer_load_dword v136, off, s[0:3], 0 offset:188
	v_cmp_lt_u32_e64 s[6:7], 47, v0
	s_waitcnt vmcnt(0)
	ds_write_b32 v110, v136
	s_waitcnt lgkmcnt(0)
	; wave barrier
	s_waitcnt lgkmcnt(0)
	s_and_saveexec_b64 s[10:11], s[6:7]
	s_cbranch_execz .LBB53_56
; %bb.47:
	s_andn2_b64 vcc, exec, s[8:9]
	s_cbranch_vccnz .LBB53_49
; %bb.48:
	buffer_load_dword v136, v111, s[0:3], 0 offen
	ds_read_b32 v137, v110
	s_waitcnt vmcnt(0) lgkmcnt(0)
	v_mul_f32_e32 v136, v136, v137
	s_cbranch_execz .LBB53_50
	s_branch .LBB53_51
.LBB53_49:
                                        ; implicit-def: $vgpr136
.LBB53_50:
	ds_read_b32 v136, v110
.LBB53_51:
	s_and_saveexec_b64 s[12:13], s[4:5]
	s_cbranch_execz .LBB53_55
; %bb.52:
	v_subrev_u32_e32 v137, 48, v0
	s_movk_i32 s14, 0x1a0
	s_mov_b64 s[4:5], 0
.LBB53_53:                              ; =>This Inner Loop Header: Depth=1
	buffer_load_dword v138, v135, s[0:3], 0 offen
	v_mov_b32_e32 v139, s14
	ds_read_b32 v139, v139
	v_add_u32_e32 v137, -1, v137
	s_add_i32 s14, s14, 4
	v_cmp_eq_u32_e32 vcc, 0, v137
	v_add_u32_e32 v135, 4, v135
	s_or_b64 s[4:5], vcc, s[4:5]
	s_waitcnt vmcnt(0) lgkmcnt(0)
	v_fmac_f32_e32 v136, v138, v139
	s_andn2_b64 exec, exec, s[4:5]
	s_cbranch_execnz .LBB53_53
; %bb.54:
	s_or_b64 exec, exec, s[4:5]
.LBB53_55:
	s_or_b64 exec, exec, s[12:13]
	v_mov_b32_e32 v135, 0
	ds_read_b32 v135, v135 offset:188
	s_waitcnt lgkmcnt(0)
	v_mul_f32_e32 v135, v136, v135
	buffer_store_dword v135, off, s[0:3], 0 offset:188
.LBB53_56:
	s_or_b64 exec, exec, s[10:11]
	buffer_load_dword v135, off, s[0:3], 0 offset:184
	v_cmp_lt_u32_e64 s[4:5], 46, v0
	s_waitcnt vmcnt(0)
	ds_write_b32 v110, v135
	s_waitcnt lgkmcnt(0)
	; wave barrier
	s_waitcnt lgkmcnt(0)
	s_and_saveexec_b64 s[10:11], s[4:5]
	s_cbranch_execz .LBB53_66
; %bb.57:
	s_andn2_b64 vcc, exec, s[8:9]
	s_cbranch_vccnz .LBB53_59
; %bb.58:
	buffer_load_dword v135, v111, s[0:3], 0 offen
	ds_read_b32 v136, v110
	s_waitcnt vmcnt(0) lgkmcnt(0)
	v_mul_f32_e32 v135, v135, v136
	s_cbranch_execz .LBB53_60
	s_branch .LBB53_61
.LBB53_59:
                                        ; implicit-def: $vgpr135
.LBB53_60:
	ds_read_b32 v135, v110
.LBB53_61:
	s_and_saveexec_b64 s[12:13], s[6:7]
	s_cbranch_execz .LBB53_65
; %bb.62:
	v_mov_b32_e32 v136, 0
	v_add_u32_e32 v136, 0xbc, v136
	v_subrev_u32_e32 v137, 47, v0
	s_movk_i32 s14, 0x19c
	s_mov_b64 s[6:7], 0
.LBB53_63:                              ; =>This Inner Loop Header: Depth=1
	buffer_load_dword v138, v136, s[0:3], 0 offen
	v_mov_b32_e32 v139, s14
	ds_read_b32 v139, v139
	v_add_u32_e32 v137, -1, v137
	s_add_i32 s14, s14, 4
	v_cmp_eq_u32_e32 vcc, 0, v137
	v_add_u32_e32 v136, 4, v136
	s_or_b64 s[6:7], vcc, s[6:7]
	s_waitcnt vmcnt(0) lgkmcnt(0)
	v_fmac_f32_e32 v135, v138, v139
	s_andn2_b64 exec, exec, s[6:7]
	s_cbranch_execnz .LBB53_63
; %bb.64:
	s_or_b64 exec, exec, s[6:7]
.LBB53_65:
	s_or_b64 exec, exec, s[12:13]
	v_mov_b32_e32 v136, 0
	ds_read_b32 v136, v136 offset:184
	s_waitcnt lgkmcnt(0)
	v_mul_f32_e32 v135, v135, v136
	buffer_store_dword v135, off, s[0:3], 0 offset:184
.LBB53_66:
	s_or_b64 exec, exec, s[10:11]
	buffer_load_dword v135, off, s[0:3], 0 offset:180
	v_cmp_lt_u32_e64 s[6:7], 45, v0
	s_waitcnt vmcnt(0)
	ds_write_b32 v110, v135
	s_waitcnt lgkmcnt(0)
	; wave barrier
	s_waitcnt lgkmcnt(0)
	s_and_saveexec_b64 s[10:11], s[6:7]
	s_cbranch_execz .LBB53_76
; %bb.67:
	s_andn2_b64 vcc, exec, s[8:9]
	s_cbranch_vccnz .LBB53_69
; %bb.68:
	buffer_load_dword v135, v111, s[0:3], 0 offen
	ds_read_b32 v136, v110
	s_waitcnt vmcnt(0) lgkmcnt(0)
	v_mul_f32_e32 v135, v135, v136
	s_cbranch_execz .LBB53_70
	s_branch .LBB53_71
.LBB53_69:
                                        ; implicit-def: $vgpr135
.LBB53_70:
	ds_read_b32 v135, v110
.LBB53_71:
	s_and_saveexec_b64 s[12:13], s[4:5]
	s_cbranch_execz .LBB53_75
; %bb.72:
	v_subrev_u32_e32 v136, 46, v0
	s_movk_i32 s14, 0x198
	s_mov_b64 s[4:5], 0
.LBB53_73:                              ; =>This Inner Loop Header: Depth=1
	buffer_load_dword v137, v134, s[0:3], 0 offen
	v_mov_b32_e32 v138, s14
	ds_read_b32 v138, v138
	v_add_u32_e32 v136, -1, v136
	s_add_i32 s14, s14, 4
	v_cmp_eq_u32_e32 vcc, 0, v136
	v_add_u32_e32 v134, 4, v134
	s_or_b64 s[4:5], vcc, s[4:5]
	s_waitcnt vmcnt(0) lgkmcnt(0)
	v_fmac_f32_e32 v135, v137, v138
	s_andn2_b64 exec, exec, s[4:5]
	s_cbranch_execnz .LBB53_73
; %bb.74:
	s_or_b64 exec, exec, s[4:5]
.LBB53_75:
	s_or_b64 exec, exec, s[12:13]
	v_mov_b32_e32 v134, 0
	ds_read_b32 v134, v134 offset:180
	s_waitcnt lgkmcnt(0)
	v_mul_f32_e32 v134, v135, v134
	buffer_store_dword v134, off, s[0:3], 0 offset:180
.LBB53_76:
	s_or_b64 exec, exec, s[10:11]
	buffer_load_dword v134, off, s[0:3], 0 offset:176
	v_cmp_lt_u32_e64 s[4:5], 44, v0
	s_waitcnt vmcnt(0)
	ds_write_b32 v110, v134
	s_waitcnt lgkmcnt(0)
	; wave barrier
	s_waitcnt lgkmcnt(0)
	s_and_saveexec_b64 s[10:11], s[4:5]
	s_cbranch_execz .LBB53_86
; %bb.77:
	s_andn2_b64 vcc, exec, s[8:9]
	s_cbranch_vccnz .LBB53_79
; %bb.78:
	buffer_load_dword v134, v111, s[0:3], 0 offen
	ds_read_b32 v135, v110
	s_waitcnt vmcnt(0) lgkmcnt(0)
	v_mul_f32_e32 v134, v134, v135
	s_cbranch_execz .LBB53_80
	s_branch .LBB53_81
.LBB53_79:
                                        ; implicit-def: $vgpr134
.LBB53_80:
	ds_read_b32 v134, v110
.LBB53_81:
	s_and_saveexec_b64 s[12:13], s[6:7]
	s_cbranch_execz .LBB53_85
; %bb.82:
	v_mov_b32_e32 v135, 0
	v_add_u32_e32 v135, 0xb4, v135
	v_subrev_u32_e32 v136, 45, v0
	s_movk_i32 s14, 0x194
	s_mov_b64 s[6:7], 0
.LBB53_83:                              ; =>This Inner Loop Header: Depth=1
	buffer_load_dword v137, v135, s[0:3], 0 offen
	v_mov_b32_e32 v138, s14
	ds_read_b32 v138, v138
	v_add_u32_e32 v136, -1, v136
	s_add_i32 s14, s14, 4
	v_cmp_eq_u32_e32 vcc, 0, v136
	v_add_u32_e32 v135, 4, v135
	s_or_b64 s[6:7], vcc, s[6:7]
	s_waitcnt vmcnt(0) lgkmcnt(0)
	v_fmac_f32_e32 v134, v137, v138
	s_andn2_b64 exec, exec, s[6:7]
	s_cbranch_execnz .LBB53_83
; %bb.84:
	s_or_b64 exec, exec, s[6:7]
.LBB53_85:
	s_or_b64 exec, exec, s[12:13]
	v_mov_b32_e32 v135, 0
	ds_read_b32 v135, v135 offset:176
	s_waitcnt lgkmcnt(0)
	v_mul_f32_e32 v134, v134, v135
	buffer_store_dword v134, off, s[0:3], 0 offset:176
.LBB53_86:
	s_or_b64 exec, exec, s[10:11]
	buffer_load_dword v134, off, s[0:3], 0 offset:172
	v_cmp_lt_u32_e64 s[6:7], 43, v0
	s_waitcnt vmcnt(0)
	ds_write_b32 v110, v134
	s_waitcnt lgkmcnt(0)
	; wave barrier
	s_waitcnt lgkmcnt(0)
	s_and_saveexec_b64 s[10:11], s[6:7]
	s_cbranch_execz .LBB53_96
; %bb.87:
	s_andn2_b64 vcc, exec, s[8:9]
	s_cbranch_vccnz .LBB53_89
; %bb.88:
	buffer_load_dword v134, v111, s[0:3], 0 offen
	ds_read_b32 v135, v110
	s_waitcnt vmcnt(0) lgkmcnt(0)
	v_mul_f32_e32 v134, v134, v135
	s_cbranch_execz .LBB53_90
	s_branch .LBB53_91
.LBB53_89:
                                        ; implicit-def: $vgpr134
.LBB53_90:
	ds_read_b32 v134, v110
.LBB53_91:
	s_and_saveexec_b64 s[12:13], s[4:5]
	s_cbranch_execz .LBB53_95
; %bb.92:
	v_subrev_u32_e32 v135, 44, v0
	s_movk_i32 s14, 0x190
	s_mov_b64 s[4:5], 0
.LBB53_93:                              ; =>This Inner Loop Header: Depth=1
	buffer_load_dword v136, v133, s[0:3], 0 offen
	v_mov_b32_e32 v137, s14
	ds_read_b32 v137, v137
	v_add_u32_e32 v135, -1, v135
	s_add_i32 s14, s14, 4
	v_cmp_eq_u32_e32 vcc, 0, v135
	v_add_u32_e32 v133, 4, v133
	s_or_b64 s[4:5], vcc, s[4:5]
	s_waitcnt vmcnt(0) lgkmcnt(0)
	v_fmac_f32_e32 v134, v136, v137
	s_andn2_b64 exec, exec, s[4:5]
	s_cbranch_execnz .LBB53_93
; %bb.94:
	s_or_b64 exec, exec, s[4:5]
.LBB53_95:
	s_or_b64 exec, exec, s[12:13]
	v_mov_b32_e32 v133, 0
	ds_read_b32 v133, v133 offset:172
	s_waitcnt lgkmcnt(0)
	v_mul_f32_e32 v133, v134, v133
	buffer_store_dword v133, off, s[0:3], 0 offset:172
.LBB53_96:
	s_or_b64 exec, exec, s[10:11]
	buffer_load_dword v133, off, s[0:3], 0 offset:168
	v_cmp_lt_u32_e64 s[4:5], 42, v0
	s_waitcnt vmcnt(0)
	ds_write_b32 v110, v133
	s_waitcnt lgkmcnt(0)
	; wave barrier
	s_waitcnt lgkmcnt(0)
	s_and_saveexec_b64 s[10:11], s[4:5]
	s_cbranch_execz .LBB53_106
; %bb.97:
	s_andn2_b64 vcc, exec, s[8:9]
	s_cbranch_vccnz .LBB53_99
; %bb.98:
	buffer_load_dword v133, v111, s[0:3], 0 offen
	ds_read_b32 v134, v110
	s_waitcnt vmcnt(0) lgkmcnt(0)
	v_mul_f32_e32 v133, v133, v134
	s_cbranch_execz .LBB53_100
	s_branch .LBB53_101
.LBB53_99:
                                        ; implicit-def: $vgpr133
.LBB53_100:
	ds_read_b32 v133, v110
.LBB53_101:
	s_and_saveexec_b64 s[12:13], s[6:7]
	s_cbranch_execz .LBB53_105
; %bb.102:
	v_mov_b32_e32 v134, 0
	v_add_u32_e32 v134, 0xac, v134
	v_subrev_u32_e32 v135, 43, v0
	s_movk_i32 s14, 0x18c
	s_mov_b64 s[6:7], 0
.LBB53_103:                             ; =>This Inner Loop Header: Depth=1
	buffer_load_dword v136, v134, s[0:3], 0 offen
	v_mov_b32_e32 v137, s14
	ds_read_b32 v137, v137
	v_add_u32_e32 v135, -1, v135
	s_add_i32 s14, s14, 4
	v_cmp_eq_u32_e32 vcc, 0, v135
	v_add_u32_e32 v134, 4, v134
	s_or_b64 s[6:7], vcc, s[6:7]
	s_waitcnt vmcnt(0) lgkmcnt(0)
	v_fmac_f32_e32 v133, v136, v137
	s_andn2_b64 exec, exec, s[6:7]
	s_cbranch_execnz .LBB53_103
; %bb.104:
	s_or_b64 exec, exec, s[6:7]
.LBB53_105:
	s_or_b64 exec, exec, s[12:13]
	v_mov_b32_e32 v134, 0
	ds_read_b32 v134, v134 offset:168
	s_waitcnt lgkmcnt(0)
	v_mul_f32_e32 v133, v133, v134
	buffer_store_dword v133, off, s[0:3], 0 offset:168
.LBB53_106:
	s_or_b64 exec, exec, s[10:11]
	buffer_load_dword v133, off, s[0:3], 0 offset:164
	v_cmp_lt_u32_e64 s[6:7], 41, v0
	s_waitcnt vmcnt(0)
	ds_write_b32 v110, v133
	s_waitcnt lgkmcnt(0)
	; wave barrier
	s_waitcnt lgkmcnt(0)
	s_and_saveexec_b64 s[10:11], s[6:7]
	s_cbranch_execz .LBB53_116
; %bb.107:
	s_andn2_b64 vcc, exec, s[8:9]
	s_cbranch_vccnz .LBB53_109
; %bb.108:
	buffer_load_dword v133, v111, s[0:3], 0 offen
	ds_read_b32 v134, v110
	s_waitcnt vmcnt(0) lgkmcnt(0)
	v_mul_f32_e32 v133, v133, v134
	s_cbranch_execz .LBB53_110
	s_branch .LBB53_111
.LBB53_109:
                                        ; implicit-def: $vgpr133
.LBB53_110:
	ds_read_b32 v133, v110
.LBB53_111:
	s_and_saveexec_b64 s[12:13], s[4:5]
	s_cbranch_execz .LBB53_115
; %bb.112:
	v_subrev_u32_e32 v134, 42, v0
	s_movk_i32 s14, 0x188
	s_mov_b64 s[4:5], 0
.LBB53_113:                             ; =>This Inner Loop Header: Depth=1
	buffer_load_dword v135, v132, s[0:3], 0 offen
	v_mov_b32_e32 v136, s14
	ds_read_b32 v136, v136
	v_add_u32_e32 v134, -1, v134
	s_add_i32 s14, s14, 4
	v_cmp_eq_u32_e32 vcc, 0, v134
	v_add_u32_e32 v132, 4, v132
	s_or_b64 s[4:5], vcc, s[4:5]
	s_waitcnt vmcnt(0) lgkmcnt(0)
	v_fmac_f32_e32 v133, v135, v136
	s_andn2_b64 exec, exec, s[4:5]
	s_cbranch_execnz .LBB53_113
; %bb.114:
	s_or_b64 exec, exec, s[4:5]
.LBB53_115:
	s_or_b64 exec, exec, s[12:13]
	v_mov_b32_e32 v132, 0
	ds_read_b32 v132, v132 offset:164
	s_waitcnt lgkmcnt(0)
	v_mul_f32_e32 v132, v133, v132
	buffer_store_dword v132, off, s[0:3], 0 offset:164
.LBB53_116:
	s_or_b64 exec, exec, s[10:11]
	buffer_load_dword v132, off, s[0:3], 0 offset:160
	v_cmp_lt_u32_e64 s[4:5], 40, v0
	s_waitcnt vmcnt(0)
	ds_write_b32 v110, v132
	s_waitcnt lgkmcnt(0)
	; wave barrier
	s_waitcnt lgkmcnt(0)
	s_and_saveexec_b64 s[10:11], s[4:5]
	s_cbranch_execz .LBB53_126
; %bb.117:
	s_andn2_b64 vcc, exec, s[8:9]
	s_cbranch_vccnz .LBB53_119
; %bb.118:
	buffer_load_dword v132, v111, s[0:3], 0 offen
	ds_read_b32 v133, v110
	s_waitcnt vmcnt(0) lgkmcnt(0)
	v_mul_f32_e32 v132, v132, v133
	s_cbranch_execz .LBB53_120
	s_branch .LBB53_121
.LBB53_119:
                                        ; implicit-def: $vgpr132
.LBB53_120:
	ds_read_b32 v132, v110
.LBB53_121:
	s_and_saveexec_b64 s[12:13], s[6:7]
	s_cbranch_execz .LBB53_125
; %bb.122:
	v_mov_b32_e32 v133, 0
	v_add_u32_e32 v133, 0xa4, v133
	v_subrev_u32_e32 v134, 41, v0
	s_movk_i32 s14, 0x184
	s_mov_b64 s[6:7], 0
.LBB53_123:                             ; =>This Inner Loop Header: Depth=1
	buffer_load_dword v135, v133, s[0:3], 0 offen
	v_mov_b32_e32 v136, s14
	ds_read_b32 v136, v136
	v_add_u32_e32 v134, -1, v134
	s_add_i32 s14, s14, 4
	v_cmp_eq_u32_e32 vcc, 0, v134
	v_add_u32_e32 v133, 4, v133
	s_or_b64 s[6:7], vcc, s[6:7]
	s_waitcnt vmcnt(0) lgkmcnt(0)
	v_fmac_f32_e32 v132, v135, v136
	s_andn2_b64 exec, exec, s[6:7]
	s_cbranch_execnz .LBB53_123
; %bb.124:
	s_or_b64 exec, exec, s[6:7]
.LBB53_125:
	s_or_b64 exec, exec, s[12:13]
	v_mov_b32_e32 v133, 0
	ds_read_b32 v133, v133 offset:160
	s_waitcnt lgkmcnt(0)
	v_mul_f32_e32 v132, v132, v133
	buffer_store_dword v132, off, s[0:3], 0 offset:160
.LBB53_126:
	s_or_b64 exec, exec, s[10:11]
	buffer_load_dword v132, off, s[0:3], 0 offset:156
	v_cmp_lt_u32_e64 s[6:7], 39, v0
	s_waitcnt vmcnt(0)
	ds_write_b32 v110, v132
	s_waitcnt lgkmcnt(0)
	; wave barrier
	s_waitcnt lgkmcnt(0)
	s_and_saveexec_b64 s[10:11], s[6:7]
	s_cbranch_execz .LBB53_136
; %bb.127:
	s_andn2_b64 vcc, exec, s[8:9]
	s_cbranch_vccnz .LBB53_129
; %bb.128:
	buffer_load_dword v132, v111, s[0:3], 0 offen
	ds_read_b32 v133, v110
	s_waitcnt vmcnt(0) lgkmcnt(0)
	v_mul_f32_e32 v132, v132, v133
	s_cbranch_execz .LBB53_130
	s_branch .LBB53_131
.LBB53_129:
                                        ; implicit-def: $vgpr132
.LBB53_130:
	ds_read_b32 v132, v110
.LBB53_131:
	s_and_saveexec_b64 s[12:13], s[4:5]
	s_cbranch_execz .LBB53_135
; %bb.132:
	v_subrev_u32_e32 v133, 40, v0
	s_movk_i32 s14, 0x180
	s_mov_b64 s[4:5], 0
.LBB53_133:                             ; =>This Inner Loop Header: Depth=1
	buffer_load_dword v134, v131, s[0:3], 0 offen
	v_mov_b32_e32 v135, s14
	ds_read_b32 v135, v135
	v_add_u32_e32 v133, -1, v133
	s_add_i32 s14, s14, 4
	v_cmp_eq_u32_e32 vcc, 0, v133
	v_add_u32_e32 v131, 4, v131
	s_or_b64 s[4:5], vcc, s[4:5]
	s_waitcnt vmcnt(0) lgkmcnt(0)
	v_fmac_f32_e32 v132, v134, v135
	s_andn2_b64 exec, exec, s[4:5]
	s_cbranch_execnz .LBB53_133
; %bb.134:
	s_or_b64 exec, exec, s[4:5]
.LBB53_135:
	s_or_b64 exec, exec, s[12:13]
	v_mov_b32_e32 v131, 0
	ds_read_b32 v131, v131 offset:156
	s_waitcnt lgkmcnt(0)
	v_mul_f32_e32 v131, v132, v131
	buffer_store_dword v131, off, s[0:3], 0 offset:156
.LBB53_136:
	s_or_b64 exec, exec, s[10:11]
	buffer_load_dword v131, off, s[0:3], 0 offset:152
	v_cmp_lt_u32_e64 s[4:5], 38, v0
	s_waitcnt vmcnt(0)
	ds_write_b32 v110, v131
	s_waitcnt lgkmcnt(0)
	; wave barrier
	s_waitcnt lgkmcnt(0)
	s_and_saveexec_b64 s[10:11], s[4:5]
	s_cbranch_execz .LBB53_146
; %bb.137:
	s_andn2_b64 vcc, exec, s[8:9]
	s_cbranch_vccnz .LBB53_139
; %bb.138:
	buffer_load_dword v131, v111, s[0:3], 0 offen
	ds_read_b32 v132, v110
	s_waitcnt vmcnt(0) lgkmcnt(0)
	v_mul_f32_e32 v131, v131, v132
	s_cbranch_execz .LBB53_140
	s_branch .LBB53_141
.LBB53_139:
                                        ; implicit-def: $vgpr131
.LBB53_140:
	ds_read_b32 v131, v110
.LBB53_141:
	s_and_saveexec_b64 s[12:13], s[6:7]
	s_cbranch_execz .LBB53_145
; %bb.142:
	v_mov_b32_e32 v132, 0
	v_add_u32_e32 v132, 0x9c, v132
	v_subrev_u32_e32 v133, 39, v0
	s_movk_i32 s14, 0x17c
	s_mov_b64 s[6:7], 0
.LBB53_143:                             ; =>This Inner Loop Header: Depth=1
	buffer_load_dword v134, v132, s[0:3], 0 offen
	v_mov_b32_e32 v135, s14
	ds_read_b32 v135, v135
	v_add_u32_e32 v133, -1, v133
	s_add_i32 s14, s14, 4
	v_cmp_eq_u32_e32 vcc, 0, v133
	v_add_u32_e32 v132, 4, v132
	s_or_b64 s[6:7], vcc, s[6:7]
	s_waitcnt vmcnt(0) lgkmcnt(0)
	v_fmac_f32_e32 v131, v134, v135
	s_andn2_b64 exec, exec, s[6:7]
	s_cbranch_execnz .LBB53_143
; %bb.144:
	s_or_b64 exec, exec, s[6:7]
.LBB53_145:
	s_or_b64 exec, exec, s[12:13]
	v_mov_b32_e32 v132, 0
	ds_read_b32 v132, v132 offset:152
	s_waitcnt lgkmcnt(0)
	v_mul_f32_e32 v131, v131, v132
	buffer_store_dword v131, off, s[0:3], 0 offset:152
.LBB53_146:
	s_or_b64 exec, exec, s[10:11]
	buffer_load_dword v131, off, s[0:3], 0 offset:148
	v_cmp_lt_u32_e64 s[6:7], 37, v0
	s_waitcnt vmcnt(0)
	ds_write_b32 v110, v131
	s_waitcnt lgkmcnt(0)
	; wave barrier
	s_waitcnt lgkmcnt(0)
	s_and_saveexec_b64 s[10:11], s[6:7]
	s_cbranch_execz .LBB53_156
; %bb.147:
	s_andn2_b64 vcc, exec, s[8:9]
	s_cbranch_vccnz .LBB53_149
; %bb.148:
	buffer_load_dword v131, v111, s[0:3], 0 offen
	ds_read_b32 v132, v110
	s_waitcnt vmcnt(0) lgkmcnt(0)
	v_mul_f32_e32 v131, v131, v132
	s_cbranch_execz .LBB53_150
	s_branch .LBB53_151
.LBB53_149:
                                        ; implicit-def: $vgpr131
.LBB53_150:
	ds_read_b32 v131, v110
.LBB53_151:
	s_and_saveexec_b64 s[12:13], s[4:5]
	s_cbranch_execz .LBB53_155
; %bb.152:
	v_subrev_u32_e32 v132, 38, v0
	s_movk_i32 s14, 0x178
	s_mov_b64 s[4:5], 0
.LBB53_153:                             ; =>This Inner Loop Header: Depth=1
	buffer_load_dword v133, v130, s[0:3], 0 offen
	v_mov_b32_e32 v134, s14
	ds_read_b32 v134, v134
	v_add_u32_e32 v132, -1, v132
	s_add_i32 s14, s14, 4
	v_cmp_eq_u32_e32 vcc, 0, v132
	v_add_u32_e32 v130, 4, v130
	s_or_b64 s[4:5], vcc, s[4:5]
	s_waitcnt vmcnt(0) lgkmcnt(0)
	v_fmac_f32_e32 v131, v133, v134
	s_andn2_b64 exec, exec, s[4:5]
	s_cbranch_execnz .LBB53_153
; %bb.154:
	s_or_b64 exec, exec, s[4:5]
.LBB53_155:
	s_or_b64 exec, exec, s[12:13]
	v_mov_b32_e32 v130, 0
	ds_read_b32 v130, v130 offset:148
	s_waitcnt lgkmcnt(0)
	v_mul_f32_e32 v130, v131, v130
	buffer_store_dword v130, off, s[0:3], 0 offset:148
.LBB53_156:
	s_or_b64 exec, exec, s[10:11]
	buffer_load_dword v130, off, s[0:3], 0 offset:144
	v_cmp_lt_u32_e64 s[4:5], 36, v0
	s_waitcnt vmcnt(0)
	ds_write_b32 v110, v130
	s_waitcnt lgkmcnt(0)
	; wave barrier
	s_waitcnt lgkmcnt(0)
	s_and_saveexec_b64 s[10:11], s[4:5]
	s_cbranch_execz .LBB53_166
; %bb.157:
	s_andn2_b64 vcc, exec, s[8:9]
	s_cbranch_vccnz .LBB53_159
; %bb.158:
	buffer_load_dword v130, v111, s[0:3], 0 offen
	ds_read_b32 v131, v110
	s_waitcnt vmcnt(0) lgkmcnt(0)
	v_mul_f32_e32 v130, v130, v131
	s_cbranch_execz .LBB53_160
	s_branch .LBB53_161
.LBB53_159:
                                        ; implicit-def: $vgpr130
.LBB53_160:
	ds_read_b32 v130, v110
.LBB53_161:
	s_and_saveexec_b64 s[12:13], s[6:7]
	s_cbranch_execz .LBB53_165
; %bb.162:
	v_mov_b32_e32 v131, 0
	v_add_u32_e32 v131, 0x94, v131
	v_subrev_u32_e32 v132, 37, v0
	s_movk_i32 s14, 0x174
	s_mov_b64 s[6:7], 0
.LBB53_163:                             ; =>This Inner Loop Header: Depth=1
	buffer_load_dword v133, v131, s[0:3], 0 offen
	v_mov_b32_e32 v134, s14
	ds_read_b32 v134, v134
	v_add_u32_e32 v132, -1, v132
	s_add_i32 s14, s14, 4
	v_cmp_eq_u32_e32 vcc, 0, v132
	v_add_u32_e32 v131, 4, v131
	s_or_b64 s[6:7], vcc, s[6:7]
	s_waitcnt vmcnt(0) lgkmcnt(0)
	v_fmac_f32_e32 v130, v133, v134
	s_andn2_b64 exec, exec, s[6:7]
	s_cbranch_execnz .LBB53_163
; %bb.164:
	s_or_b64 exec, exec, s[6:7]
.LBB53_165:
	s_or_b64 exec, exec, s[12:13]
	v_mov_b32_e32 v131, 0
	ds_read_b32 v131, v131 offset:144
	s_waitcnt lgkmcnt(0)
	v_mul_f32_e32 v130, v130, v131
	buffer_store_dword v130, off, s[0:3], 0 offset:144
.LBB53_166:
	s_or_b64 exec, exec, s[10:11]
	buffer_load_dword v130, off, s[0:3], 0 offset:140
	v_cmp_lt_u32_e64 s[6:7], 35, v0
	s_waitcnt vmcnt(0)
	ds_write_b32 v110, v130
	s_waitcnt lgkmcnt(0)
	; wave barrier
	s_waitcnt lgkmcnt(0)
	s_and_saveexec_b64 s[10:11], s[6:7]
	s_cbranch_execz .LBB53_176
; %bb.167:
	s_andn2_b64 vcc, exec, s[8:9]
	s_cbranch_vccnz .LBB53_169
; %bb.168:
	buffer_load_dword v130, v111, s[0:3], 0 offen
	ds_read_b32 v131, v110
	s_waitcnt vmcnt(0) lgkmcnt(0)
	v_mul_f32_e32 v130, v130, v131
	s_cbranch_execz .LBB53_170
	s_branch .LBB53_171
.LBB53_169:
                                        ; implicit-def: $vgpr130
.LBB53_170:
	ds_read_b32 v130, v110
.LBB53_171:
	s_and_saveexec_b64 s[12:13], s[4:5]
	s_cbranch_execz .LBB53_175
; %bb.172:
	v_subrev_u32_e32 v131, 36, v0
	s_movk_i32 s14, 0x170
	s_mov_b64 s[4:5], 0
.LBB53_173:                             ; =>This Inner Loop Header: Depth=1
	buffer_load_dword v132, v129, s[0:3], 0 offen
	v_mov_b32_e32 v133, s14
	ds_read_b32 v133, v133
	v_add_u32_e32 v131, -1, v131
	s_add_i32 s14, s14, 4
	v_cmp_eq_u32_e32 vcc, 0, v131
	v_add_u32_e32 v129, 4, v129
	s_or_b64 s[4:5], vcc, s[4:5]
	s_waitcnt vmcnt(0) lgkmcnt(0)
	v_fmac_f32_e32 v130, v132, v133
	s_andn2_b64 exec, exec, s[4:5]
	s_cbranch_execnz .LBB53_173
; %bb.174:
	s_or_b64 exec, exec, s[4:5]
.LBB53_175:
	s_or_b64 exec, exec, s[12:13]
	v_mov_b32_e32 v129, 0
	ds_read_b32 v129, v129 offset:140
	s_waitcnt lgkmcnt(0)
	v_mul_f32_e32 v129, v130, v129
	buffer_store_dword v129, off, s[0:3], 0 offset:140
.LBB53_176:
	s_or_b64 exec, exec, s[10:11]
	buffer_load_dword v129, off, s[0:3], 0 offset:136
	v_cmp_lt_u32_e64 s[4:5], 34, v0
	s_waitcnt vmcnt(0)
	ds_write_b32 v110, v129
	s_waitcnt lgkmcnt(0)
	; wave barrier
	s_waitcnt lgkmcnt(0)
	s_and_saveexec_b64 s[10:11], s[4:5]
	s_cbranch_execz .LBB53_186
; %bb.177:
	s_andn2_b64 vcc, exec, s[8:9]
	s_cbranch_vccnz .LBB53_179
; %bb.178:
	buffer_load_dword v129, v111, s[0:3], 0 offen
	ds_read_b32 v130, v110
	s_waitcnt vmcnt(0) lgkmcnt(0)
	v_mul_f32_e32 v129, v129, v130
	s_cbranch_execz .LBB53_180
	s_branch .LBB53_181
.LBB53_179:
                                        ; implicit-def: $vgpr129
.LBB53_180:
	ds_read_b32 v129, v110
.LBB53_181:
	s_and_saveexec_b64 s[12:13], s[6:7]
	s_cbranch_execz .LBB53_185
; %bb.182:
	v_mov_b32_e32 v130, 0
	v_add_u32_e32 v130, 0x8c, v130
	v_subrev_u32_e32 v131, 35, v0
	s_movk_i32 s14, 0x16c
	s_mov_b64 s[6:7], 0
.LBB53_183:                             ; =>This Inner Loop Header: Depth=1
	buffer_load_dword v132, v130, s[0:3], 0 offen
	v_mov_b32_e32 v133, s14
	ds_read_b32 v133, v133
	v_add_u32_e32 v131, -1, v131
	s_add_i32 s14, s14, 4
	v_cmp_eq_u32_e32 vcc, 0, v131
	v_add_u32_e32 v130, 4, v130
	s_or_b64 s[6:7], vcc, s[6:7]
	s_waitcnt vmcnt(0) lgkmcnt(0)
	v_fmac_f32_e32 v129, v132, v133
	s_andn2_b64 exec, exec, s[6:7]
	s_cbranch_execnz .LBB53_183
; %bb.184:
	s_or_b64 exec, exec, s[6:7]
.LBB53_185:
	s_or_b64 exec, exec, s[12:13]
	v_mov_b32_e32 v130, 0
	ds_read_b32 v130, v130 offset:136
	s_waitcnt lgkmcnt(0)
	v_mul_f32_e32 v129, v129, v130
	buffer_store_dword v129, off, s[0:3], 0 offset:136
.LBB53_186:
	s_or_b64 exec, exec, s[10:11]
	buffer_load_dword v129, off, s[0:3], 0 offset:132
	v_cmp_lt_u32_e64 s[6:7], 33, v0
	s_waitcnt vmcnt(0)
	ds_write_b32 v110, v129
	s_waitcnt lgkmcnt(0)
	; wave barrier
	s_waitcnt lgkmcnt(0)
	s_and_saveexec_b64 s[10:11], s[6:7]
	s_cbranch_execz .LBB53_196
; %bb.187:
	s_andn2_b64 vcc, exec, s[8:9]
	s_cbranch_vccnz .LBB53_189
; %bb.188:
	buffer_load_dword v129, v111, s[0:3], 0 offen
	ds_read_b32 v130, v110
	s_waitcnt vmcnt(0) lgkmcnt(0)
	v_mul_f32_e32 v129, v129, v130
	s_cbranch_execz .LBB53_190
	s_branch .LBB53_191
.LBB53_189:
                                        ; implicit-def: $vgpr129
.LBB53_190:
	ds_read_b32 v129, v110
.LBB53_191:
	s_and_saveexec_b64 s[12:13], s[4:5]
	s_cbranch_execz .LBB53_195
; %bb.192:
	v_subrev_u32_e32 v130, 34, v0
	s_movk_i32 s14, 0x168
	s_mov_b64 s[4:5], 0
.LBB53_193:                             ; =>This Inner Loop Header: Depth=1
	buffer_load_dword v131, v128, s[0:3], 0 offen
	v_mov_b32_e32 v132, s14
	ds_read_b32 v132, v132
	v_add_u32_e32 v130, -1, v130
	s_add_i32 s14, s14, 4
	v_cmp_eq_u32_e32 vcc, 0, v130
	v_add_u32_e32 v128, 4, v128
	s_or_b64 s[4:5], vcc, s[4:5]
	s_waitcnt vmcnt(0) lgkmcnt(0)
	v_fmac_f32_e32 v129, v131, v132
	s_andn2_b64 exec, exec, s[4:5]
	s_cbranch_execnz .LBB53_193
; %bb.194:
	s_or_b64 exec, exec, s[4:5]
.LBB53_195:
	s_or_b64 exec, exec, s[12:13]
	v_mov_b32_e32 v128, 0
	ds_read_b32 v128, v128 offset:132
	s_waitcnt lgkmcnt(0)
	v_mul_f32_e32 v128, v129, v128
	buffer_store_dword v128, off, s[0:3], 0 offset:132
.LBB53_196:
	s_or_b64 exec, exec, s[10:11]
	buffer_load_dword v128, off, s[0:3], 0 offset:128
	v_cmp_lt_u32_e64 s[4:5], 32, v0
	s_waitcnt vmcnt(0)
	ds_write_b32 v110, v128
	s_waitcnt lgkmcnt(0)
	; wave barrier
	s_waitcnt lgkmcnt(0)
	s_and_saveexec_b64 s[10:11], s[4:5]
	s_cbranch_execz .LBB53_206
; %bb.197:
	s_andn2_b64 vcc, exec, s[8:9]
	s_cbranch_vccnz .LBB53_199
; %bb.198:
	buffer_load_dword v128, v111, s[0:3], 0 offen
	ds_read_b32 v129, v110
	s_waitcnt vmcnt(0) lgkmcnt(0)
	v_mul_f32_e32 v128, v128, v129
	s_cbranch_execz .LBB53_200
	s_branch .LBB53_201
.LBB53_199:
                                        ; implicit-def: $vgpr128
.LBB53_200:
	ds_read_b32 v128, v110
.LBB53_201:
	s_and_saveexec_b64 s[12:13], s[6:7]
	s_cbranch_execz .LBB53_205
; %bb.202:
	v_mov_b32_e32 v129, 0
	v_add_u32_e32 v129, 0x84, v129
	v_subrev_u32_e32 v130, 33, v0
	s_movk_i32 s14, 0x164
	s_mov_b64 s[6:7], 0
.LBB53_203:                             ; =>This Inner Loop Header: Depth=1
	buffer_load_dword v131, v129, s[0:3], 0 offen
	v_mov_b32_e32 v132, s14
	ds_read_b32 v132, v132
	v_add_u32_e32 v130, -1, v130
	s_add_i32 s14, s14, 4
	v_cmp_eq_u32_e32 vcc, 0, v130
	v_add_u32_e32 v129, 4, v129
	s_or_b64 s[6:7], vcc, s[6:7]
	s_waitcnt vmcnt(0) lgkmcnt(0)
	v_fmac_f32_e32 v128, v131, v132
	s_andn2_b64 exec, exec, s[6:7]
	s_cbranch_execnz .LBB53_203
; %bb.204:
	s_or_b64 exec, exec, s[6:7]
.LBB53_205:
	s_or_b64 exec, exec, s[12:13]
	v_mov_b32_e32 v129, 0
	ds_read_b32 v129, v129 offset:128
	s_waitcnt lgkmcnt(0)
	v_mul_f32_e32 v128, v128, v129
	buffer_store_dword v128, off, s[0:3], 0 offset:128
.LBB53_206:
	s_or_b64 exec, exec, s[10:11]
	buffer_load_dword v128, off, s[0:3], 0 offset:124
	v_cmp_lt_u32_e64 s[6:7], 31, v0
	s_waitcnt vmcnt(0)
	ds_write_b32 v110, v128
	s_waitcnt lgkmcnt(0)
	; wave barrier
	s_waitcnt lgkmcnt(0)
	s_and_saveexec_b64 s[10:11], s[6:7]
	s_cbranch_execz .LBB53_216
; %bb.207:
	s_andn2_b64 vcc, exec, s[8:9]
	s_cbranch_vccnz .LBB53_209
; %bb.208:
	buffer_load_dword v128, v111, s[0:3], 0 offen
	ds_read_b32 v129, v110
	s_waitcnt vmcnt(0) lgkmcnt(0)
	v_mul_f32_e32 v128, v128, v129
	s_cbranch_execz .LBB53_210
	s_branch .LBB53_211
.LBB53_209:
                                        ; implicit-def: $vgpr128
.LBB53_210:
	ds_read_b32 v128, v110
.LBB53_211:
	s_and_saveexec_b64 s[12:13], s[4:5]
	s_cbranch_execz .LBB53_215
; %bb.212:
	v_subrev_u32_e32 v129, 32, v0
	s_movk_i32 s14, 0x160
	s_mov_b64 s[4:5], 0
.LBB53_213:                             ; =>This Inner Loop Header: Depth=1
	buffer_load_dword v130, v127, s[0:3], 0 offen
	v_mov_b32_e32 v131, s14
	ds_read_b32 v131, v131
	v_add_u32_e32 v129, -1, v129
	s_add_i32 s14, s14, 4
	v_cmp_eq_u32_e32 vcc, 0, v129
	v_add_u32_e32 v127, 4, v127
	s_or_b64 s[4:5], vcc, s[4:5]
	s_waitcnt vmcnt(0) lgkmcnt(0)
	v_fmac_f32_e32 v128, v130, v131
	s_andn2_b64 exec, exec, s[4:5]
	s_cbranch_execnz .LBB53_213
; %bb.214:
	s_or_b64 exec, exec, s[4:5]
.LBB53_215:
	s_or_b64 exec, exec, s[12:13]
	v_mov_b32_e32 v127, 0
	ds_read_b32 v127, v127 offset:124
	s_waitcnt lgkmcnt(0)
	v_mul_f32_e32 v127, v128, v127
	buffer_store_dword v127, off, s[0:3], 0 offset:124
.LBB53_216:
	s_or_b64 exec, exec, s[10:11]
	buffer_load_dword v127, off, s[0:3], 0 offset:120
	v_cmp_lt_u32_e64 s[4:5], 30, v0
	s_waitcnt vmcnt(0)
	ds_write_b32 v110, v127
	s_waitcnt lgkmcnt(0)
	; wave barrier
	s_waitcnt lgkmcnt(0)
	s_and_saveexec_b64 s[10:11], s[4:5]
	s_cbranch_execz .LBB53_226
; %bb.217:
	s_andn2_b64 vcc, exec, s[8:9]
	s_cbranch_vccnz .LBB53_219
; %bb.218:
	buffer_load_dword v127, v111, s[0:3], 0 offen
	ds_read_b32 v128, v110
	s_waitcnt vmcnt(0) lgkmcnt(0)
	v_mul_f32_e32 v127, v127, v128
	s_cbranch_execz .LBB53_220
	s_branch .LBB53_221
.LBB53_219:
                                        ; implicit-def: $vgpr127
.LBB53_220:
	ds_read_b32 v127, v110
.LBB53_221:
	s_and_saveexec_b64 s[12:13], s[6:7]
	s_cbranch_execz .LBB53_225
; %bb.222:
	v_mov_b32_e32 v128, 0
	v_add_u32_e32 v128, 0x7c, v128
	v_subrev_u32_e32 v129, 31, v0
	s_movk_i32 s14, 0x15c
	s_mov_b64 s[6:7], 0
.LBB53_223:                             ; =>This Inner Loop Header: Depth=1
	buffer_load_dword v130, v128, s[0:3], 0 offen
	v_mov_b32_e32 v131, s14
	ds_read_b32 v131, v131
	v_add_u32_e32 v129, -1, v129
	s_add_i32 s14, s14, 4
	v_cmp_eq_u32_e32 vcc, 0, v129
	v_add_u32_e32 v128, 4, v128
	s_or_b64 s[6:7], vcc, s[6:7]
	s_waitcnt vmcnt(0) lgkmcnt(0)
	v_fmac_f32_e32 v127, v130, v131
	s_andn2_b64 exec, exec, s[6:7]
	s_cbranch_execnz .LBB53_223
; %bb.224:
	s_or_b64 exec, exec, s[6:7]
.LBB53_225:
	s_or_b64 exec, exec, s[12:13]
	v_mov_b32_e32 v128, 0
	ds_read_b32 v128, v128 offset:120
	s_waitcnt lgkmcnt(0)
	v_mul_f32_e32 v127, v127, v128
	buffer_store_dword v127, off, s[0:3], 0 offset:120
.LBB53_226:
	s_or_b64 exec, exec, s[10:11]
	buffer_load_dword v127, off, s[0:3], 0 offset:116
	v_cmp_lt_u32_e64 s[6:7], 29, v0
	s_waitcnt vmcnt(0)
	ds_write_b32 v110, v127
	s_waitcnt lgkmcnt(0)
	; wave barrier
	s_waitcnt lgkmcnt(0)
	s_and_saveexec_b64 s[10:11], s[6:7]
	s_cbranch_execz .LBB53_236
; %bb.227:
	s_andn2_b64 vcc, exec, s[8:9]
	s_cbranch_vccnz .LBB53_229
; %bb.228:
	buffer_load_dword v127, v111, s[0:3], 0 offen
	ds_read_b32 v128, v110
	s_waitcnt vmcnt(0) lgkmcnt(0)
	v_mul_f32_e32 v127, v127, v128
	s_cbranch_execz .LBB53_230
	s_branch .LBB53_231
.LBB53_229:
                                        ; implicit-def: $vgpr127
.LBB53_230:
	ds_read_b32 v127, v110
.LBB53_231:
	s_and_saveexec_b64 s[12:13], s[4:5]
	s_cbranch_execz .LBB53_235
; %bb.232:
	v_subrev_u32_e32 v128, 30, v0
	s_movk_i32 s14, 0x158
	s_mov_b64 s[4:5], 0
.LBB53_233:                             ; =>This Inner Loop Header: Depth=1
	buffer_load_dword v129, v126, s[0:3], 0 offen
	v_mov_b32_e32 v130, s14
	ds_read_b32 v130, v130
	v_add_u32_e32 v128, -1, v128
	s_add_i32 s14, s14, 4
	v_cmp_eq_u32_e32 vcc, 0, v128
	v_add_u32_e32 v126, 4, v126
	s_or_b64 s[4:5], vcc, s[4:5]
	s_waitcnt vmcnt(0) lgkmcnt(0)
	v_fmac_f32_e32 v127, v129, v130
	s_andn2_b64 exec, exec, s[4:5]
	s_cbranch_execnz .LBB53_233
; %bb.234:
	s_or_b64 exec, exec, s[4:5]
.LBB53_235:
	s_or_b64 exec, exec, s[12:13]
	v_mov_b32_e32 v126, 0
	ds_read_b32 v126, v126 offset:116
	s_waitcnt lgkmcnt(0)
	v_mul_f32_e32 v126, v127, v126
	buffer_store_dword v126, off, s[0:3], 0 offset:116
.LBB53_236:
	s_or_b64 exec, exec, s[10:11]
	buffer_load_dword v126, off, s[0:3], 0 offset:112
	v_cmp_lt_u32_e64 s[4:5], 28, v0
	s_waitcnt vmcnt(0)
	ds_write_b32 v110, v126
	s_waitcnt lgkmcnt(0)
	; wave barrier
	s_waitcnt lgkmcnt(0)
	s_and_saveexec_b64 s[10:11], s[4:5]
	s_cbranch_execz .LBB53_246
; %bb.237:
	s_andn2_b64 vcc, exec, s[8:9]
	s_cbranch_vccnz .LBB53_239
; %bb.238:
	buffer_load_dword v126, v111, s[0:3], 0 offen
	ds_read_b32 v127, v110
	s_waitcnt vmcnt(0) lgkmcnt(0)
	v_mul_f32_e32 v126, v126, v127
	s_cbranch_execz .LBB53_240
	s_branch .LBB53_241
.LBB53_239:
                                        ; implicit-def: $vgpr126
.LBB53_240:
	ds_read_b32 v126, v110
.LBB53_241:
	s_and_saveexec_b64 s[12:13], s[6:7]
	s_cbranch_execz .LBB53_245
; %bb.242:
	v_mov_b32_e32 v127, 0
	v_add_u32_e32 v127, 0x74, v127
	v_subrev_u32_e32 v128, 29, v0
	s_movk_i32 s14, 0x154
	s_mov_b64 s[6:7], 0
.LBB53_243:                             ; =>This Inner Loop Header: Depth=1
	buffer_load_dword v129, v127, s[0:3], 0 offen
	v_mov_b32_e32 v130, s14
	ds_read_b32 v130, v130
	v_add_u32_e32 v128, -1, v128
	s_add_i32 s14, s14, 4
	v_cmp_eq_u32_e32 vcc, 0, v128
	v_add_u32_e32 v127, 4, v127
	s_or_b64 s[6:7], vcc, s[6:7]
	s_waitcnt vmcnt(0) lgkmcnt(0)
	v_fmac_f32_e32 v126, v129, v130
	s_andn2_b64 exec, exec, s[6:7]
	s_cbranch_execnz .LBB53_243
; %bb.244:
	s_or_b64 exec, exec, s[6:7]
.LBB53_245:
	s_or_b64 exec, exec, s[12:13]
	v_mov_b32_e32 v127, 0
	ds_read_b32 v127, v127 offset:112
	s_waitcnt lgkmcnt(0)
	v_mul_f32_e32 v126, v126, v127
	buffer_store_dword v126, off, s[0:3], 0 offset:112
.LBB53_246:
	s_or_b64 exec, exec, s[10:11]
	buffer_load_dword v126, off, s[0:3], 0 offset:108
	v_cmp_lt_u32_e64 s[6:7], 27, v0
	s_waitcnt vmcnt(0)
	ds_write_b32 v110, v126
	s_waitcnt lgkmcnt(0)
	; wave barrier
	s_waitcnt lgkmcnt(0)
	s_and_saveexec_b64 s[10:11], s[6:7]
	s_cbranch_execz .LBB53_256
; %bb.247:
	s_andn2_b64 vcc, exec, s[8:9]
	s_cbranch_vccnz .LBB53_249
; %bb.248:
	buffer_load_dword v126, v111, s[0:3], 0 offen
	ds_read_b32 v127, v110
	s_waitcnt vmcnt(0) lgkmcnt(0)
	v_mul_f32_e32 v126, v126, v127
	s_cbranch_execz .LBB53_250
	s_branch .LBB53_251
.LBB53_249:
                                        ; implicit-def: $vgpr126
.LBB53_250:
	ds_read_b32 v126, v110
.LBB53_251:
	s_and_saveexec_b64 s[12:13], s[4:5]
	s_cbranch_execz .LBB53_255
; %bb.252:
	v_subrev_u32_e32 v127, 28, v0
	s_movk_i32 s14, 0x150
	s_mov_b64 s[4:5], 0
.LBB53_253:                             ; =>This Inner Loop Header: Depth=1
	buffer_load_dword v128, v125, s[0:3], 0 offen
	v_mov_b32_e32 v129, s14
	ds_read_b32 v129, v129
	v_add_u32_e32 v127, -1, v127
	s_add_i32 s14, s14, 4
	v_cmp_eq_u32_e32 vcc, 0, v127
	v_add_u32_e32 v125, 4, v125
	s_or_b64 s[4:5], vcc, s[4:5]
	s_waitcnt vmcnt(0) lgkmcnt(0)
	v_fmac_f32_e32 v126, v128, v129
	s_andn2_b64 exec, exec, s[4:5]
	s_cbranch_execnz .LBB53_253
; %bb.254:
	s_or_b64 exec, exec, s[4:5]
.LBB53_255:
	s_or_b64 exec, exec, s[12:13]
	v_mov_b32_e32 v125, 0
	ds_read_b32 v125, v125 offset:108
	s_waitcnt lgkmcnt(0)
	v_mul_f32_e32 v125, v126, v125
	buffer_store_dword v125, off, s[0:3], 0 offset:108
.LBB53_256:
	s_or_b64 exec, exec, s[10:11]
	buffer_load_dword v125, off, s[0:3], 0 offset:104
	v_cmp_lt_u32_e64 s[4:5], 26, v0
	s_waitcnt vmcnt(0)
	ds_write_b32 v110, v125
	s_waitcnt lgkmcnt(0)
	; wave barrier
	s_waitcnt lgkmcnt(0)
	s_and_saveexec_b64 s[10:11], s[4:5]
	s_cbranch_execz .LBB53_266
; %bb.257:
	s_andn2_b64 vcc, exec, s[8:9]
	s_cbranch_vccnz .LBB53_259
; %bb.258:
	buffer_load_dword v125, v111, s[0:3], 0 offen
	ds_read_b32 v126, v110
	s_waitcnt vmcnt(0) lgkmcnt(0)
	v_mul_f32_e32 v125, v125, v126
	s_cbranch_execz .LBB53_260
	s_branch .LBB53_261
.LBB53_259:
                                        ; implicit-def: $vgpr125
.LBB53_260:
	ds_read_b32 v125, v110
.LBB53_261:
	s_and_saveexec_b64 s[12:13], s[6:7]
	s_cbranch_execz .LBB53_265
; %bb.262:
	v_mov_b32_e32 v126, 0
	v_add_u32_e32 v126, 0x6c, v126
	v_subrev_u32_e32 v127, 27, v0
	s_movk_i32 s14, 0x14c
	s_mov_b64 s[6:7], 0
.LBB53_263:                             ; =>This Inner Loop Header: Depth=1
	buffer_load_dword v128, v126, s[0:3], 0 offen
	v_mov_b32_e32 v129, s14
	ds_read_b32 v129, v129
	v_add_u32_e32 v127, -1, v127
	s_add_i32 s14, s14, 4
	v_cmp_eq_u32_e32 vcc, 0, v127
	v_add_u32_e32 v126, 4, v126
	s_or_b64 s[6:7], vcc, s[6:7]
	s_waitcnt vmcnt(0) lgkmcnt(0)
	v_fmac_f32_e32 v125, v128, v129
	s_andn2_b64 exec, exec, s[6:7]
	s_cbranch_execnz .LBB53_263
; %bb.264:
	s_or_b64 exec, exec, s[6:7]
.LBB53_265:
	s_or_b64 exec, exec, s[12:13]
	v_mov_b32_e32 v126, 0
	ds_read_b32 v126, v126 offset:104
	s_waitcnt lgkmcnt(0)
	v_mul_f32_e32 v125, v125, v126
	buffer_store_dword v125, off, s[0:3], 0 offset:104
.LBB53_266:
	s_or_b64 exec, exec, s[10:11]
	buffer_load_dword v125, off, s[0:3], 0 offset:100
	v_cmp_lt_u32_e64 s[6:7], 25, v0
	s_waitcnt vmcnt(0)
	ds_write_b32 v110, v125
	s_waitcnt lgkmcnt(0)
	; wave barrier
	s_waitcnt lgkmcnt(0)
	s_and_saveexec_b64 s[10:11], s[6:7]
	s_cbranch_execz .LBB53_276
; %bb.267:
	s_andn2_b64 vcc, exec, s[8:9]
	s_cbranch_vccnz .LBB53_269
; %bb.268:
	buffer_load_dword v125, v111, s[0:3], 0 offen
	ds_read_b32 v126, v110
	s_waitcnt vmcnt(0) lgkmcnt(0)
	v_mul_f32_e32 v125, v125, v126
	s_cbranch_execz .LBB53_270
	s_branch .LBB53_271
.LBB53_269:
                                        ; implicit-def: $vgpr125
.LBB53_270:
	ds_read_b32 v125, v110
.LBB53_271:
	s_and_saveexec_b64 s[12:13], s[4:5]
	s_cbranch_execz .LBB53_275
; %bb.272:
	v_subrev_u32_e32 v126, 26, v0
	s_movk_i32 s14, 0x148
	s_mov_b64 s[4:5], 0
.LBB53_273:                             ; =>This Inner Loop Header: Depth=1
	buffer_load_dword v127, v124, s[0:3], 0 offen
	v_mov_b32_e32 v128, s14
	ds_read_b32 v128, v128
	v_add_u32_e32 v126, -1, v126
	s_add_i32 s14, s14, 4
	v_cmp_eq_u32_e32 vcc, 0, v126
	v_add_u32_e32 v124, 4, v124
	s_or_b64 s[4:5], vcc, s[4:5]
	s_waitcnt vmcnt(0) lgkmcnt(0)
	v_fmac_f32_e32 v125, v127, v128
	s_andn2_b64 exec, exec, s[4:5]
	s_cbranch_execnz .LBB53_273
; %bb.274:
	s_or_b64 exec, exec, s[4:5]
.LBB53_275:
	s_or_b64 exec, exec, s[12:13]
	v_mov_b32_e32 v124, 0
	ds_read_b32 v124, v124 offset:100
	s_waitcnt lgkmcnt(0)
	v_mul_f32_e32 v124, v125, v124
	buffer_store_dword v124, off, s[0:3], 0 offset:100
.LBB53_276:
	s_or_b64 exec, exec, s[10:11]
	buffer_load_dword v124, off, s[0:3], 0 offset:96
	v_cmp_lt_u32_e64 s[4:5], 24, v0
	s_waitcnt vmcnt(0)
	ds_write_b32 v110, v124
	s_waitcnt lgkmcnt(0)
	; wave barrier
	s_waitcnt lgkmcnt(0)
	s_and_saveexec_b64 s[10:11], s[4:5]
	s_cbranch_execz .LBB53_286
; %bb.277:
	s_andn2_b64 vcc, exec, s[8:9]
	s_cbranch_vccnz .LBB53_279
; %bb.278:
	buffer_load_dword v124, v111, s[0:3], 0 offen
	ds_read_b32 v125, v110
	s_waitcnt vmcnt(0) lgkmcnt(0)
	v_mul_f32_e32 v124, v124, v125
	s_cbranch_execz .LBB53_280
	s_branch .LBB53_281
.LBB53_279:
                                        ; implicit-def: $vgpr124
.LBB53_280:
	ds_read_b32 v124, v110
.LBB53_281:
	s_and_saveexec_b64 s[12:13], s[6:7]
	s_cbranch_execz .LBB53_285
; %bb.282:
	v_mov_b32_e32 v125, 0
	v_add_u32_e32 v125, 0x64, v125
	v_subrev_u32_e32 v126, 25, v0
	s_movk_i32 s14, 0x144
	s_mov_b64 s[6:7], 0
.LBB53_283:                             ; =>This Inner Loop Header: Depth=1
	buffer_load_dword v127, v125, s[0:3], 0 offen
	v_mov_b32_e32 v128, s14
	ds_read_b32 v128, v128
	v_add_u32_e32 v126, -1, v126
	s_add_i32 s14, s14, 4
	v_cmp_eq_u32_e32 vcc, 0, v126
	v_add_u32_e32 v125, 4, v125
	s_or_b64 s[6:7], vcc, s[6:7]
	s_waitcnt vmcnt(0) lgkmcnt(0)
	v_fmac_f32_e32 v124, v127, v128
	s_andn2_b64 exec, exec, s[6:7]
	s_cbranch_execnz .LBB53_283
; %bb.284:
	s_or_b64 exec, exec, s[6:7]
.LBB53_285:
	s_or_b64 exec, exec, s[12:13]
	v_mov_b32_e32 v125, 0
	ds_read_b32 v125, v125 offset:96
	s_waitcnt lgkmcnt(0)
	v_mul_f32_e32 v124, v124, v125
	buffer_store_dword v124, off, s[0:3], 0 offset:96
.LBB53_286:
	s_or_b64 exec, exec, s[10:11]
	buffer_load_dword v124, off, s[0:3], 0 offset:92
	v_cmp_lt_u32_e64 s[6:7], 23, v0
	s_waitcnt vmcnt(0)
	ds_write_b32 v110, v124
	s_waitcnt lgkmcnt(0)
	; wave barrier
	s_waitcnt lgkmcnt(0)
	s_and_saveexec_b64 s[10:11], s[6:7]
	s_cbranch_execz .LBB53_296
; %bb.287:
	s_andn2_b64 vcc, exec, s[8:9]
	s_cbranch_vccnz .LBB53_289
; %bb.288:
	buffer_load_dword v124, v111, s[0:3], 0 offen
	ds_read_b32 v125, v110
	s_waitcnt vmcnt(0) lgkmcnt(0)
	v_mul_f32_e32 v124, v124, v125
	s_cbranch_execz .LBB53_290
	s_branch .LBB53_291
.LBB53_289:
                                        ; implicit-def: $vgpr124
.LBB53_290:
	ds_read_b32 v124, v110
.LBB53_291:
	s_and_saveexec_b64 s[12:13], s[4:5]
	s_cbranch_execz .LBB53_295
; %bb.292:
	v_subrev_u32_e32 v125, 24, v0
	s_movk_i32 s14, 0x140
	s_mov_b64 s[4:5], 0
.LBB53_293:                             ; =>This Inner Loop Header: Depth=1
	buffer_load_dword v126, v123, s[0:3], 0 offen
	v_mov_b32_e32 v127, s14
	ds_read_b32 v127, v127
	v_add_u32_e32 v125, -1, v125
	s_add_i32 s14, s14, 4
	v_cmp_eq_u32_e32 vcc, 0, v125
	v_add_u32_e32 v123, 4, v123
	s_or_b64 s[4:5], vcc, s[4:5]
	s_waitcnt vmcnt(0) lgkmcnt(0)
	v_fmac_f32_e32 v124, v126, v127
	s_andn2_b64 exec, exec, s[4:5]
	s_cbranch_execnz .LBB53_293
; %bb.294:
	s_or_b64 exec, exec, s[4:5]
.LBB53_295:
	s_or_b64 exec, exec, s[12:13]
	v_mov_b32_e32 v123, 0
	ds_read_b32 v123, v123 offset:92
	s_waitcnt lgkmcnt(0)
	v_mul_f32_e32 v123, v124, v123
	buffer_store_dword v123, off, s[0:3], 0 offset:92
.LBB53_296:
	s_or_b64 exec, exec, s[10:11]
	buffer_load_dword v123, off, s[0:3], 0 offset:88
	v_cmp_lt_u32_e64 s[4:5], 22, v0
	s_waitcnt vmcnt(0)
	ds_write_b32 v110, v123
	s_waitcnt lgkmcnt(0)
	; wave barrier
	s_waitcnt lgkmcnt(0)
	s_and_saveexec_b64 s[10:11], s[4:5]
	s_cbranch_execz .LBB53_306
; %bb.297:
	s_andn2_b64 vcc, exec, s[8:9]
	s_cbranch_vccnz .LBB53_299
; %bb.298:
	buffer_load_dword v123, v111, s[0:3], 0 offen
	ds_read_b32 v124, v110
	s_waitcnt vmcnt(0) lgkmcnt(0)
	v_mul_f32_e32 v123, v123, v124
	s_cbranch_execz .LBB53_300
	s_branch .LBB53_301
.LBB53_299:
                                        ; implicit-def: $vgpr123
.LBB53_300:
	ds_read_b32 v123, v110
.LBB53_301:
	s_and_saveexec_b64 s[12:13], s[6:7]
	s_cbranch_execz .LBB53_305
; %bb.302:
	v_mov_b32_e32 v124, 0
	v_add_u32_e32 v124, 0x5c, v124
	v_subrev_u32_e32 v125, 23, v0
	s_movk_i32 s14, 0x13c
	s_mov_b64 s[6:7], 0
.LBB53_303:                             ; =>This Inner Loop Header: Depth=1
	buffer_load_dword v126, v124, s[0:3], 0 offen
	v_mov_b32_e32 v127, s14
	ds_read_b32 v127, v127
	v_add_u32_e32 v125, -1, v125
	s_add_i32 s14, s14, 4
	v_cmp_eq_u32_e32 vcc, 0, v125
	v_add_u32_e32 v124, 4, v124
	s_or_b64 s[6:7], vcc, s[6:7]
	s_waitcnt vmcnt(0) lgkmcnt(0)
	v_fmac_f32_e32 v123, v126, v127
	s_andn2_b64 exec, exec, s[6:7]
	s_cbranch_execnz .LBB53_303
; %bb.304:
	s_or_b64 exec, exec, s[6:7]
.LBB53_305:
	s_or_b64 exec, exec, s[12:13]
	v_mov_b32_e32 v124, 0
	ds_read_b32 v124, v124 offset:88
	s_waitcnt lgkmcnt(0)
	v_mul_f32_e32 v123, v123, v124
	buffer_store_dword v123, off, s[0:3], 0 offset:88
.LBB53_306:
	s_or_b64 exec, exec, s[10:11]
	buffer_load_dword v123, off, s[0:3], 0 offset:84
	v_cmp_lt_u32_e64 s[6:7], 21, v0
	s_waitcnt vmcnt(0)
	ds_write_b32 v110, v123
	s_waitcnt lgkmcnt(0)
	; wave barrier
	s_waitcnt lgkmcnt(0)
	s_and_saveexec_b64 s[10:11], s[6:7]
	s_cbranch_execz .LBB53_316
; %bb.307:
	s_andn2_b64 vcc, exec, s[8:9]
	s_cbranch_vccnz .LBB53_309
; %bb.308:
	buffer_load_dword v123, v111, s[0:3], 0 offen
	ds_read_b32 v124, v110
	s_waitcnt vmcnt(0) lgkmcnt(0)
	v_mul_f32_e32 v123, v123, v124
	s_cbranch_execz .LBB53_310
	s_branch .LBB53_311
.LBB53_309:
                                        ; implicit-def: $vgpr123
.LBB53_310:
	ds_read_b32 v123, v110
.LBB53_311:
	s_and_saveexec_b64 s[12:13], s[4:5]
	s_cbranch_execz .LBB53_315
; %bb.312:
	v_subrev_u32_e32 v124, 22, v0
	s_movk_i32 s14, 0x138
	s_mov_b64 s[4:5], 0
.LBB53_313:                             ; =>This Inner Loop Header: Depth=1
	buffer_load_dword v125, v122, s[0:3], 0 offen
	v_mov_b32_e32 v126, s14
	ds_read_b32 v126, v126
	v_add_u32_e32 v124, -1, v124
	s_add_i32 s14, s14, 4
	v_cmp_eq_u32_e32 vcc, 0, v124
	v_add_u32_e32 v122, 4, v122
	s_or_b64 s[4:5], vcc, s[4:5]
	s_waitcnt vmcnt(0) lgkmcnt(0)
	v_fmac_f32_e32 v123, v125, v126
	s_andn2_b64 exec, exec, s[4:5]
	s_cbranch_execnz .LBB53_313
; %bb.314:
	s_or_b64 exec, exec, s[4:5]
.LBB53_315:
	s_or_b64 exec, exec, s[12:13]
	v_mov_b32_e32 v122, 0
	ds_read_b32 v122, v122 offset:84
	s_waitcnt lgkmcnt(0)
	v_mul_f32_e32 v122, v123, v122
	buffer_store_dword v122, off, s[0:3], 0 offset:84
.LBB53_316:
	s_or_b64 exec, exec, s[10:11]
	buffer_load_dword v122, off, s[0:3], 0 offset:80
	v_cmp_lt_u32_e64 s[4:5], 20, v0
	s_waitcnt vmcnt(0)
	ds_write_b32 v110, v122
	s_waitcnt lgkmcnt(0)
	; wave barrier
	s_waitcnt lgkmcnt(0)
	s_and_saveexec_b64 s[10:11], s[4:5]
	s_cbranch_execz .LBB53_326
; %bb.317:
	s_andn2_b64 vcc, exec, s[8:9]
	s_cbranch_vccnz .LBB53_319
; %bb.318:
	buffer_load_dword v122, v111, s[0:3], 0 offen
	ds_read_b32 v123, v110
	s_waitcnt vmcnt(0) lgkmcnt(0)
	v_mul_f32_e32 v122, v122, v123
	s_cbranch_execz .LBB53_320
	s_branch .LBB53_321
.LBB53_319:
                                        ; implicit-def: $vgpr122
.LBB53_320:
	ds_read_b32 v122, v110
.LBB53_321:
	s_and_saveexec_b64 s[12:13], s[6:7]
	s_cbranch_execz .LBB53_325
; %bb.322:
	v_mov_b32_e32 v123, 0
	v_add_u32_e32 v123, 0x54, v123
	v_subrev_u32_e32 v124, 21, v0
	s_movk_i32 s14, 0x134
	s_mov_b64 s[6:7], 0
.LBB53_323:                             ; =>This Inner Loop Header: Depth=1
	buffer_load_dword v125, v123, s[0:3], 0 offen
	v_mov_b32_e32 v126, s14
	ds_read_b32 v126, v126
	v_add_u32_e32 v124, -1, v124
	s_add_i32 s14, s14, 4
	v_cmp_eq_u32_e32 vcc, 0, v124
	v_add_u32_e32 v123, 4, v123
	s_or_b64 s[6:7], vcc, s[6:7]
	s_waitcnt vmcnt(0) lgkmcnt(0)
	v_fmac_f32_e32 v122, v125, v126
	s_andn2_b64 exec, exec, s[6:7]
	s_cbranch_execnz .LBB53_323
; %bb.324:
	s_or_b64 exec, exec, s[6:7]
.LBB53_325:
	s_or_b64 exec, exec, s[12:13]
	v_mov_b32_e32 v123, 0
	ds_read_b32 v123, v123 offset:80
	s_waitcnt lgkmcnt(0)
	v_mul_f32_e32 v122, v122, v123
	buffer_store_dword v122, off, s[0:3], 0 offset:80
.LBB53_326:
	s_or_b64 exec, exec, s[10:11]
	buffer_load_dword v122, off, s[0:3], 0 offset:76
	v_cmp_lt_u32_e64 s[6:7], 19, v0
	s_waitcnt vmcnt(0)
	ds_write_b32 v110, v122
	s_waitcnt lgkmcnt(0)
	; wave barrier
	s_waitcnt lgkmcnt(0)
	s_and_saveexec_b64 s[10:11], s[6:7]
	s_cbranch_execz .LBB53_336
; %bb.327:
	s_andn2_b64 vcc, exec, s[8:9]
	s_cbranch_vccnz .LBB53_329
; %bb.328:
	buffer_load_dword v122, v111, s[0:3], 0 offen
	ds_read_b32 v123, v110
	s_waitcnt vmcnt(0) lgkmcnt(0)
	v_mul_f32_e32 v122, v122, v123
	s_cbranch_execz .LBB53_330
	s_branch .LBB53_331
.LBB53_329:
                                        ; implicit-def: $vgpr122
.LBB53_330:
	ds_read_b32 v122, v110
.LBB53_331:
	s_and_saveexec_b64 s[12:13], s[4:5]
	s_cbranch_execz .LBB53_335
; %bb.332:
	v_subrev_u32_e32 v123, 20, v0
	s_movk_i32 s14, 0x130
	s_mov_b64 s[4:5], 0
.LBB53_333:                             ; =>This Inner Loop Header: Depth=1
	buffer_load_dword v124, v121, s[0:3], 0 offen
	v_mov_b32_e32 v125, s14
	ds_read_b32 v125, v125
	v_add_u32_e32 v123, -1, v123
	s_add_i32 s14, s14, 4
	v_cmp_eq_u32_e32 vcc, 0, v123
	v_add_u32_e32 v121, 4, v121
	s_or_b64 s[4:5], vcc, s[4:5]
	s_waitcnt vmcnt(0) lgkmcnt(0)
	v_fmac_f32_e32 v122, v124, v125
	s_andn2_b64 exec, exec, s[4:5]
	s_cbranch_execnz .LBB53_333
; %bb.334:
	s_or_b64 exec, exec, s[4:5]
.LBB53_335:
	s_or_b64 exec, exec, s[12:13]
	v_mov_b32_e32 v121, 0
	ds_read_b32 v121, v121 offset:76
	s_waitcnt lgkmcnt(0)
	v_mul_f32_e32 v121, v122, v121
	buffer_store_dword v121, off, s[0:3], 0 offset:76
.LBB53_336:
	s_or_b64 exec, exec, s[10:11]
	buffer_load_dword v121, off, s[0:3], 0 offset:72
	v_cmp_lt_u32_e64 s[4:5], 18, v0
	s_waitcnt vmcnt(0)
	ds_write_b32 v110, v121
	s_waitcnt lgkmcnt(0)
	; wave barrier
	s_waitcnt lgkmcnt(0)
	s_and_saveexec_b64 s[10:11], s[4:5]
	s_cbranch_execz .LBB53_346
; %bb.337:
	s_andn2_b64 vcc, exec, s[8:9]
	s_cbranch_vccnz .LBB53_339
; %bb.338:
	buffer_load_dword v121, v111, s[0:3], 0 offen
	ds_read_b32 v122, v110
	s_waitcnt vmcnt(0) lgkmcnt(0)
	v_mul_f32_e32 v121, v121, v122
	s_cbranch_execz .LBB53_340
	s_branch .LBB53_341
.LBB53_339:
                                        ; implicit-def: $vgpr121
.LBB53_340:
	ds_read_b32 v121, v110
.LBB53_341:
	s_and_saveexec_b64 s[12:13], s[6:7]
	s_cbranch_execz .LBB53_345
; %bb.342:
	v_mov_b32_e32 v122, 0
	v_add_u32_e32 v122, 0x4c, v122
	v_subrev_u32_e32 v123, 19, v0
	s_movk_i32 s14, 0x12c
	s_mov_b64 s[6:7], 0
.LBB53_343:                             ; =>This Inner Loop Header: Depth=1
	buffer_load_dword v124, v122, s[0:3], 0 offen
	v_mov_b32_e32 v125, s14
	ds_read_b32 v125, v125
	v_add_u32_e32 v123, -1, v123
	s_add_i32 s14, s14, 4
	v_cmp_eq_u32_e32 vcc, 0, v123
	v_add_u32_e32 v122, 4, v122
	s_or_b64 s[6:7], vcc, s[6:7]
	s_waitcnt vmcnt(0) lgkmcnt(0)
	v_fmac_f32_e32 v121, v124, v125
	s_andn2_b64 exec, exec, s[6:7]
	s_cbranch_execnz .LBB53_343
; %bb.344:
	s_or_b64 exec, exec, s[6:7]
.LBB53_345:
	s_or_b64 exec, exec, s[12:13]
	v_mov_b32_e32 v122, 0
	ds_read_b32 v122, v122 offset:72
	s_waitcnt lgkmcnt(0)
	v_mul_f32_e32 v121, v121, v122
	buffer_store_dword v121, off, s[0:3], 0 offset:72
.LBB53_346:
	s_or_b64 exec, exec, s[10:11]
	buffer_load_dword v121, off, s[0:3], 0 offset:68
	v_cmp_lt_u32_e64 s[6:7], 17, v0
	s_waitcnt vmcnt(0)
	ds_write_b32 v110, v121
	s_waitcnt lgkmcnt(0)
	; wave barrier
	s_waitcnt lgkmcnt(0)
	s_and_saveexec_b64 s[10:11], s[6:7]
	s_cbranch_execz .LBB53_356
; %bb.347:
	s_andn2_b64 vcc, exec, s[8:9]
	s_cbranch_vccnz .LBB53_349
; %bb.348:
	buffer_load_dword v121, v111, s[0:3], 0 offen
	ds_read_b32 v122, v110
	s_waitcnt vmcnt(0) lgkmcnt(0)
	v_mul_f32_e32 v121, v121, v122
	s_cbranch_execz .LBB53_350
	s_branch .LBB53_351
.LBB53_349:
                                        ; implicit-def: $vgpr121
.LBB53_350:
	ds_read_b32 v121, v110
.LBB53_351:
	s_and_saveexec_b64 s[12:13], s[4:5]
	s_cbranch_execz .LBB53_355
; %bb.352:
	v_subrev_u32_e32 v122, 18, v0
	s_movk_i32 s14, 0x128
	s_mov_b64 s[4:5], 0
.LBB53_353:                             ; =>This Inner Loop Header: Depth=1
	buffer_load_dword v123, v120, s[0:3], 0 offen
	v_mov_b32_e32 v124, s14
	ds_read_b32 v124, v124
	v_add_u32_e32 v122, -1, v122
	s_add_i32 s14, s14, 4
	v_cmp_eq_u32_e32 vcc, 0, v122
	v_add_u32_e32 v120, 4, v120
	s_or_b64 s[4:5], vcc, s[4:5]
	s_waitcnt vmcnt(0) lgkmcnt(0)
	v_fmac_f32_e32 v121, v123, v124
	s_andn2_b64 exec, exec, s[4:5]
	s_cbranch_execnz .LBB53_353
; %bb.354:
	s_or_b64 exec, exec, s[4:5]
.LBB53_355:
	s_or_b64 exec, exec, s[12:13]
	v_mov_b32_e32 v120, 0
	ds_read_b32 v120, v120 offset:68
	s_waitcnt lgkmcnt(0)
	v_mul_f32_e32 v120, v121, v120
	buffer_store_dword v120, off, s[0:3], 0 offset:68
.LBB53_356:
	s_or_b64 exec, exec, s[10:11]
	buffer_load_dword v120, off, s[0:3], 0 offset:64
	v_cmp_lt_u32_e64 s[4:5], 16, v0
	s_waitcnt vmcnt(0)
	ds_write_b32 v110, v120
	s_waitcnt lgkmcnt(0)
	; wave barrier
	s_waitcnt lgkmcnt(0)
	s_and_saveexec_b64 s[10:11], s[4:5]
	s_cbranch_execz .LBB53_366
; %bb.357:
	s_andn2_b64 vcc, exec, s[8:9]
	s_cbranch_vccnz .LBB53_359
; %bb.358:
	buffer_load_dword v120, v111, s[0:3], 0 offen
	ds_read_b32 v121, v110
	s_waitcnt vmcnt(0) lgkmcnt(0)
	v_mul_f32_e32 v120, v120, v121
	s_cbranch_execz .LBB53_360
	s_branch .LBB53_361
.LBB53_359:
                                        ; implicit-def: $vgpr120
.LBB53_360:
	ds_read_b32 v120, v110
.LBB53_361:
	s_and_saveexec_b64 s[12:13], s[6:7]
	s_cbranch_execz .LBB53_365
; %bb.362:
	v_mov_b32_e32 v121, 0
	v_add_u32_e32 v121, 0x44, v121
	v_subrev_u32_e32 v122, 17, v0
	s_movk_i32 s14, 0x124
	s_mov_b64 s[6:7], 0
.LBB53_363:                             ; =>This Inner Loop Header: Depth=1
	buffer_load_dword v123, v121, s[0:3], 0 offen
	v_mov_b32_e32 v124, s14
	ds_read_b32 v124, v124
	v_add_u32_e32 v122, -1, v122
	s_add_i32 s14, s14, 4
	v_cmp_eq_u32_e32 vcc, 0, v122
	v_add_u32_e32 v121, 4, v121
	s_or_b64 s[6:7], vcc, s[6:7]
	s_waitcnt vmcnt(0) lgkmcnt(0)
	v_fmac_f32_e32 v120, v123, v124
	s_andn2_b64 exec, exec, s[6:7]
	s_cbranch_execnz .LBB53_363
; %bb.364:
	s_or_b64 exec, exec, s[6:7]
.LBB53_365:
	s_or_b64 exec, exec, s[12:13]
	v_mov_b32_e32 v121, 0
	ds_read_b32 v121, v121 offset:64
	s_waitcnt lgkmcnt(0)
	v_mul_f32_e32 v120, v120, v121
	buffer_store_dword v120, off, s[0:3], 0 offset:64
.LBB53_366:
	s_or_b64 exec, exec, s[10:11]
	buffer_load_dword v120, off, s[0:3], 0 offset:60
	v_cmp_lt_u32_e64 s[6:7], 15, v0
	s_waitcnt vmcnt(0)
	ds_write_b32 v110, v120
	s_waitcnt lgkmcnt(0)
	; wave barrier
	s_waitcnt lgkmcnt(0)
	s_and_saveexec_b64 s[10:11], s[6:7]
	s_cbranch_execz .LBB53_376
; %bb.367:
	s_andn2_b64 vcc, exec, s[8:9]
	s_cbranch_vccnz .LBB53_369
; %bb.368:
	buffer_load_dword v120, v111, s[0:3], 0 offen
	ds_read_b32 v121, v110
	s_waitcnt vmcnt(0) lgkmcnt(0)
	v_mul_f32_e32 v120, v120, v121
	s_cbranch_execz .LBB53_370
	s_branch .LBB53_371
.LBB53_369:
                                        ; implicit-def: $vgpr120
.LBB53_370:
	ds_read_b32 v120, v110
.LBB53_371:
	s_and_saveexec_b64 s[12:13], s[4:5]
	s_cbranch_execz .LBB53_375
; %bb.372:
	v_add_u32_e32 v121, -16, v0
	s_movk_i32 s14, 0x120
	s_mov_b64 s[4:5], 0
.LBB53_373:                             ; =>This Inner Loop Header: Depth=1
	buffer_load_dword v122, v119, s[0:3], 0 offen
	v_mov_b32_e32 v123, s14
	ds_read_b32 v123, v123
	v_add_u32_e32 v121, -1, v121
	s_add_i32 s14, s14, 4
	v_cmp_eq_u32_e32 vcc, 0, v121
	v_add_u32_e32 v119, 4, v119
	s_or_b64 s[4:5], vcc, s[4:5]
	s_waitcnt vmcnt(0) lgkmcnt(0)
	v_fmac_f32_e32 v120, v122, v123
	s_andn2_b64 exec, exec, s[4:5]
	s_cbranch_execnz .LBB53_373
; %bb.374:
	s_or_b64 exec, exec, s[4:5]
.LBB53_375:
	s_or_b64 exec, exec, s[12:13]
	v_mov_b32_e32 v119, 0
	ds_read_b32 v119, v119 offset:60
	s_waitcnt lgkmcnt(0)
	v_mul_f32_e32 v119, v120, v119
	buffer_store_dword v119, off, s[0:3], 0 offset:60
.LBB53_376:
	s_or_b64 exec, exec, s[10:11]
	buffer_load_dword v119, off, s[0:3], 0 offset:56
	v_cmp_lt_u32_e64 s[4:5], 14, v0
	s_waitcnt vmcnt(0)
	ds_write_b32 v110, v119
	s_waitcnt lgkmcnt(0)
	; wave barrier
	s_waitcnt lgkmcnt(0)
	s_and_saveexec_b64 s[10:11], s[4:5]
	s_cbranch_execz .LBB53_386
; %bb.377:
	s_andn2_b64 vcc, exec, s[8:9]
	s_cbranch_vccnz .LBB53_379
; %bb.378:
	buffer_load_dword v119, v111, s[0:3], 0 offen
	ds_read_b32 v120, v110
	s_waitcnt vmcnt(0) lgkmcnt(0)
	v_mul_f32_e32 v119, v119, v120
	s_cbranch_execz .LBB53_380
	s_branch .LBB53_381
.LBB53_379:
                                        ; implicit-def: $vgpr119
.LBB53_380:
	ds_read_b32 v119, v110
.LBB53_381:
	s_and_saveexec_b64 s[12:13], s[6:7]
	s_cbranch_execz .LBB53_385
; %bb.382:
	v_mov_b32_e32 v120, 0
	v_add_u32_e32 v120, 60, v120
	v_add_u32_e32 v121, -15, v0
	s_movk_i32 s14, 0x11c
	s_mov_b64 s[6:7], 0
.LBB53_383:                             ; =>This Inner Loop Header: Depth=1
	buffer_load_dword v122, v120, s[0:3], 0 offen
	v_mov_b32_e32 v123, s14
	ds_read_b32 v123, v123
	v_add_u32_e32 v121, -1, v121
	s_add_i32 s14, s14, 4
	v_cmp_eq_u32_e32 vcc, 0, v121
	v_add_u32_e32 v120, 4, v120
	s_or_b64 s[6:7], vcc, s[6:7]
	s_waitcnt vmcnt(0) lgkmcnt(0)
	v_fmac_f32_e32 v119, v122, v123
	s_andn2_b64 exec, exec, s[6:7]
	s_cbranch_execnz .LBB53_383
; %bb.384:
	s_or_b64 exec, exec, s[6:7]
.LBB53_385:
	s_or_b64 exec, exec, s[12:13]
	v_mov_b32_e32 v120, 0
	ds_read_b32 v120, v120 offset:56
	s_waitcnt lgkmcnt(0)
	v_mul_f32_e32 v119, v119, v120
	buffer_store_dword v119, off, s[0:3], 0 offset:56
.LBB53_386:
	s_or_b64 exec, exec, s[10:11]
	buffer_load_dword v119, off, s[0:3], 0 offset:52
	v_cmp_lt_u32_e64 s[6:7], 13, v0
	s_waitcnt vmcnt(0)
	ds_write_b32 v110, v119
	s_waitcnt lgkmcnt(0)
	; wave barrier
	s_waitcnt lgkmcnt(0)
	s_and_saveexec_b64 s[10:11], s[6:7]
	s_cbranch_execz .LBB53_396
; %bb.387:
	s_andn2_b64 vcc, exec, s[8:9]
	s_cbranch_vccnz .LBB53_389
; %bb.388:
	buffer_load_dword v119, v111, s[0:3], 0 offen
	ds_read_b32 v120, v110
	s_waitcnt vmcnt(0) lgkmcnt(0)
	v_mul_f32_e32 v119, v119, v120
	s_cbranch_execz .LBB53_390
	s_branch .LBB53_391
.LBB53_389:
                                        ; implicit-def: $vgpr119
.LBB53_390:
	ds_read_b32 v119, v110
.LBB53_391:
	s_and_saveexec_b64 s[12:13], s[4:5]
	s_cbranch_execz .LBB53_395
; %bb.392:
	v_add_u32_e32 v120, -14, v0
	s_movk_i32 s14, 0x118
	s_mov_b64 s[4:5], 0
.LBB53_393:                             ; =>This Inner Loop Header: Depth=1
	buffer_load_dword v121, v118, s[0:3], 0 offen
	v_mov_b32_e32 v122, s14
	ds_read_b32 v122, v122
	v_add_u32_e32 v120, -1, v120
	s_add_i32 s14, s14, 4
	v_cmp_eq_u32_e32 vcc, 0, v120
	v_add_u32_e32 v118, 4, v118
	s_or_b64 s[4:5], vcc, s[4:5]
	s_waitcnt vmcnt(0) lgkmcnt(0)
	v_fmac_f32_e32 v119, v121, v122
	s_andn2_b64 exec, exec, s[4:5]
	s_cbranch_execnz .LBB53_393
; %bb.394:
	s_or_b64 exec, exec, s[4:5]
.LBB53_395:
	s_or_b64 exec, exec, s[12:13]
	v_mov_b32_e32 v118, 0
	ds_read_b32 v118, v118 offset:52
	s_waitcnt lgkmcnt(0)
	v_mul_f32_e32 v118, v119, v118
	buffer_store_dword v118, off, s[0:3], 0 offset:52
.LBB53_396:
	s_or_b64 exec, exec, s[10:11]
	buffer_load_dword v118, off, s[0:3], 0 offset:48
	v_cmp_lt_u32_e64 s[4:5], 12, v0
	s_waitcnt vmcnt(0)
	ds_write_b32 v110, v118
	s_waitcnt lgkmcnt(0)
	; wave barrier
	s_waitcnt lgkmcnt(0)
	s_and_saveexec_b64 s[10:11], s[4:5]
	s_cbranch_execz .LBB53_406
; %bb.397:
	s_andn2_b64 vcc, exec, s[8:9]
	s_cbranch_vccnz .LBB53_399
; %bb.398:
	buffer_load_dword v118, v111, s[0:3], 0 offen
	ds_read_b32 v119, v110
	s_waitcnt vmcnt(0) lgkmcnt(0)
	v_mul_f32_e32 v118, v118, v119
	s_cbranch_execz .LBB53_400
	s_branch .LBB53_401
.LBB53_399:
                                        ; implicit-def: $vgpr118
.LBB53_400:
	ds_read_b32 v118, v110
.LBB53_401:
	s_and_saveexec_b64 s[12:13], s[6:7]
	s_cbranch_execz .LBB53_405
; %bb.402:
	v_mov_b32_e32 v119, 0
	v_add_u32_e32 v119, 52, v119
	v_add_u32_e32 v120, -13, v0
	s_movk_i32 s14, 0x114
	s_mov_b64 s[6:7], 0
.LBB53_403:                             ; =>This Inner Loop Header: Depth=1
	buffer_load_dword v121, v119, s[0:3], 0 offen
	v_mov_b32_e32 v122, s14
	ds_read_b32 v122, v122
	v_add_u32_e32 v120, -1, v120
	s_add_i32 s14, s14, 4
	v_cmp_eq_u32_e32 vcc, 0, v120
	v_add_u32_e32 v119, 4, v119
	s_or_b64 s[6:7], vcc, s[6:7]
	s_waitcnt vmcnt(0) lgkmcnt(0)
	v_fmac_f32_e32 v118, v121, v122
	s_andn2_b64 exec, exec, s[6:7]
	s_cbranch_execnz .LBB53_403
; %bb.404:
	s_or_b64 exec, exec, s[6:7]
.LBB53_405:
	s_or_b64 exec, exec, s[12:13]
	v_mov_b32_e32 v119, 0
	ds_read_b32 v119, v119 offset:48
	s_waitcnt lgkmcnt(0)
	v_mul_f32_e32 v118, v118, v119
	buffer_store_dword v118, off, s[0:3], 0 offset:48
.LBB53_406:
	s_or_b64 exec, exec, s[10:11]
	buffer_load_dword v118, off, s[0:3], 0 offset:44
	v_cmp_lt_u32_e64 s[6:7], 11, v0
	s_waitcnt vmcnt(0)
	ds_write_b32 v110, v118
	s_waitcnt lgkmcnt(0)
	; wave barrier
	s_waitcnt lgkmcnt(0)
	s_and_saveexec_b64 s[10:11], s[6:7]
	s_cbranch_execz .LBB53_416
; %bb.407:
	s_andn2_b64 vcc, exec, s[8:9]
	s_cbranch_vccnz .LBB53_409
; %bb.408:
	buffer_load_dword v118, v111, s[0:3], 0 offen
	ds_read_b32 v119, v110
	s_waitcnt vmcnt(0) lgkmcnt(0)
	v_mul_f32_e32 v118, v118, v119
	s_cbranch_execz .LBB53_410
	s_branch .LBB53_411
.LBB53_409:
                                        ; implicit-def: $vgpr118
.LBB53_410:
	ds_read_b32 v118, v110
.LBB53_411:
	s_and_saveexec_b64 s[12:13], s[4:5]
	s_cbranch_execz .LBB53_415
; %bb.412:
	v_add_u32_e32 v119, -12, v0
	s_movk_i32 s14, 0x110
	s_mov_b64 s[4:5], 0
.LBB53_413:                             ; =>This Inner Loop Header: Depth=1
	buffer_load_dword v120, v117, s[0:3], 0 offen
	v_mov_b32_e32 v121, s14
	ds_read_b32 v121, v121
	v_add_u32_e32 v119, -1, v119
	s_add_i32 s14, s14, 4
	v_cmp_eq_u32_e32 vcc, 0, v119
	v_add_u32_e32 v117, 4, v117
	s_or_b64 s[4:5], vcc, s[4:5]
	s_waitcnt vmcnt(0) lgkmcnt(0)
	v_fmac_f32_e32 v118, v120, v121
	s_andn2_b64 exec, exec, s[4:5]
	s_cbranch_execnz .LBB53_413
; %bb.414:
	s_or_b64 exec, exec, s[4:5]
.LBB53_415:
	s_or_b64 exec, exec, s[12:13]
	v_mov_b32_e32 v117, 0
	ds_read_b32 v117, v117 offset:44
	s_waitcnt lgkmcnt(0)
	v_mul_f32_e32 v117, v118, v117
	buffer_store_dword v117, off, s[0:3], 0 offset:44
.LBB53_416:
	s_or_b64 exec, exec, s[10:11]
	buffer_load_dword v117, off, s[0:3], 0 offset:40
	v_cmp_lt_u32_e64 s[4:5], 10, v0
	s_waitcnt vmcnt(0)
	ds_write_b32 v110, v117
	s_waitcnt lgkmcnt(0)
	; wave barrier
	s_waitcnt lgkmcnt(0)
	s_and_saveexec_b64 s[10:11], s[4:5]
	s_cbranch_execz .LBB53_426
; %bb.417:
	s_andn2_b64 vcc, exec, s[8:9]
	s_cbranch_vccnz .LBB53_419
; %bb.418:
	buffer_load_dword v117, v111, s[0:3], 0 offen
	ds_read_b32 v118, v110
	s_waitcnt vmcnt(0) lgkmcnt(0)
	v_mul_f32_e32 v117, v117, v118
	s_cbranch_execz .LBB53_420
	s_branch .LBB53_421
.LBB53_419:
                                        ; implicit-def: $vgpr117
.LBB53_420:
	ds_read_b32 v117, v110
.LBB53_421:
	s_and_saveexec_b64 s[12:13], s[6:7]
	s_cbranch_execz .LBB53_425
; %bb.422:
	v_mov_b32_e32 v118, 0
	v_add_u32_e32 v118, 44, v118
	v_add_u32_e32 v119, -11, v0
	s_movk_i32 s14, 0x10c
	s_mov_b64 s[6:7], 0
.LBB53_423:                             ; =>This Inner Loop Header: Depth=1
	buffer_load_dword v120, v118, s[0:3], 0 offen
	v_mov_b32_e32 v121, s14
	ds_read_b32 v121, v121
	v_add_u32_e32 v119, -1, v119
	s_add_i32 s14, s14, 4
	v_cmp_eq_u32_e32 vcc, 0, v119
	v_add_u32_e32 v118, 4, v118
	s_or_b64 s[6:7], vcc, s[6:7]
	s_waitcnt vmcnt(0) lgkmcnt(0)
	v_fmac_f32_e32 v117, v120, v121
	s_andn2_b64 exec, exec, s[6:7]
	s_cbranch_execnz .LBB53_423
; %bb.424:
	s_or_b64 exec, exec, s[6:7]
.LBB53_425:
	s_or_b64 exec, exec, s[12:13]
	v_mov_b32_e32 v118, 0
	ds_read_b32 v118, v118 offset:40
	s_waitcnt lgkmcnt(0)
	v_mul_f32_e32 v117, v117, v118
	buffer_store_dword v117, off, s[0:3], 0 offset:40
.LBB53_426:
	s_or_b64 exec, exec, s[10:11]
	buffer_load_dword v117, off, s[0:3], 0 offset:36
	v_cmp_lt_u32_e64 s[6:7], 9, v0
	s_waitcnt vmcnt(0)
	ds_write_b32 v110, v117
	s_waitcnt lgkmcnt(0)
	; wave barrier
	s_waitcnt lgkmcnt(0)
	s_and_saveexec_b64 s[10:11], s[6:7]
	s_cbranch_execz .LBB53_436
; %bb.427:
	s_andn2_b64 vcc, exec, s[8:9]
	s_cbranch_vccnz .LBB53_429
; %bb.428:
	buffer_load_dword v117, v111, s[0:3], 0 offen
	ds_read_b32 v118, v110
	s_waitcnt vmcnt(0) lgkmcnt(0)
	v_mul_f32_e32 v117, v117, v118
	s_cbranch_execz .LBB53_430
	s_branch .LBB53_431
.LBB53_429:
                                        ; implicit-def: $vgpr117
.LBB53_430:
	ds_read_b32 v117, v110
.LBB53_431:
	s_and_saveexec_b64 s[12:13], s[4:5]
	s_cbranch_execz .LBB53_435
; %bb.432:
	v_add_u32_e32 v118, -10, v0
	s_movk_i32 s14, 0x108
	s_mov_b64 s[4:5], 0
.LBB53_433:                             ; =>This Inner Loop Header: Depth=1
	buffer_load_dword v119, v116, s[0:3], 0 offen
	v_mov_b32_e32 v120, s14
	ds_read_b32 v120, v120
	v_add_u32_e32 v118, -1, v118
	s_add_i32 s14, s14, 4
	v_cmp_eq_u32_e32 vcc, 0, v118
	v_add_u32_e32 v116, 4, v116
	s_or_b64 s[4:5], vcc, s[4:5]
	s_waitcnt vmcnt(0) lgkmcnt(0)
	v_fmac_f32_e32 v117, v119, v120
	s_andn2_b64 exec, exec, s[4:5]
	s_cbranch_execnz .LBB53_433
; %bb.434:
	s_or_b64 exec, exec, s[4:5]
.LBB53_435:
	s_or_b64 exec, exec, s[12:13]
	v_mov_b32_e32 v116, 0
	ds_read_b32 v116, v116 offset:36
	s_waitcnt lgkmcnt(0)
	v_mul_f32_e32 v116, v117, v116
	buffer_store_dword v116, off, s[0:3], 0 offset:36
.LBB53_436:
	s_or_b64 exec, exec, s[10:11]
	buffer_load_dword v116, off, s[0:3], 0 offset:32
	v_cmp_lt_u32_e64 s[4:5], 8, v0
	s_waitcnt vmcnt(0)
	ds_write_b32 v110, v116
	s_waitcnt lgkmcnt(0)
	; wave barrier
	s_waitcnt lgkmcnt(0)
	s_and_saveexec_b64 s[10:11], s[4:5]
	s_cbranch_execz .LBB53_446
; %bb.437:
	s_andn2_b64 vcc, exec, s[8:9]
	s_cbranch_vccnz .LBB53_439
; %bb.438:
	buffer_load_dword v116, v111, s[0:3], 0 offen
	ds_read_b32 v117, v110
	s_waitcnt vmcnt(0) lgkmcnt(0)
	v_mul_f32_e32 v116, v116, v117
	s_cbranch_execz .LBB53_440
	s_branch .LBB53_441
.LBB53_439:
                                        ; implicit-def: $vgpr116
.LBB53_440:
	ds_read_b32 v116, v110
.LBB53_441:
	s_and_saveexec_b64 s[12:13], s[6:7]
	s_cbranch_execz .LBB53_445
; %bb.442:
	v_mov_b32_e32 v117, 0
	v_add_u32_e32 v117, 36, v117
	v_add_u32_e32 v118, -9, v0
	s_movk_i32 s14, 0x104
	s_mov_b64 s[6:7], 0
.LBB53_443:                             ; =>This Inner Loop Header: Depth=1
	buffer_load_dword v119, v117, s[0:3], 0 offen
	v_mov_b32_e32 v120, s14
	ds_read_b32 v120, v120
	v_add_u32_e32 v118, -1, v118
	s_add_i32 s14, s14, 4
	v_cmp_eq_u32_e32 vcc, 0, v118
	v_add_u32_e32 v117, 4, v117
	s_or_b64 s[6:7], vcc, s[6:7]
	s_waitcnt vmcnt(0) lgkmcnt(0)
	v_fmac_f32_e32 v116, v119, v120
	s_andn2_b64 exec, exec, s[6:7]
	s_cbranch_execnz .LBB53_443
; %bb.444:
	s_or_b64 exec, exec, s[6:7]
.LBB53_445:
	s_or_b64 exec, exec, s[12:13]
	v_mov_b32_e32 v117, 0
	ds_read_b32 v117, v117 offset:32
	s_waitcnt lgkmcnt(0)
	v_mul_f32_e32 v116, v116, v117
	buffer_store_dword v116, off, s[0:3], 0 offset:32
.LBB53_446:
	s_or_b64 exec, exec, s[10:11]
	buffer_load_dword v116, off, s[0:3], 0 offset:28
	v_cmp_lt_u32_e64 s[6:7], 7, v0
	s_waitcnt vmcnt(0)
	ds_write_b32 v110, v116
	s_waitcnt lgkmcnt(0)
	; wave barrier
	s_waitcnt lgkmcnt(0)
	s_and_saveexec_b64 s[10:11], s[6:7]
	s_cbranch_execz .LBB53_456
; %bb.447:
	s_andn2_b64 vcc, exec, s[8:9]
	s_cbranch_vccnz .LBB53_449
; %bb.448:
	buffer_load_dword v116, v111, s[0:3], 0 offen
	ds_read_b32 v117, v110
	s_waitcnt vmcnt(0) lgkmcnt(0)
	v_mul_f32_e32 v116, v116, v117
	s_cbranch_execz .LBB53_450
	s_branch .LBB53_451
.LBB53_449:
                                        ; implicit-def: $vgpr116
.LBB53_450:
	ds_read_b32 v116, v110
.LBB53_451:
	s_and_saveexec_b64 s[12:13], s[4:5]
	s_cbranch_execz .LBB53_455
; %bb.452:
	v_add_u32_e32 v117, -8, v0
	s_movk_i32 s14, 0x100
	s_mov_b64 s[4:5], 0
.LBB53_453:                             ; =>This Inner Loop Header: Depth=1
	buffer_load_dword v118, v115, s[0:3], 0 offen
	v_mov_b32_e32 v119, s14
	ds_read_b32 v119, v119
	v_add_u32_e32 v117, -1, v117
	s_add_i32 s14, s14, 4
	v_cmp_eq_u32_e32 vcc, 0, v117
	v_add_u32_e32 v115, 4, v115
	s_or_b64 s[4:5], vcc, s[4:5]
	s_waitcnt vmcnt(0) lgkmcnt(0)
	v_fmac_f32_e32 v116, v118, v119
	s_andn2_b64 exec, exec, s[4:5]
	s_cbranch_execnz .LBB53_453
; %bb.454:
	s_or_b64 exec, exec, s[4:5]
.LBB53_455:
	s_or_b64 exec, exec, s[12:13]
	v_mov_b32_e32 v115, 0
	ds_read_b32 v115, v115 offset:28
	s_waitcnt lgkmcnt(0)
	v_mul_f32_e32 v115, v116, v115
	buffer_store_dword v115, off, s[0:3], 0 offset:28
.LBB53_456:
	s_or_b64 exec, exec, s[10:11]
	buffer_load_dword v115, off, s[0:3], 0 offset:24
	v_cmp_lt_u32_e64 s[4:5], 6, v0
	s_waitcnt vmcnt(0)
	ds_write_b32 v110, v115
	s_waitcnt lgkmcnt(0)
	; wave barrier
	s_waitcnt lgkmcnt(0)
	s_and_saveexec_b64 s[10:11], s[4:5]
	s_cbranch_execz .LBB53_466
; %bb.457:
	s_andn2_b64 vcc, exec, s[8:9]
	s_cbranch_vccnz .LBB53_459
; %bb.458:
	buffer_load_dword v115, v111, s[0:3], 0 offen
	ds_read_b32 v116, v110
	s_waitcnt vmcnt(0) lgkmcnt(0)
	v_mul_f32_e32 v115, v115, v116
	s_cbranch_execz .LBB53_460
	s_branch .LBB53_461
.LBB53_459:
                                        ; implicit-def: $vgpr115
.LBB53_460:
	ds_read_b32 v115, v110
.LBB53_461:
	s_and_saveexec_b64 s[12:13], s[6:7]
	s_cbranch_execz .LBB53_465
; %bb.462:
	v_mov_b32_e32 v116, 0
	v_add_u32_e32 v116, 28, v116
	v_add_u32_e32 v117, -7, v0
	s_movk_i32 s14, 0xfc
	s_mov_b64 s[6:7], 0
.LBB53_463:                             ; =>This Inner Loop Header: Depth=1
	buffer_load_dword v118, v116, s[0:3], 0 offen
	v_mov_b32_e32 v119, s14
	ds_read_b32 v119, v119
	v_add_u32_e32 v117, -1, v117
	s_add_i32 s14, s14, 4
	v_cmp_eq_u32_e32 vcc, 0, v117
	v_add_u32_e32 v116, 4, v116
	s_or_b64 s[6:7], vcc, s[6:7]
	s_waitcnt vmcnt(0) lgkmcnt(0)
	v_fmac_f32_e32 v115, v118, v119
	s_andn2_b64 exec, exec, s[6:7]
	s_cbranch_execnz .LBB53_463
; %bb.464:
	s_or_b64 exec, exec, s[6:7]
.LBB53_465:
	s_or_b64 exec, exec, s[12:13]
	v_mov_b32_e32 v116, 0
	ds_read_b32 v116, v116 offset:24
	s_waitcnt lgkmcnt(0)
	v_mul_f32_e32 v115, v115, v116
	buffer_store_dword v115, off, s[0:3], 0 offset:24
.LBB53_466:
	s_or_b64 exec, exec, s[10:11]
	buffer_load_dword v115, off, s[0:3], 0 offset:20
	v_cmp_lt_u32_e64 s[6:7], 5, v0
	s_waitcnt vmcnt(0)
	ds_write_b32 v110, v115
	s_waitcnt lgkmcnt(0)
	; wave barrier
	s_waitcnt lgkmcnt(0)
	s_and_saveexec_b64 s[10:11], s[6:7]
	s_cbranch_execz .LBB53_476
; %bb.467:
	s_andn2_b64 vcc, exec, s[8:9]
	s_cbranch_vccnz .LBB53_469
; %bb.468:
	buffer_load_dword v115, v111, s[0:3], 0 offen
	ds_read_b32 v116, v110
	s_waitcnt vmcnt(0) lgkmcnt(0)
	v_mul_f32_e32 v115, v115, v116
	s_cbranch_execz .LBB53_470
	s_branch .LBB53_471
.LBB53_469:
                                        ; implicit-def: $vgpr115
.LBB53_470:
	ds_read_b32 v115, v110
.LBB53_471:
	s_and_saveexec_b64 s[12:13], s[4:5]
	s_cbranch_execz .LBB53_475
; %bb.472:
	v_add_u32_e32 v116, -6, v0
	s_movk_i32 s14, 0xf8
	s_mov_b64 s[4:5], 0
.LBB53_473:                             ; =>This Inner Loop Header: Depth=1
	buffer_load_dword v117, v114, s[0:3], 0 offen
	v_mov_b32_e32 v118, s14
	ds_read_b32 v118, v118
	v_add_u32_e32 v116, -1, v116
	s_add_i32 s14, s14, 4
	v_cmp_eq_u32_e32 vcc, 0, v116
	v_add_u32_e32 v114, 4, v114
	s_or_b64 s[4:5], vcc, s[4:5]
	s_waitcnt vmcnt(0) lgkmcnt(0)
	v_fmac_f32_e32 v115, v117, v118
	s_andn2_b64 exec, exec, s[4:5]
	s_cbranch_execnz .LBB53_473
; %bb.474:
	s_or_b64 exec, exec, s[4:5]
.LBB53_475:
	s_or_b64 exec, exec, s[12:13]
	v_mov_b32_e32 v114, 0
	ds_read_b32 v114, v114 offset:20
	s_waitcnt lgkmcnt(0)
	v_mul_f32_e32 v114, v115, v114
	buffer_store_dword v114, off, s[0:3], 0 offset:20
.LBB53_476:
	s_or_b64 exec, exec, s[10:11]
	buffer_load_dword v114, off, s[0:3], 0 offset:16
	v_cmp_lt_u32_e64 s[4:5], 4, v0
	s_waitcnt vmcnt(0)
	ds_write_b32 v110, v114
	s_waitcnt lgkmcnt(0)
	; wave barrier
	s_waitcnt lgkmcnt(0)
	s_and_saveexec_b64 s[10:11], s[4:5]
	s_cbranch_execz .LBB53_486
; %bb.477:
	s_andn2_b64 vcc, exec, s[8:9]
	s_cbranch_vccnz .LBB53_479
; %bb.478:
	buffer_load_dword v114, v111, s[0:3], 0 offen
	ds_read_b32 v115, v110
	s_waitcnt vmcnt(0) lgkmcnt(0)
	v_mul_f32_e32 v114, v114, v115
	s_cbranch_execz .LBB53_480
	s_branch .LBB53_481
.LBB53_479:
                                        ; implicit-def: $vgpr114
.LBB53_480:
	ds_read_b32 v114, v110
.LBB53_481:
	s_and_saveexec_b64 s[12:13], s[6:7]
	s_cbranch_execz .LBB53_485
; %bb.482:
	v_mov_b32_e32 v115, 0
	v_add_u32_e32 v115, 20, v115
	v_add_u32_e32 v116, -5, v0
	s_movk_i32 s14, 0xf4
	s_mov_b64 s[6:7], 0
.LBB53_483:                             ; =>This Inner Loop Header: Depth=1
	buffer_load_dword v117, v115, s[0:3], 0 offen
	v_mov_b32_e32 v118, s14
	ds_read_b32 v118, v118
	v_add_u32_e32 v116, -1, v116
	s_add_i32 s14, s14, 4
	v_cmp_eq_u32_e32 vcc, 0, v116
	v_add_u32_e32 v115, 4, v115
	s_or_b64 s[6:7], vcc, s[6:7]
	s_waitcnt vmcnt(0) lgkmcnt(0)
	v_fmac_f32_e32 v114, v117, v118
	s_andn2_b64 exec, exec, s[6:7]
	s_cbranch_execnz .LBB53_483
; %bb.484:
	s_or_b64 exec, exec, s[6:7]
.LBB53_485:
	s_or_b64 exec, exec, s[12:13]
	v_mov_b32_e32 v115, 0
	ds_read_b32 v115, v115 offset:16
	s_waitcnt lgkmcnt(0)
	v_mul_f32_e32 v114, v114, v115
	buffer_store_dword v114, off, s[0:3], 0 offset:16
.LBB53_486:
	s_or_b64 exec, exec, s[10:11]
	buffer_load_dword v114, off, s[0:3], 0 offset:12
	v_cmp_lt_u32_e64 s[6:7], 3, v0
	s_waitcnt vmcnt(0)
	ds_write_b32 v110, v114
	s_waitcnt lgkmcnt(0)
	; wave barrier
	s_waitcnt lgkmcnt(0)
	s_and_saveexec_b64 s[10:11], s[6:7]
	s_cbranch_execz .LBB53_496
; %bb.487:
	s_andn2_b64 vcc, exec, s[8:9]
	s_cbranch_vccnz .LBB53_489
; %bb.488:
	buffer_load_dword v114, v111, s[0:3], 0 offen
	ds_read_b32 v115, v110
	s_waitcnt vmcnt(0) lgkmcnt(0)
	v_mul_f32_e32 v114, v114, v115
	s_cbranch_execz .LBB53_490
	s_branch .LBB53_491
.LBB53_489:
                                        ; implicit-def: $vgpr114
.LBB53_490:
	ds_read_b32 v114, v110
.LBB53_491:
	s_and_saveexec_b64 s[12:13], s[4:5]
	s_cbranch_execz .LBB53_495
; %bb.492:
	v_add_u32_e32 v115, -4, v0
	s_movk_i32 s14, 0xf0
	s_mov_b64 s[4:5], 0
.LBB53_493:                             ; =>This Inner Loop Header: Depth=1
	buffer_load_dword v116, v113, s[0:3], 0 offen
	v_mov_b32_e32 v117, s14
	ds_read_b32 v117, v117
	v_add_u32_e32 v115, -1, v115
	s_add_i32 s14, s14, 4
	v_cmp_eq_u32_e32 vcc, 0, v115
	v_add_u32_e32 v113, 4, v113
	s_or_b64 s[4:5], vcc, s[4:5]
	s_waitcnt vmcnt(0) lgkmcnt(0)
	v_fmac_f32_e32 v114, v116, v117
	s_andn2_b64 exec, exec, s[4:5]
	s_cbranch_execnz .LBB53_493
; %bb.494:
	s_or_b64 exec, exec, s[4:5]
.LBB53_495:
	s_or_b64 exec, exec, s[12:13]
	v_mov_b32_e32 v113, 0
	ds_read_b32 v113, v113 offset:12
	s_waitcnt lgkmcnt(0)
	v_mul_f32_e32 v113, v114, v113
	buffer_store_dword v113, off, s[0:3], 0 offset:12
.LBB53_496:
	s_or_b64 exec, exec, s[10:11]
	buffer_load_dword v113, off, s[0:3], 0 offset:8
	v_cmp_lt_u32_e64 s[4:5], 2, v0
	s_waitcnt vmcnt(0)
	ds_write_b32 v110, v113
	s_waitcnt lgkmcnt(0)
	; wave barrier
	s_waitcnt lgkmcnt(0)
	s_and_saveexec_b64 s[10:11], s[4:5]
	s_cbranch_execz .LBB53_506
; %bb.497:
	s_andn2_b64 vcc, exec, s[8:9]
	s_cbranch_vccnz .LBB53_499
; %bb.498:
	buffer_load_dword v113, v111, s[0:3], 0 offen
	ds_read_b32 v114, v110
	s_waitcnt vmcnt(0) lgkmcnt(0)
	v_mul_f32_e32 v113, v113, v114
	s_cbranch_execz .LBB53_500
	s_branch .LBB53_501
.LBB53_499:
                                        ; implicit-def: $vgpr113
.LBB53_500:
	ds_read_b32 v113, v110
.LBB53_501:
	s_and_saveexec_b64 s[12:13], s[6:7]
	s_cbranch_execz .LBB53_505
; %bb.502:
	v_mov_b32_e32 v114, 0
	v_or_b32_e32 v114, 12, v114
	v_add_u32_e32 v115, -3, v0
	s_movk_i32 s14, 0xec
	s_mov_b64 s[6:7], 0
.LBB53_503:                             ; =>This Inner Loop Header: Depth=1
	buffer_load_dword v116, v114, s[0:3], 0 offen
	v_mov_b32_e32 v117, s14
	ds_read_b32 v117, v117
	v_add_u32_e32 v115, -1, v115
	s_add_i32 s14, s14, 4
	v_cmp_eq_u32_e32 vcc, 0, v115
	v_add_u32_e32 v114, 4, v114
	s_or_b64 s[6:7], vcc, s[6:7]
	s_waitcnt vmcnt(0) lgkmcnt(0)
	v_fmac_f32_e32 v113, v116, v117
	s_andn2_b64 exec, exec, s[6:7]
	s_cbranch_execnz .LBB53_503
; %bb.504:
	s_or_b64 exec, exec, s[6:7]
.LBB53_505:
	s_or_b64 exec, exec, s[12:13]
	v_mov_b32_e32 v114, 0
	ds_read_b32 v114, v114 offset:8
	s_waitcnt lgkmcnt(0)
	v_mul_f32_e32 v113, v113, v114
	buffer_store_dword v113, off, s[0:3], 0 offset:8
.LBB53_506:
	s_or_b64 exec, exec, s[10:11]
	buffer_load_dword v113, off, s[0:3], 0 offset:4
	v_cmp_lt_u32_e64 s[6:7], 1, v0
	s_waitcnt vmcnt(0)
	ds_write_b32 v110, v113
	s_waitcnt lgkmcnt(0)
	; wave barrier
	s_waitcnt lgkmcnt(0)
	s_and_saveexec_b64 s[10:11], s[6:7]
	s_cbranch_execz .LBB53_516
; %bb.507:
	s_andn2_b64 vcc, exec, s[8:9]
	s_cbranch_vccnz .LBB53_509
; %bb.508:
	buffer_load_dword v113, v111, s[0:3], 0 offen
	ds_read_b32 v114, v110
	s_waitcnt vmcnt(0) lgkmcnt(0)
	v_mul_f32_e32 v113, v113, v114
	s_cbranch_execz .LBB53_510
	s_branch .LBB53_511
.LBB53_509:
                                        ; implicit-def: $vgpr113
.LBB53_510:
	ds_read_b32 v113, v110
.LBB53_511:
	s_and_saveexec_b64 s[12:13], s[4:5]
	s_cbranch_execz .LBB53_515
; %bb.512:
	v_add_u32_e32 v114, -2, v0
	s_movk_i32 s14, 0xe8
	s_mov_b64 s[4:5], 0
.LBB53_513:                             ; =>This Inner Loop Header: Depth=1
	buffer_load_dword v115, v112, s[0:3], 0 offen
	v_mov_b32_e32 v116, s14
	ds_read_b32 v116, v116
	v_add_u32_e32 v114, -1, v114
	s_add_i32 s14, s14, 4
	v_cmp_eq_u32_e32 vcc, 0, v114
	v_add_u32_e32 v112, 4, v112
	s_or_b64 s[4:5], vcc, s[4:5]
	s_waitcnt vmcnt(0) lgkmcnt(0)
	v_fmac_f32_e32 v113, v115, v116
	s_andn2_b64 exec, exec, s[4:5]
	s_cbranch_execnz .LBB53_513
; %bb.514:
	s_or_b64 exec, exec, s[4:5]
.LBB53_515:
	s_or_b64 exec, exec, s[12:13]
	v_mov_b32_e32 v112, 0
	ds_read_b32 v112, v112 offset:4
	s_waitcnt lgkmcnt(0)
	v_mul_f32_e32 v112, v113, v112
	buffer_store_dword v112, off, s[0:3], 0 offset:4
.LBB53_516:
	s_or_b64 exec, exec, s[10:11]
	buffer_load_dword v112, off, s[0:3], 0
	v_cmp_ne_u32_e32 vcc, 0, v0
	s_waitcnt vmcnt(0)
	ds_write_b32 v110, v112
	s_waitcnt lgkmcnt(0)
	; wave barrier
	s_waitcnt lgkmcnt(0)
	s_and_saveexec_b64 s[4:5], vcc
	s_cbranch_execz .LBB53_526
; %bb.517:
	s_andn2_b64 vcc, exec, s[8:9]
	s_cbranch_vccnz .LBB53_519
; %bb.518:
	buffer_load_dword v112, v111, s[0:3], 0 offen
	ds_read_b32 v113, v110
	s_waitcnt vmcnt(0) lgkmcnt(0)
	v_mul_f32_e32 v112, v112, v113
	s_cbranch_execz .LBB53_520
	s_branch .LBB53_521
.LBB53_519:
                                        ; implicit-def: $vgpr112
.LBB53_520:
	ds_read_b32 v112, v110
.LBB53_521:
	s_and_saveexec_b64 s[10:11], s[6:7]
	s_cbranch_execz .LBB53_525
; %bb.522:
	v_mov_b32_e32 v113, 0
	v_or_b32_e32 v113, 4, v113
	v_add_u32_e32 v114, -1, v0
	s_movk_i32 s12, 0xe4
	s_mov_b64 s[6:7], 0
.LBB53_523:                             ; =>This Inner Loop Header: Depth=1
	buffer_load_dword v115, v113, s[0:3], 0 offen
	v_mov_b32_e32 v116, s12
	ds_read_b32 v116, v116
	v_add_u32_e32 v114, -1, v114
	s_add_i32 s12, s12, 4
	v_cmp_eq_u32_e32 vcc, 0, v114
	v_add_u32_e32 v113, 4, v113
	s_or_b64 s[6:7], vcc, s[6:7]
	s_waitcnt vmcnt(0) lgkmcnt(0)
	v_fmac_f32_e32 v112, v115, v116
	s_andn2_b64 exec, exec, s[6:7]
	s_cbranch_execnz .LBB53_523
; %bb.524:
	s_or_b64 exec, exec, s[6:7]
.LBB53_525:
	s_or_b64 exec, exec, s[10:11]
	v_mov_b32_e32 v113, 0
	ds_read_b32 v113, v113
	s_waitcnt lgkmcnt(0)
	v_mul_f32_e32 v112, v112, v113
	buffer_store_dword v112, off, s[0:3], 0
.LBB53_526:
	s_or_b64 exec, exec, s[4:5]
	s_mov_b64 s[4:5], 0
.LBB53_527:
	s_and_b64 vcc, exec, s[4:5]
	s_cbranch_vccz .LBB53_1051
; %bb.528:
	buffer_load_dword v112, off, s[0:3], 0 offset:4
	v_cmp_eq_u32_e64 s[6:7], 0, v0
	s_waitcnt vmcnt(0)
	ds_write_b32 v110, v112
	s_waitcnt lgkmcnt(0)
	; wave barrier
	s_waitcnt lgkmcnt(0)
	s_and_saveexec_b64 s[4:5], s[6:7]
	s_cbranch_execz .LBB53_534
; %bb.529:
	s_and_b64 vcc, exec, s[8:9]
	s_cbranch_vccz .LBB53_531
; %bb.530:
	buffer_load_dword v112, v111, s[0:3], 0 offen
	ds_read_b32 v113, v110
	s_waitcnt vmcnt(0) lgkmcnt(0)
	v_mul_f32_e32 v112, v112, v113
	s_cbranch_execz .LBB53_532
	s_branch .LBB53_533
.LBB53_531:
                                        ; implicit-def: $vgpr112
.LBB53_532:
	ds_read_b32 v112, v110
.LBB53_533:
	v_mov_b32_e32 v113, 0
	ds_read_b32 v113, v113 offset:4
	s_waitcnt lgkmcnt(0)
	v_mul_f32_e32 v112, v112, v113
	buffer_store_dword v112, off, s[0:3], 0 offset:4
.LBB53_534:
	s_or_b64 exec, exec, s[4:5]
	buffer_load_dword v112, off, s[0:3], 0 offset:8
	v_cndmask_b32_e64 v113, 0, 1, s[8:9]
	v_cmp_gt_u32_e32 vcc, 2, v0
	v_cmp_ne_u32_e64 s[4:5], 1, v113
	s_waitcnt vmcnt(0)
	ds_write_b32 v110, v112
	s_waitcnt lgkmcnt(0)
	; wave barrier
	s_waitcnt lgkmcnt(0)
	s_and_saveexec_b64 s[8:9], vcc
	s_cbranch_execz .LBB53_542
; %bb.535:
	s_and_b64 vcc, exec, s[4:5]
	s_cbranch_vccnz .LBB53_537
; %bb.536:
	buffer_load_dword v112, v111, s[0:3], 0 offen
	ds_read_b32 v113, v110
	s_waitcnt vmcnt(0) lgkmcnt(0)
	v_mul_f32_e32 v112, v112, v113
	s_cbranch_execz .LBB53_538
	s_branch .LBB53_539
.LBB53_537:
                                        ; implicit-def: $vgpr112
.LBB53_538:
	ds_read_b32 v112, v110
.LBB53_539:
	s_and_saveexec_b64 s[10:11], s[6:7]
	s_cbranch_execz .LBB53_541
; %bb.540:
	buffer_load_dword v113, v111, s[0:3], 0 offen offset:4
	ds_read_b32 v114, v110 offset:4
	s_waitcnt vmcnt(0) lgkmcnt(0)
	v_fmac_f32_e32 v112, v113, v114
.LBB53_541:
	s_or_b64 exec, exec, s[10:11]
	v_mov_b32_e32 v113, 0
	ds_read_b32 v113, v113 offset:8
	s_waitcnt lgkmcnt(0)
	v_mul_f32_e32 v112, v112, v113
	buffer_store_dword v112, off, s[0:3], 0 offset:8
.LBB53_542:
	s_or_b64 exec, exec, s[8:9]
	buffer_load_dword v112, off, s[0:3], 0 offset:12
	v_cmp_gt_u32_e32 vcc, 3, v0
	s_waitcnt vmcnt(0)
	ds_write_b32 v110, v112
	s_waitcnt lgkmcnt(0)
	; wave barrier
	s_waitcnt lgkmcnt(0)
	s_and_saveexec_b64 s[8:9], vcc
	s_cbranch_execz .LBB53_550
; %bb.543:
	s_and_b64 vcc, exec, s[4:5]
	s_cbranch_vccnz .LBB53_545
; %bb.544:
	buffer_load_dword v112, v111, s[0:3], 0 offen
	ds_read_b32 v113, v110
	s_waitcnt vmcnt(0) lgkmcnt(0)
	v_mul_f32_e32 v112, v112, v113
	s_cbranch_execz .LBB53_546
	s_branch .LBB53_547
.LBB53_545:
                                        ; implicit-def: $vgpr112
.LBB53_546:
	ds_read_b32 v112, v110
.LBB53_547:
	v_cmp_ne_u32_e32 vcc, 2, v0
	s_and_saveexec_b64 s[10:11], vcc
	s_cbranch_execz .LBB53_549
; %bb.548:
	buffer_load_dword v113, v111, s[0:3], 0 offen offset:4
	buffer_load_dword v114, off, s[0:3], 0 offset:8
	v_mov_b32_e32 v115, 0
	ds_read_b32 v116, v110 offset:4
	ds_read_b32 v115, v115 offset:232
	s_waitcnt vmcnt(1) lgkmcnt(1)
	v_fmac_f32_e32 v112, v113, v116
	s_waitcnt vmcnt(0) lgkmcnt(0)
	v_fma_f32 v113, v114, v115, v112
	v_cndmask_b32_e64 v112, v112, v113, s[6:7]
.LBB53_549:
	s_or_b64 exec, exec, s[10:11]
	v_mov_b32_e32 v113, 0
	ds_read_b32 v113, v113 offset:12
	s_waitcnt lgkmcnt(0)
	v_mul_f32_e32 v112, v112, v113
	buffer_store_dword v112, off, s[0:3], 0 offset:12
.LBB53_550:
	s_or_b64 exec, exec, s[8:9]
	buffer_load_dword v112, off, s[0:3], 0 offset:16
	v_cmp_gt_u32_e32 vcc, 4, v0
	s_waitcnt vmcnt(0)
	ds_write_b32 v110, v112
	s_waitcnt lgkmcnt(0)
	; wave barrier
	s_waitcnt lgkmcnt(0)
	s_and_saveexec_b64 s[6:7], vcc
	s_cbranch_execz .LBB53_560
; %bb.551:
	s_and_b64 vcc, exec, s[4:5]
	s_cbranch_vccnz .LBB53_553
; %bb.552:
	buffer_load_dword v112, v111, s[0:3], 0 offen
	ds_read_b32 v113, v110
	s_waitcnt vmcnt(0) lgkmcnt(0)
	v_mul_f32_e32 v112, v112, v113
	s_cbranch_execz .LBB53_554
	s_branch .LBB53_555
.LBB53_553:
                                        ; implicit-def: $vgpr112
.LBB53_554:
	ds_read_b32 v112, v110
.LBB53_555:
	v_cmp_ne_u32_e32 vcc, 3, v0
	s_and_saveexec_b64 s[8:9], vcc
	s_cbranch_execz .LBB53_559
; %bb.556:
	v_mov_b32_e32 v114, 0
	v_add_u32_e32 v113, 0xe4, v1
	v_add3_u32 v114, v1, v114, 4
	s_mov_b64 s[10:11], 0
	v_mov_b32_e32 v115, v0
.LBB53_557:                             ; =>This Inner Loop Header: Depth=1
	buffer_load_dword v116, v114, s[0:3], 0 offen
	ds_read_b32 v117, v113
	v_add_u32_e32 v115, 1, v115
	v_cmp_lt_u32_e32 vcc, 2, v115
	v_add_u32_e32 v113, 4, v113
	v_add_u32_e32 v114, 4, v114
	s_or_b64 s[10:11], vcc, s[10:11]
	s_waitcnt vmcnt(0) lgkmcnt(0)
	v_fmac_f32_e32 v112, v116, v117
	s_andn2_b64 exec, exec, s[10:11]
	s_cbranch_execnz .LBB53_557
; %bb.558:
	s_or_b64 exec, exec, s[10:11]
.LBB53_559:
	s_or_b64 exec, exec, s[8:9]
	v_mov_b32_e32 v113, 0
	ds_read_b32 v113, v113 offset:16
	s_waitcnt lgkmcnt(0)
	v_mul_f32_e32 v112, v112, v113
	buffer_store_dword v112, off, s[0:3], 0 offset:16
.LBB53_560:
	s_or_b64 exec, exec, s[6:7]
	buffer_load_dword v112, off, s[0:3], 0 offset:20
	v_cmp_gt_u32_e32 vcc, 5, v0
	s_waitcnt vmcnt(0)
	ds_write_b32 v110, v112
	s_waitcnt lgkmcnt(0)
	; wave barrier
	s_waitcnt lgkmcnt(0)
	s_and_saveexec_b64 s[6:7], vcc
	s_cbranch_execz .LBB53_570
; %bb.561:
	s_and_b64 vcc, exec, s[4:5]
	s_cbranch_vccnz .LBB53_563
; %bb.562:
	buffer_load_dword v112, v111, s[0:3], 0 offen
	ds_read_b32 v113, v110
	s_waitcnt vmcnt(0) lgkmcnt(0)
	v_mul_f32_e32 v112, v112, v113
	s_cbranch_execz .LBB53_564
	s_branch .LBB53_565
.LBB53_563:
                                        ; implicit-def: $vgpr112
.LBB53_564:
	ds_read_b32 v112, v110
.LBB53_565:
	v_cmp_ne_u32_e32 vcc, 4, v0
	s_and_saveexec_b64 s[8:9], vcc
	s_cbranch_execz .LBB53_569
; %bb.566:
	v_mov_b32_e32 v114, 0
	v_add_u32_e32 v113, 0xe4, v1
	v_add3_u32 v114, v1, v114, 4
	s_mov_b64 s[10:11], 0
	v_mov_b32_e32 v115, v0
.LBB53_567:                             ; =>This Inner Loop Header: Depth=1
	buffer_load_dword v116, v114, s[0:3], 0 offen
	ds_read_b32 v117, v113
	v_add_u32_e32 v115, 1, v115
	v_cmp_lt_u32_e32 vcc, 3, v115
	v_add_u32_e32 v113, 4, v113
	v_add_u32_e32 v114, 4, v114
	s_or_b64 s[10:11], vcc, s[10:11]
	s_waitcnt vmcnt(0) lgkmcnt(0)
	v_fmac_f32_e32 v112, v116, v117
	s_andn2_b64 exec, exec, s[10:11]
	s_cbranch_execnz .LBB53_567
; %bb.568:
	s_or_b64 exec, exec, s[10:11]
.LBB53_569:
	s_or_b64 exec, exec, s[8:9]
	v_mov_b32_e32 v113, 0
	ds_read_b32 v113, v113 offset:20
	s_waitcnt lgkmcnt(0)
	v_mul_f32_e32 v112, v112, v113
	buffer_store_dword v112, off, s[0:3], 0 offset:20
.LBB53_570:
	;; [unrolled: 56-line block ×45, first 2 shown]
	s_or_b64 exec, exec, s[6:7]
	buffer_load_dword v112, off, s[0:3], 0 offset:196
	v_cmp_gt_u32_e32 vcc, 49, v0
	s_waitcnt vmcnt(0)
	ds_write_b32 v110, v112
	s_waitcnt lgkmcnt(0)
	; wave barrier
	s_waitcnt lgkmcnt(0)
	s_and_saveexec_b64 s[6:7], vcc
	s_cbranch_execz .LBB53_1010
; %bb.1001:
	s_and_b64 vcc, exec, s[4:5]
	s_cbranch_vccnz .LBB53_1003
; %bb.1002:
	buffer_load_dword v112, v111, s[0:3], 0 offen
	ds_read_b32 v113, v110
	s_waitcnt vmcnt(0) lgkmcnt(0)
	v_mul_f32_e32 v112, v112, v113
	s_cbranch_execz .LBB53_1004
	s_branch .LBB53_1005
.LBB53_1003:
                                        ; implicit-def: $vgpr112
.LBB53_1004:
	ds_read_b32 v112, v110
.LBB53_1005:
	v_cmp_ne_u32_e32 vcc, 48, v0
	s_and_saveexec_b64 s[8:9], vcc
	s_cbranch_execz .LBB53_1009
; %bb.1006:
	v_mov_b32_e32 v114, 0
	v_add_u32_e32 v113, 0xe4, v1
	v_add3_u32 v114, v1, v114, 4
	s_mov_b64 s[10:11], 0
	v_mov_b32_e32 v115, v0
.LBB53_1007:                            ; =>This Inner Loop Header: Depth=1
	buffer_load_dword v116, v114, s[0:3], 0 offen
	ds_read_b32 v117, v113
	v_add_u32_e32 v115, 1, v115
	v_cmp_lt_u32_e32 vcc, 47, v115
	v_add_u32_e32 v113, 4, v113
	v_add_u32_e32 v114, 4, v114
	s_or_b64 s[10:11], vcc, s[10:11]
	s_waitcnt vmcnt(0) lgkmcnt(0)
	v_fmac_f32_e32 v112, v116, v117
	s_andn2_b64 exec, exec, s[10:11]
	s_cbranch_execnz .LBB53_1007
; %bb.1008:
	s_or_b64 exec, exec, s[10:11]
.LBB53_1009:
	s_or_b64 exec, exec, s[8:9]
	v_mov_b32_e32 v113, 0
	ds_read_b32 v113, v113 offset:196
	s_waitcnt lgkmcnt(0)
	v_mul_f32_e32 v112, v112, v113
	buffer_store_dword v112, off, s[0:3], 0 offset:196
.LBB53_1010:
	s_or_b64 exec, exec, s[6:7]
	buffer_load_dword v112, off, s[0:3], 0 offset:200
	v_cmp_gt_u32_e32 vcc, 50, v0
	s_waitcnt vmcnt(0)
	ds_write_b32 v110, v112
	s_waitcnt lgkmcnt(0)
	; wave barrier
	s_waitcnt lgkmcnt(0)
	s_and_saveexec_b64 s[6:7], vcc
	s_cbranch_execz .LBB53_1020
; %bb.1011:
	s_and_b64 vcc, exec, s[4:5]
	s_cbranch_vccnz .LBB53_1013
; %bb.1012:
	buffer_load_dword v112, v111, s[0:3], 0 offen
	ds_read_b32 v113, v110
	s_waitcnt vmcnt(0) lgkmcnt(0)
	v_mul_f32_e32 v112, v112, v113
	s_cbranch_execz .LBB53_1014
	s_branch .LBB53_1015
.LBB53_1013:
                                        ; implicit-def: $vgpr112
.LBB53_1014:
	ds_read_b32 v112, v110
.LBB53_1015:
	v_cmp_ne_u32_e32 vcc, 49, v0
	s_and_saveexec_b64 s[8:9], vcc
	s_cbranch_execz .LBB53_1019
; %bb.1016:
	v_mov_b32_e32 v114, 0
	v_add_u32_e32 v113, 0xe4, v1
	v_add3_u32 v114, v1, v114, 4
	s_mov_b64 s[10:11], 0
	v_mov_b32_e32 v115, v0
.LBB53_1017:                            ; =>This Inner Loop Header: Depth=1
	buffer_load_dword v116, v114, s[0:3], 0 offen
	ds_read_b32 v117, v113
	v_add_u32_e32 v115, 1, v115
	v_cmp_lt_u32_e32 vcc, 48, v115
	v_add_u32_e32 v113, 4, v113
	v_add_u32_e32 v114, 4, v114
	s_or_b64 s[10:11], vcc, s[10:11]
	s_waitcnt vmcnt(0) lgkmcnt(0)
	v_fmac_f32_e32 v112, v116, v117
	s_andn2_b64 exec, exec, s[10:11]
	s_cbranch_execnz .LBB53_1017
; %bb.1018:
	s_or_b64 exec, exec, s[10:11]
.LBB53_1019:
	s_or_b64 exec, exec, s[8:9]
	v_mov_b32_e32 v113, 0
	ds_read_b32 v113, v113 offset:200
	s_waitcnt lgkmcnt(0)
	v_mul_f32_e32 v112, v112, v113
	buffer_store_dword v112, off, s[0:3], 0 offset:200
.LBB53_1020:
	;; [unrolled: 56-line block ×3, first 2 shown]
	s_or_b64 exec, exec, s[6:7]
	buffer_load_dword v112, off, s[0:3], 0 offset:208
	v_cmp_gt_u32_e64 s[6:7], 52, v0
	s_waitcnt vmcnt(0)
	ds_write_b32 v110, v112
	s_waitcnt lgkmcnt(0)
	; wave barrier
	s_waitcnt lgkmcnt(0)
	s_and_saveexec_b64 s[8:9], s[6:7]
	s_cbranch_execz .LBB53_1040
; %bb.1031:
	s_and_b64 vcc, exec, s[4:5]
	s_cbranch_vccnz .LBB53_1033
; %bb.1032:
	buffer_load_dword v112, v111, s[0:3], 0 offen
	ds_read_b32 v113, v110
	s_waitcnt vmcnt(0) lgkmcnt(0)
	v_mul_f32_e32 v112, v112, v113
	s_cbranch_execz .LBB53_1034
	s_branch .LBB53_1035
.LBB53_1033:
                                        ; implicit-def: $vgpr112
.LBB53_1034:
	ds_read_b32 v112, v110
.LBB53_1035:
	v_cmp_ne_u32_e32 vcc, 51, v0
	s_and_saveexec_b64 s[10:11], vcc
	s_cbranch_execz .LBB53_1039
; %bb.1036:
	v_mov_b32_e32 v114, 0
	v_add_u32_e32 v113, 0xe4, v1
	v_add3_u32 v114, v1, v114, 4
	s_mov_b64 s[12:13], 0
	v_mov_b32_e32 v115, v0
.LBB53_1037:                            ; =>This Inner Loop Header: Depth=1
	buffer_load_dword v116, v114, s[0:3], 0 offen
	ds_read_b32 v117, v113
	v_add_u32_e32 v115, 1, v115
	v_cmp_lt_u32_e32 vcc, 50, v115
	v_add_u32_e32 v113, 4, v113
	v_add_u32_e32 v114, 4, v114
	s_or_b64 s[12:13], vcc, s[12:13]
	s_waitcnt vmcnt(0) lgkmcnt(0)
	v_fmac_f32_e32 v112, v116, v117
	s_andn2_b64 exec, exec, s[12:13]
	s_cbranch_execnz .LBB53_1037
; %bb.1038:
	s_or_b64 exec, exec, s[12:13]
.LBB53_1039:
	s_or_b64 exec, exec, s[10:11]
	v_mov_b32_e32 v113, 0
	ds_read_b32 v113, v113 offset:208
	s_waitcnt lgkmcnt(0)
	v_mul_f32_e32 v112, v112, v113
	buffer_store_dword v112, off, s[0:3], 0 offset:208
.LBB53_1040:
	s_or_b64 exec, exec, s[8:9]
	buffer_load_dword v112, off, s[0:3], 0 offset:212
	v_cmp_ne_u32_e32 vcc, 53, v0
	s_waitcnt vmcnt(0)
	ds_write_b32 v110, v112
	s_waitcnt lgkmcnt(0)
	; wave barrier
	s_waitcnt lgkmcnt(0)
	s_and_saveexec_b64 s[8:9], vcc
	s_cbranch_execz .LBB53_1050
; %bb.1041:
	s_and_b64 vcc, exec, s[4:5]
	s_cbranch_vccnz .LBB53_1043
; %bb.1042:
	buffer_load_dword v111, v111, s[0:3], 0 offen
	ds_read_b32 v112, v110
	s_waitcnt vmcnt(0) lgkmcnt(0)
	v_mul_f32_e32 v111, v111, v112
	s_cbranch_execz .LBB53_1044
	s_branch .LBB53_1045
.LBB53_1043:
                                        ; implicit-def: $vgpr111
.LBB53_1044:
	ds_read_b32 v111, v110
.LBB53_1045:
	s_and_saveexec_b64 s[4:5], s[6:7]
	s_cbranch_execz .LBB53_1049
; %bb.1046:
	v_mov_b32_e32 v112, 0
	v_add_u32_e32 v110, 0xe4, v1
	v_add3_u32 v1, v1, v112, 4
	s_mov_b64 s[6:7], 0
.LBB53_1047:                            ; =>This Inner Loop Header: Depth=1
	buffer_load_dword v112, v1, s[0:3], 0 offen
	ds_read_b32 v113, v110
	v_add_u32_e32 v0, 1, v0
	v_cmp_lt_u32_e32 vcc, 51, v0
	v_add_u32_e32 v110, 4, v110
	v_add_u32_e32 v1, 4, v1
	s_or_b64 s[6:7], vcc, s[6:7]
	s_waitcnt vmcnt(0) lgkmcnt(0)
	v_fmac_f32_e32 v111, v112, v113
	s_andn2_b64 exec, exec, s[6:7]
	s_cbranch_execnz .LBB53_1047
; %bb.1048:
	s_or_b64 exec, exec, s[6:7]
.LBB53_1049:
	s_or_b64 exec, exec, s[4:5]
	v_mov_b32_e32 v0, 0
	ds_read_b32 v0, v0 offset:212
	s_waitcnt lgkmcnt(0)
	v_mul_f32_e32 v0, v111, v0
	buffer_store_dword v0, off, s[0:3], 0 offset:212
.LBB53_1050:
	s_or_b64 exec, exec, s[8:9]
.LBB53_1051:
	buffer_load_dword v0, off, s[0:3], 0
	buffer_load_dword v1, off, s[0:3], 0 offset:4
	buffer_load_dword v110, off, s[0:3], 0 offset:8
	;; [unrolled: 1-line block ×53, first 2 shown]
	s_waitcnt vmcnt(53)
	global_store_dword v[104:105], v0, off
	s_waitcnt vmcnt(53)
	global_store_dword v[106:107], v1, off
	;; [unrolled: 2-line block ×54, first 2 shown]
.LBB53_1052:
	s_endpgm
	.section	.rodata,"a",@progbits
	.p2align	6, 0x0
	.amdhsa_kernel _ZN9rocsolver6v33100L18trti2_kernel_smallILi54EfPfEEv13rocblas_fill_17rocblas_diagonal_T1_iil
		.amdhsa_group_segment_fixed_size 440
		.amdhsa_private_segment_fixed_size 224
		.amdhsa_kernarg_size 32
		.amdhsa_user_sgpr_count 8
		.amdhsa_user_sgpr_private_segment_buffer 1
		.amdhsa_user_sgpr_dispatch_ptr 0
		.amdhsa_user_sgpr_queue_ptr 0
		.amdhsa_user_sgpr_kernarg_segment_ptr 1
		.amdhsa_user_sgpr_dispatch_id 0
		.amdhsa_user_sgpr_flat_scratch_init 1
		.amdhsa_user_sgpr_kernarg_preload_length 0
		.amdhsa_user_sgpr_kernarg_preload_offset 0
		.amdhsa_user_sgpr_private_segment_size 0
		.amdhsa_uses_dynamic_stack 0
		.amdhsa_system_sgpr_private_segment_wavefront_offset 1
		.amdhsa_system_sgpr_workgroup_id_x 1
		.amdhsa_system_sgpr_workgroup_id_y 0
		.amdhsa_system_sgpr_workgroup_id_z 0
		.amdhsa_system_sgpr_workgroup_info 0
		.amdhsa_system_vgpr_workitem_id 0
		.amdhsa_next_free_vgpr 164
		.amdhsa_next_free_sgpr 20
		.amdhsa_accum_offset 164
		.amdhsa_reserve_vcc 1
		.amdhsa_reserve_flat_scratch 0
		.amdhsa_float_round_mode_32 0
		.amdhsa_float_round_mode_16_64 0
		.amdhsa_float_denorm_mode_32 3
		.amdhsa_float_denorm_mode_16_64 3
		.amdhsa_dx10_clamp 1
		.amdhsa_ieee_mode 1
		.amdhsa_fp16_overflow 0
		.amdhsa_tg_split 0
		.amdhsa_exception_fp_ieee_invalid_op 0
		.amdhsa_exception_fp_denorm_src 0
		.amdhsa_exception_fp_ieee_div_zero 0
		.amdhsa_exception_fp_ieee_overflow 0
		.amdhsa_exception_fp_ieee_underflow 0
		.amdhsa_exception_fp_ieee_inexact 0
		.amdhsa_exception_int_div_zero 0
	.end_amdhsa_kernel
	.section	.text._ZN9rocsolver6v33100L18trti2_kernel_smallILi54EfPfEEv13rocblas_fill_17rocblas_diagonal_T1_iil,"axG",@progbits,_ZN9rocsolver6v33100L18trti2_kernel_smallILi54EfPfEEv13rocblas_fill_17rocblas_diagonal_T1_iil,comdat
.Lfunc_end53:
	.size	_ZN9rocsolver6v33100L18trti2_kernel_smallILi54EfPfEEv13rocblas_fill_17rocblas_diagonal_T1_iil, .Lfunc_end53-_ZN9rocsolver6v33100L18trti2_kernel_smallILi54EfPfEEv13rocblas_fill_17rocblas_diagonal_T1_iil
                                        ; -- End function
	.section	.AMDGPU.csdata,"",@progbits
; Kernel info:
; codeLenInByte = 26432
; NumSgprs: 24
; NumVgprs: 164
; NumAgprs: 0
; TotalNumVgprs: 164
; ScratchSize: 224
; MemoryBound: 0
; FloatMode: 240
; IeeeMode: 1
; LDSByteSize: 440 bytes/workgroup (compile time only)
; SGPRBlocks: 2
; VGPRBlocks: 20
; NumSGPRsForWavesPerEU: 24
; NumVGPRsForWavesPerEU: 164
; AccumOffset: 164
; Occupancy: 3
; WaveLimiterHint : 0
; COMPUTE_PGM_RSRC2:SCRATCH_EN: 1
; COMPUTE_PGM_RSRC2:USER_SGPR: 8
; COMPUTE_PGM_RSRC2:TRAP_HANDLER: 0
; COMPUTE_PGM_RSRC2:TGID_X_EN: 1
; COMPUTE_PGM_RSRC2:TGID_Y_EN: 0
; COMPUTE_PGM_RSRC2:TGID_Z_EN: 0
; COMPUTE_PGM_RSRC2:TIDIG_COMP_CNT: 0
; COMPUTE_PGM_RSRC3_GFX90A:ACCUM_OFFSET: 40
; COMPUTE_PGM_RSRC3_GFX90A:TG_SPLIT: 0
	.section	.text._ZN9rocsolver6v33100L18trti2_kernel_smallILi55EfPfEEv13rocblas_fill_17rocblas_diagonal_T1_iil,"axG",@progbits,_ZN9rocsolver6v33100L18trti2_kernel_smallILi55EfPfEEv13rocblas_fill_17rocblas_diagonal_T1_iil,comdat
	.globl	_ZN9rocsolver6v33100L18trti2_kernel_smallILi55EfPfEEv13rocblas_fill_17rocblas_diagonal_T1_iil ; -- Begin function _ZN9rocsolver6v33100L18trti2_kernel_smallILi55EfPfEEv13rocblas_fill_17rocblas_diagonal_T1_iil
	.p2align	8
	.type	_ZN9rocsolver6v33100L18trti2_kernel_smallILi55EfPfEEv13rocblas_fill_17rocblas_diagonal_T1_iil,@function
_ZN9rocsolver6v33100L18trti2_kernel_smallILi55EfPfEEv13rocblas_fill_17rocblas_diagonal_T1_iil: ; @_ZN9rocsolver6v33100L18trti2_kernel_smallILi55EfPfEEv13rocblas_fill_17rocblas_diagonal_T1_iil
; %bb.0:
	s_add_u32 s0, s0, s9
	s_addc_u32 s1, s1, 0
	v_cmp_gt_u32_e32 vcc, 55, v0
	s_and_saveexec_b64 s[6:7], vcc
	s_cbranch_execz .LBB54_1072
; %bb.1:
	s_load_dwordx8 s[12:19], s[4:5], 0x0
	s_ashr_i32 s6, s8, 31
	s_waitcnt lgkmcnt(0)
	s_mul_i32 s7, s8, s19
	s_mul_hi_u32 s9, s8, s18
	s_add_i32 s7, s9, s7
	s_mul_i32 s6, s6, s18
	s_add_i32 s7, s7, s6
	s_mul_i32 s6, s8, s18
	s_ashr_i32 s5, s16, 31
	s_lshl_b64 s[6:7], s[6:7], 2
	s_mov_b32 s4, s16
	s_add_u32 s6, s14, s6
	s_addc_u32 s7, s15, s7
	s_lshl_b64 s[4:5], s[4:5], 2
	s_add_u32 s4, s6, s4
	s_addc_u32 s5, s7, s5
	s_add_i32 s6, s17, s17
	v_add_u32_e32 v4, s6, v0
	v_ashrrev_i32_e32 v5, 31, v4
	v_lshlrev_b64 v[2:3], 2, v[4:5]
	v_add_u32_e32 v6, s17, v4
	v_mov_b32_e32 v1, s5
	v_add_co_u32_e32 v2, vcc, s4, v2
	v_ashrrev_i32_e32 v7, 31, v6
	v_addc_co_u32_e32 v3, vcc, v1, v3, vcc
	v_lshlrev_b64 v[4:5], 2, v[6:7]
	v_add_u32_e32 v8, s17, v6
	v_add_co_u32_e32 v4, vcc, s4, v4
	v_ashrrev_i32_e32 v9, 31, v8
	v_addc_co_u32_e32 v5, vcc, v1, v5, vcc
	v_lshlrev_b64 v[6:7], 2, v[8:9]
	v_add_u32_e32 v10, s17, v8
	;; [unrolled: 5-line block ×47, first 2 shown]
	v_add_co_u32_e32 v96, vcc, s4, v96
	v_ashrrev_i32_e32 v101, 31, v100
	v_addc_co_u32_e32 v97, vcc, v1, v97, vcc
	v_lshlrev_b64 v[98:99], 2, v[100:101]
	v_add_co_u32_e32 v98, vcc, s4, v98
	v_addc_co_u32_e32 v99, vcc, v1, v99, vcc
	v_lshlrev_b32_e32 v1, 2, v0
	v_add_u32_e32 v102, s17, v100
	v_mov_b32_e32 v100, s5
	v_add_co_u32_e32 v110, vcc, s4, v1
	s_ashr_i32 s7, s17, 31
	s_mov_b32 s6, s17
	v_addc_co_u32_e32 v111, vcc, 0, v100, vcc
	s_lshl_b64 s[6:7], s[6:7], 2
	v_mov_b32_e32 v100, s7
	v_add_co_u32_e32 v108, vcc, s6, v110
	v_addc_co_u32_e32 v109, vcc, v111, v100, vcc
	global_load_dword v112, v1, s[4:5]
	global_load_dword v113, v[108:109], off
	global_load_dword v114, v[4:5], off
	v_ashrrev_i32_e32 v103, 31, v102
	v_lshlrev_b64 v[100:101], 2, v[102:103]
	v_mov_b32_e32 v104, s5
	v_add_co_u32_e32 v100, vcc, s4, v100
	v_addc_co_u32_e32 v101, vcc, v104, v101, vcc
	v_add_u32_e32 v104, s17, v102
	v_ashrrev_i32_e32 v105, 31, v104
	v_lshlrev_b64 v[102:103], 2, v[104:105]
	v_mov_b32_e32 v106, s5
	v_add_co_u32_e32 v102, vcc, s4, v102
	v_addc_co_u32_e32 v103, vcc, v106, v103, vcc
	v_add_u32_e32 v106, s17, v104
	v_ashrrev_i32_e32 v107, 31, v106
	v_lshlrev_b64 v[104:105], 2, v[106:107]
	v_add_u32_e32 v106, s17, v106
	v_mov_b32_e32 v115, s5
	v_add_co_u32_e32 v104, vcc, s4, v104
	v_ashrrev_i32_e32 v107, 31, v106
	v_addc_co_u32_e32 v105, vcc, v115, v105, vcc
	v_lshlrev_b64 v[106:107], 2, v[106:107]
	v_add_co_u32_e32 v106, vcc, s4, v106
	v_addc_co_u32_e32 v107, vcc, v115, v107, vcc
	global_load_dword v115, v[6:7], off
	global_load_dword v116, v[8:9], off
	;; [unrolled: 1-line block ×47, first 2 shown]
	s_waitcnt vmcnt(49)
	buffer_store_dword v112, off, s[0:3], 0
	s_waitcnt vmcnt(49)
	buffer_store_dword v113, off, s[0:3], 0 offset:4
	s_waitcnt vmcnt(49)
	buffer_store_dword v114, off, s[0:3], 0 offset:12
	global_load_dword v112, v[96:97], off
	global_load_dword v113, v[102:103], off
	s_nop 0
	global_load_dword v114, v[100:101], off
	global_load_dword v162, v[98:99], off
	global_load_dword v163, v[104:105], off
	s_cmpk_lg_i32 s13, 0x84
	s_waitcnt vmcnt(49)
	buffer_store_dword v120, off, s[0:3], 0 offset:8
	buffer_store_dword v115, off, s[0:3], 0 offset:16
	;; [unrolled: 1-line block ×6, first 2 shown]
	s_waitcnt vmcnt(54)
	buffer_store_dword v121, off, s[0:3], 0 offset:36
	s_waitcnt vmcnt(49)
	buffer_store_dword v127, off, s[0:3], 0 offset:44
	;; [unrolled: 2-line block ×3, first 2 shown]
	buffer_store_dword v122, off, s[0:3], 0 offset:48
	buffer_store_dword v123, off, s[0:3], 0 offset:52
	;; [unrolled: 1-line block ×5, first 2 shown]
	s_waitcnt vmcnt(54)
	buffer_store_dword v129, off, s[0:3], 0 offset:68
	s_waitcnt vmcnt(54)
	buffer_store_dword v130, off, s[0:3], 0 offset:72
	;; [unrolled: 2-line block ×5, first 2 shown]
	buffer_store_dword v133, off, s[0:3], 0 offset:92
	buffer_store_dword v134, off, s[0:3], 0 offset:88
	s_waitcnt vmcnt(53)
	buffer_store_dword v137, off, s[0:3], 0 offset:100
	buffer_store_dword v132, off, s[0:3], 0 offset:96
	s_waitcnt vmcnt(49)
	buffer_store_dword v143, off, s[0:3], 0 offset:108
	s_waitcnt vmcnt(49)
	buffer_store_dword v144, off, s[0:3], 0 offset:104
	buffer_store_dword v141, off, s[0:3], 0 offset:116
	buffer_store_dword v142, off, s[0:3], 0 offset:112
	buffer_store_dword v139, off, s[0:3], 0 offset:124
	buffer_store_dword v140, off, s[0:3], 0 offset:120
	s_waitcnt vmcnt(53)
	buffer_store_dword v145, off, s[0:3], 0 offset:132
	buffer_store_dword v138, off, s[0:3], 0 offset:128
	s_waitcnt vmcnt(49)
	buffer_store_dword v151, off, s[0:3], 0 offset:140
	s_waitcnt vmcnt(49)
	buffer_store_dword v152, off, s[0:3], 0 offset:136
	buffer_store_dword v149, off, s[0:3], 0 offset:148
	buffer_store_dword v150, off, s[0:3], 0 offset:144
	;; [unrolled: 11-line block ×3, first 2 shown]
	buffer_store_dword v155, off, s[0:3], 0 offset:188
	buffer_store_dword v156, off, s[0:3], 0 offset:184
	s_waitcnt vmcnt(49)
	buffer_store_dword v112, off, s[0:3], 0 offset:196
	buffer_store_dword v154, off, s[0:3], 0 offset:192
	s_waitcnt vmcnt(49)
	buffer_store_dword v114, off, s[0:3], 0 offset:204
	s_waitcnt vmcnt(49)
	;; [unrolled: 2-line block ×3, first 2 shown]
	buffer_store_dword v163, off, s[0:3], 0 offset:212
	buffer_store_dword v113, off, s[0:3], 0 offset:208
	;; [unrolled: 1-line block ×3, first 2 shown]
	s_cselect_b64 s[10:11], -1, 0
	s_cmpk_eq_i32 s13, 0x84
	v_mov_b32_e32 v139, 0
	v_mov_b32_e32 v112, -1.0
	s_cbranch_scc1 .LBB54_3
; %bb.2:
	v_lshl_add_u32 v112, v0, 2, v139
	buffer_load_dword v113, v112, s[0:3], 0 offen
	s_waitcnt vmcnt(0)
	v_div_scale_f32 v114, s[4:5], v113, v113, 1.0
	v_rcp_f32_e32 v115, v114
	v_div_scale_f32 v116, vcc, 1.0, v113, 1.0
	v_fma_f32 v117, -v114, v115, 1.0
	v_fmac_f32_e32 v115, v117, v115
	v_mul_f32_e32 v117, v116, v115
	v_fma_f32 v118, -v114, v117, v116
	v_fmac_f32_e32 v117, v118, v115
	v_fma_f32 v114, -v114, v117, v116
	v_div_fmas_f32 v114, v114, v115, v117
	v_div_fixup_f32 v113, v114, v113, 1.0
	buffer_store_dword v113, v112, s[0:3], 0 offen
	v_xor_b32_e32 v112, 0x80000000, v113
.LBB54_3:
	ds_write_b32 v1, v112
	s_cmpk_eq_i32 s12, 0x79
	v_add_u32_e32 v112, 0xe0, v1
	v_add_u32_e32 v113, 0, v1
	s_mov_b64 s[4:5], -1
	s_cbranch_scc1 .LBB54_537
; %bb.4:
	buffer_load_dword v114, off, s[0:3], 0 offset:212
	v_cmp_eq_u32_e64 s[4:5], 54, v0
	s_waitcnt vmcnt(0)
	ds_write_b32 v112, v114
	s_waitcnt lgkmcnt(0)
	; wave barrier
	s_waitcnt lgkmcnt(0)
	s_and_saveexec_b64 s[6:7], s[4:5]
	s_cbranch_execz .LBB54_10
; %bb.5:
	s_and_b64 vcc, exec, s[10:11]
	s_cbranch_vccz .LBB54_7
; %bb.6:
	buffer_load_dword v114, v113, s[0:3], 0 offen
	ds_read_b32 v115, v112
	s_waitcnt vmcnt(0) lgkmcnt(0)
	v_mul_f32_e32 v114, v114, v115
	s_cbranch_execz .LBB54_8
	s_branch .LBB54_9
.LBB54_7:
                                        ; implicit-def: $vgpr114
.LBB54_8:
	ds_read_b32 v114, v112
.LBB54_9:
	v_mov_b32_e32 v115, 0
	ds_read_b32 v115, v115 offset:212
	s_waitcnt lgkmcnt(0)
	v_mul_f32_e32 v114, v114, v115
	buffer_store_dword v114, off, s[0:3], 0 offset:212
.LBB54_10:
	s_or_b64 exec, exec, s[6:7]
	buffer_load_dword v140, off, s[0:3], 0 offset:208
	v_or_b32_e32 v114, 8, v139
	v_add_u32_e32 v115, 16, v139
	v_add_u32_e32 v116, 24, v139
	;; [unrolled: 1-line block ×25, first 2 shown]
	v_cmp_lt_u32_e64 s[8:9], 52, v0
	s_waitcnt vmcnt(0)
	ds_write_b32 v112, v140
	s_waitcnt lgkmcnt(0)
	; wave barrier
	s_waitcnt lgkmcnt(0)
	s_and_saveexec_b64 s[6:7], s[8:9]
	s_cbranch_execz .LBB54_16
; %bb.11:
	s_andn2_b64 vcc, exec, s[10:11]
	s_cbranch_vccnz .LBB54_13
; %bb.12:
	buffer_load_dword v140, v113, s[0:3], 0 offen
	ds_read_b32 v141, v112
	s_waitcnt vmcnt(0) lgkmcnt(0)
	v_mul_f32_e32 v140, v140, v141
	s_cbranch_execz .LBB54_14
	s_branch .LBB54_15
.LBB54_13:
                                        ; implicit-def: $vgpr140
.LBB54_14:
	ds_read_b32 v140, v112
.LBB54_15:
	buffer_load_dword v141, off, s[0:3], 0 offset:212
	v_mov_b32_e32 v142, 0
	ds_read2_b32 v[142:143], v142 offset0:52 offset1:109
	s_waitcnt vmcnt(0) lgkmcnt(0)
	v_fma_f32 v141, v141, v143, v140
	v_cndmask_b32_e64 v140, v140, v141, s[4:5]
	v_mul_f32_e32 v140, v140, v142
	buffer_store_dword v140, off, s[0:3], 0 offset:208
.LBB54_16:
	s_or_b64 exec, exec, s[6:7]
	buffer_load_dword v140, off, s[0:3], 0 offset:204
	v_cmp_lt_u32_e64 s[6:7], 51, v0
	s_waitcnt vmcnt(0)
	ds_write_b32 v112, v140
	s_waitcnt lgkmcnt(0)
	; wave barrier
	s_waitcnt lgkmcnt(0)
	s_and_saveexec_b64 s[4:5], s[6:7]
	s_cbranch_execz .LBB54_26
; %bb.17:
	s_andn2_b64 vcc, exec, s[10:11]
	s_cbranch_vccnz .LBB54_19
; %bb.18:
	buffer_load_dword v140, v113, s[0:3], 0 offen
	ds_read_b32 v141, v112
	s_waitcnt vmcnt(0) lgkmcnt(0)
	v_mul_f32_e32 v140, v140, v141
	s_cbranch_execz .LBB54_20
	s_branch .LBB54_21
.LBB54_19:
                                        ; implicit-def: $vgpr140
.LBB54_20:
	ds_read_b32 v140, v112
.LBB54_21:
	s_and_saveexec_b64 s[12:13], s[8:9]
	s_cbranch_execz .LBB54_25
; %bb.22:
	v_subrev_u32_e32 v141, 52, v0
	s_movk_i32 s14, 0x1b0
	s_mov_b64 s[8:9], 0
.LBB54_23:                              ; =>This Inner Loop Header: Depth=1
	buffer_load_dword v142, v139, s[0:3], 0 offen
	v_mov_b32_e32 v143, s14
	ds_read_b32 v143, v143
	v_add_u32_e32 v141, -1, v141
	s_add_i32 s14, s14, 4
	v_cmp_eq_u32_e32 vcc, 0, v141
	v_add_u32_e32 v139, 4, v139
	s_or_b64 s[8:9], vcc, s[8:9]
	s_waitcnt vmcnt(0) lgkmcnt(0)
	v_fmac_f32_e32 v140, v142, v143
	s_andn2_b64 exec, exec, s[8:9]
	s_cbranch_execnz .LBB54_23
; %bb.24:
	s_or_b64 exec, exec, s[8:9]
.LBB54_25:
	s_or_b64 exec, exec, s[12:13]
	v_mov_b32_e32 v139, 0
	ds_read_b32 v139, v139 offset:204
	s_waitcnt lgkmcnt(0)
	v_mul_f32_e32 v139, v140, v139
	buffer_store_dword v139, off, s[0:3], 0 offset:204
.LBB54_26:
	s_or_b64 exec, exec, s[4:5]
	buffer_load_dword v139, off, s[0:3], 0 offset:200
	v_cmp_lt_u32_e64 s[4:5], 50, v0
	s_waitcnt vmcnt(0)
	ds_write_b32 v112, v139
	s_waitcnt lgkmcnt(0)
	; wave barrier
	s_waitcnt lgkmcnt(0)
	s_and_saveexec_b64 s[8:9], s[4:5]
	s_cbranch_execz .LBB54_36
; %bb.27:
	s_andn2_b64 vcc, exec, s[10:11]
	s_cbranch_vccnz .LBB54_29
; %bb.28:
	buffer_load_dword v139, v113, s[0:3], 0 offen
	ds_read_b32 v140, v112
	s_waitcnt vmcnt(0) lgkmcnt(0)
	v_mul_f32_e32 v139, v139, v140
	s_cbranch_execz .LBB54_30
	s_branch .LBB54_31
.LBB54_29:
                                        ; implicit-def: $vgpr139
.LBB54_30:
	ds_read_b32 v139, v112
.LBB54_31:
	s_and_saveexec_b64 s[12:13], s[6:7]
	s_cbranch_execz .LBB54_35
; %bb.32:
	v_mov_b32_e32 v140, 0
	v_add_u32_e32 v140, 0xcc, v140
	v_subrev_u32_e32 v141, 51, v0
	s_movk_i32 s14, 0x1ac
	s_mov_b64 s[6:7], 0
.LBB54_33:                              ; =>This Inner Loop Header: Depth=1
	buffer_load_dword v142, v140, s[0:3], 0 offen
	v_mov_b32_e32 v143, s14
	ds_read_b32 v143, v143
	v_add_u32_e32 v141, -1, v141
	s_add_i32 s14, s14, 4
	v_cmp_eq_u32_e32 vcc, 0, v141
	v_add_u32_e32 v140, 4, v140
	s_or_b64 s[6:7], vcc, s[6:7]
	s_waitcnt vmcnt(0) lgkmcnt(0)
	v_fmac_f32_e32 v139, v142, v143
	s_andn2_b64 exec, exec, s[6:7]
	s_cbranch_execnz .LBB54_33
; %bb.34:
	s_or_b64 exec, exec, s[6:7]
.LBB54_35:
	s_or_b64 exec, exec, s[12:13]
	v_mov_b32_e32 v140, 0
	ds_read_b32 v140, v140 offset:200
	s_waitcnt lgkmcnt(0)
	v_mul_f32_e32 v139, v139, v140
	buffer_store_dword v139, off, s[0:3], 0 offset:200
.LBB54_36:
	s_or_b64 exec, exec, s[8:9]
	buffer_load_dword v139, off, s[0:3], 0 offset:196
	v_cmp_lt_u32_e64 s[6:7], 49, v0
	s_waitcnt vmcnt(0)
	ds_write_b32 v112, v139
	s_waitcnt lgkmcnt(0)
	; wave barrier
	s_waitcnt lgkmcnt(0)
	s_and_saveexec_b64 s[8:9], s[6:7]
	s_cbranch_execz .LBB54_46
; %bb.37:
	s_andn2_b64 vcc, exec, s[10:11]
	s_cbranch_vccnz .LBB54_39
; %bb.38:
	buffer_load_dword v139, v113, s[0:3], 0 offen
	ds_read_b32 v140, v112
	s_waitcnt vmcnt(0) lgkmcnt(0)
	v_mul_f32_e32 v139, v139, v140
	s_cbranch_execz .LBB54_40
	s_branch .LBB54_41
.LBB54_39:
                                        ; implicit-def: $vgpr139
.LBB54_40:
	ds_read_b32 v139, v112
.LBB54_41:
	s_and_saveexec_b64 s[12:13], s[4:5]
	s_cbranch_execz .LBB54_45
; %bb.42:
	v_subrev_u32_e32 v140, 50, v0
	s_movk_i32 s14, 0x1a8
	s_mov_b64 s[4:5], 0
.LBB54_43:                              ; =>This Inner Loop Header: Depth=1
	buffer_load_dword v141, v138, s[0:3], 0 offen
	v_mov_b32_e32 v142, s14
	ds_read_b32 v142, v142
	v_add_u32_e32 v140, -1, v140
	s_add_i32 s14, s14, 4
	v_cmp_eq_u32_e32 vcc, 0, v140
	v_add_u32_e32 v138, 4, v138
	s_or_b64 s[4:5], vcc, s[4:5]
	s_waitcnt vmcnt(0) lgkmcnt(0)
	v_fmac_f32_e32 v139, v141, v142
	s_andn2_b64 exec, exec, s[4:5]
	s_cbranch_execnz .LBB54_43
; %bb.44:
	s_or_b64 exec, exec, s[4:5]
.LBB54_45:
	s_or_b64 exec, exec, s[12:13]
	v_mov_b32_e32 v138, 0
	ds_read_b32 v138, v138 offset:196
	s_waitcnt lgkmcnt(0)
	v_mul_f32_e32 v138, v139, v138
	buffer_store_dword v138, off, s[0:3], 0 offset:196
.LBB54_46:
	s_or_b64 exec, exec, s[8:9]
	buffer_load_dword v138, off, s[0:3], 0 offset:192
	v_cmp_lt_u32_e64 s[4:5], 48, v0
	s_waitcnt vmcnt(0)
	ds_write_b32 v112, v138
	s_waitcnt lgkmcnt(0)
	; wave barrier
	s_waitcnt lgkmcnt(0)
	s_and_saveexec_b64 s[8:9], s[4:5]
	s_cbranch_execz .LBB54_56
; %bb.47:
	s_andn2_b64 vcc, exec, s[10:11]
	s_cbranch_vccnz .LBB54_49
; %bb.48:
	buffer_load_dword v138, v113, s[0:3], 0 offen
	ds_read_b32 v139, v112
	s_waitcnt vmcnt(0) lgkmcnt(0)
	v_mul_f32_e32 v138, v138, v139
	s_cbranch_execz .LBB54_50
	s_branch .LBB54_51
.LBB54_49:
                                        ; implicit-def: $vgpr138
.LBB54_50:
	ds_read_b32 v138, v112
.LBB54_51:
	s_and_saveexec_b64 s[12:13], s[6:7]
	s_cbranch_execz .LBB54_55
; %bb.52:
	v_mov_b32_e32 v139, 0
	v_add_u32_e32 v139, 0xc4, v139
	v_subrev_u32_e32 v140, 49, v0
	s_movk_i32 s14, 0x1a4
	s_mov_b64 s[6:7], 0
.LBB54_53:                              ; =>This Inner Loop Header: Depth=1
	buffer_load_dword v141, v139, s[0:3], 0 offen
	v_mov_b32_e32 v142, s14
	ds_read_b32 v142, v142
	v_add_u32_e32 v140, -1, v140
	s_add_i32 s14, s14, 4
	v_cmp_eq_u32_e32 vcc, 0, v140
	v_add_u32_e32 v139, 4, v139
	s_or_b64 s[6:7], vcc, s[6:7]
	s_waitcnt vmcnt(0) lgkmcnt(0)
	v_fmac_f32_e32 v138, v141, v142
	s_andn2_b64 exec, exec, s[6:7]
	s_cbranch_execnz .LBB54_53
; %bb.54:
	s_or_b64 exec, exec, s[6:7]
.LBB54_55:
	s_or_b64 exec, exec, s[12:13]
	v_mov_b32_e32 v139, 0
	ds_read_b32 v139, v139 offset:192
	s_waitcnt lgkmcnt(0)
	v_mul_f32_e32 v138, v138, v139
	buffer_store_dword v138, off, s[0:3], 0 offset:192
.LBB54_56:
	s_or_b64 exec, exec, s[8:9]
	buffer_load_dword v138, off, s[0:3], 0 offset:188
	v_cmp_lt_u32_e64 s[6:7], 47, v0
	s_waitcnt vmcnt(0)
	ds_write_b32 v112, v138
	s_waitcnt lgkmcnt(0)
	; wave barrier
	s_waitcnt lgkmcnt(0)
	s_and_saveexec_b64 s[8:9], s[6:7]
	s_cbranch_execz .LBB54_66
; %bb.57:
	s_andn2_b64 vcc, exec, s[10:11]
	s_cbranch_vccnz .LBB54_59
; %bb.58:
	buffer_load_dword v138, v113, s[0:3], 0 offen
	ds_read_b32 v139, v112
	s_waitcnt vmcnt(0) lgkmcnt(0)
	v_mul_f32_e32 v138, v138, v139
	s_cbranch_execz .LBB54_60
	s_branch .LBB54_61
.LBB54_59:
                                        ; implicit-def: $vgpr138
.LBB54_60:
	ds_read_b32 v138, v112
.LBB54_61:
	s_and_saveexec_b64 s[12:13], s[4:5]
	s_cbranch_execz .LBB54_65
; %bb.62:
	v_subrev_u32_e32 v139, 48, v0
	s_movk_i32 s14, 0x1a0
	s_mov_b64 s[4:5], 0
.LBB54_63:                              ; =>This Inner Loop Header: Depth=1
	buffer_load_dword v140, v137, s[0:3], 0 offen
	v_mov_b32_e32 v141, s14
	ds_read_b32 v141, v141
	v_add_u32_e32 v139, -1, v139
	s_add_i32 s14, s14, 4
	v_cmp_eq_u32_e32 vcc, 0, v139
	v_add_u32_e32 v137, 4, v137
	s_or_b64 s[4:5], vcc, s[4:5]
	s_waitcnt vmcnt(0) lgkmcnt(0)
	v_fmac_f32_e32 v138, v140, v141
	s_andn2_b64 exec, exec, s[4:5]
	s_cbranch_execnz .LBB54_63
; %bb.64:
	s_or_b64 exec, exec, s[4:5]
.LBB54_65:
	s_or_b64 exec, exec, s[12:13]
	v_mov_b32_e32 v137, 0
	ds_read_b32 v137, v137 offset:188
	s_waitcnt lgkmcnt(0)
	v_mul_f32_e32 v137, v138, v137
	buffer_store_dword v137, off, s[0:3], 0 offset:188
.LBB54_66:
	s_or_b64 exec, exec, s[8:9]
	buffer_load_dword v137, off, s[0:3], 0 offset:184
	v_cmp_lt_u32_e64 s[4:5], 46, v0
	s_waitcnt vmcnt(0)
	ds_write_b32 v112, v137
	s_waitcnt lgkmcnt(0)
	; wave barrier
	s_waitcnt lgkmcnt(0)
	s_and_saveexec_b64 s[8:9], s[4:5]
	s_cbranch_execz .LBB54_76
; %bb.67:
	s_andn2_b64 vcc, exec, s[10:11]
	s_cbranch_vccnz .LBB54_69
; %bb.68:
	buffer_load_dword v137, v113, s[0:3], 0 offen
	ds_read_b32 v138, v112
	s_waitcnt vmcnt(0) lgkmcnt(0)
	v_mul_f32_e32 v137, v137, v138
	s_cbranch_execz .LBB54_70
	s_branch .LBB54_71
.LBB54_69:
                                        ; implicit-def: $vgpr137
.LBB54_70:
	ds_read_b32 v137, v112
.LBB54_71:
	s_and_saveexec_b64 s[12:13], s[6:7]
	s_cbranch_execz .LBB54_75
; %bb.72:
	v_mov_b32_e32 v138, 0
	v_add_u32_e32 v138, 0xbc, v138
	v_subrev_u32_e32 v139, 47, v0
	s_movk_i32 s14, 0x19c
	s_mov_b64 s[6:7], 0
.LBB54_73:                              ; =>This Inner Loop Header: Depth=1
	buffer_load_dword v140, v138, s[0:3], 0 offen
	v_mov_b32_e32 v141, s14
	ds_read_b32 v141, v141
	v_add_u32_e32 v139, -1, v139
	s_add_i32 s14, s14, 4
	v_cmp_eq_u32_e32 vcc, 0, v139
	v_add_u32_e32 v138, 4, v138
	s_or_b64 s[6:7], vcc, s[6:7]
	s_waitcnt vmcnt(0) lgkmcnt(0)
	v_fmac_f32_e32 v137, v140, v141
	s_andn2_b64 exec, exec, s[6:7]
	s_cbranch_execnz .LBB54_73
; %bb.74:
	s_or_b64 exec, exec, s[6:7]
.LBB54_75:
	s_or_b64 exec, exec, s[12:13]
	v_mov_b32_e32 v138, 0
	ds_read_b32 v138, v138 offset:184
	s_waitcnt lgkmcnt(0)
	v_mul_f32_e32 v137, v137, v138
	buffer_store_dword v137, off, s[0:3], 0 offset:184
.LBB54_76:
	s_or_b64 exec, exec, s[8:9]
	buffer_load_dword v137, off, s[0:3], 0 offset:180
	v_cmp_lt_u32_e64 s[6:7], 45, v0
	s_waitcnt vmcnt(0)
	ds_write_b32 v112, v137
	s_waitcnt lgkmcnt(0)
	; wave barrier
	s_waitcnt lgkmcnt(0)
	s_and_saveexec_b64 s[8:9], s[6:7]
	s_cbranch_execz .LBB54_86
; %bb.77:
	s_andn2_b64 vcc, exec, s[10:11]
	s_cbranch_vccnz .LBB54_79
; %bb.78:
	buffer_load_dword v137, v113, s[0:3], 0 offen
	ds_read_b32 v138, v112
	s_waitcnt vmcnt(0) lgkmcnt(0)
	v_mul_f32_e32 v137, v137, v138
	s_cbranch_execz .LBB54_80
	s_branch .LBB54_81
.LBB54_79:
                                        ; implicit-def: $vgpr137
.LBB54_80:
	ds_read_b32 v137, v112
.LBB54_81:
	s_and_saveexec_b64 s[12:13], s[4:5]
	s_cbranch_execz .LBB54_85
; %bb.82:
	v_subrev_u32_e32 v138, 46, v0
	s_movk_i32 s14, 0x198
	s_mov_b64 s[4:5], 0
.LBB54_83:                              ; =>This Inner Loop Header: Depth=1
	buffer_load_dword v139, v136, s[0:3], 0 offen
	v_mov_b32_e32 v140, s14
	ds_read_b32 v140, v140
	v_add_u32_e32 v138, -1, v138
	s_add_i32 s14, s14, 4
	v_cmp_eq_u32_e32 vcc, 0, v138
	v_add_u32_e32 v136, 4, v136
	s_or_b64 s[4:5], vcc, s[4:5]
	s_waitcnt vmcnt(0) lgkmcnt(0)
	v_fmac_f32_e32 v137, v139, v140
	s_andn2_b64 exec, exec, s[4:5]
	s_cbranch_execnz .LBB54_83
; %bb.84:
	s_or_b64 exec, exec, s[4:5]
.LBB54_85:
	s_or_b64 exec, exec, s[12:13]
	v_mov_b32_e32 v136, 0
	ds_read_b32 v136, v136 offset:180
	s_waitcnt lgkmcnt(0)
	v_mul_f32_e32 v136, v137, v136
	buffer_store_dword v136, off, s[0:3], 0 offset:180
.LBB54_86:
	s_or_b64 exec, exec, s[8:9]
	buffer_load_dword v136, off, s[0:3], 0 offset:176
	v_cmp_lt_u32_e64 s[4:5], 44, v0
	s_waitcnt vmcnt(0)
	ds_write_b32 v112, v136
	s_waitcnt lgkmcnt(0)
	; wave barrier
	s_waitcnt lgkmcnt(0)
	s_and_saveexec_b64 s[8:9], s[4:5]
	s_cbranch_execz .LBB54_96
; %bb.87:
	s_andn2_b64 vcc, exec, s[10:11]
	s_cbranch_vccnz .LBB54_89
; %bb.88:
	buffer_load_dword v136, v113, s[0:3], 0 offen
	ds_read_b32 v137, v112
	s_waitcnt vmcnt(0) lgkmcnt(0)
	v_mul_f32_e32 v136, v136, v137
	s_cbranch_execz .LBB54_90
	s_branch .LBB54_91
.LBB54_89:
                                        ; implicit-def: $vgpr136
.LBB54_90:
	ds_read_b32 v136, v112
.LBB54_91:
	s_and_saveexec_b64 s[12:13], s[6:7]
	s_cbranch_execz .LBB54_95
; %bb.92:
	v_mov_b32_e32 v137, 0
	v_add_u32_e32 v137, 0xb4, v137
	v_subrev_u32_e32 v138, 45, v0
	s_movk_i32 s14, 0x194
	s_mov_b64 s[6:7], 0
.LBB54_93:                              ; =>This Inner Loop Header: Depth=1
	buffer_load_dword v139, v137, s[0:3], 0 offen
	v_mov_b32_e32 v140, s14
	ds_read_b32 v140, v140
	v_add_u32_e32 v138, -1, v138
	s_add_i32 s14, s14, 4
	v_cmp_eq_u32_e32 vcc, 0, v138
	v_add_u32_e32 v137, 4, v137
	s_or_b64 s[6:7], vcc, s[6:7]
	s_waitcnt vmcnt(0) lgkmcnt(0)
	v_fmac_f32_e32 v136, v139, v140
	s_andn2_b64 exec, exec, s[6:7]
	s_cbranch_execnz .LBB54_93
; %bb.94:
	s_or_b64 exec, exec, s[6:7]
.LBB54_95:
	s_or_b64 exec, exec, s[12:13]
	v_mov_b32_e32 v137, 0
	ds_read_b32 v137, v137 offset:176
	s_waitcnt lgkmcnt(0)
	v_mul_f32_e32 v136, v136, v137
	buffer_store_dword v136, off, s[0:3], 0 offset:176
.LBB54_96:
	s_or_b64 exec, exec, s[8:9]
	buffer_load_dword v136, off, s[0:3], 0 offset:172
	v_cmp_lt_u32_e64 s[6:7], 43, v0
	s_waitcnt vmcnt(0)
	ds_write_b32 v112, v136
	s_waitcnt lgkmcnt(0)
	; wave barrier
	s_waitcnt lgkmcnt(0)
	s_and_saveexec_b64 s[8:9], s[6:7]
	s_cbranch_execz .LBB54_106
; %bb.97:
	s_andn2_b64 vcc, exec, s[10:11]
	s_cbranch_vccnz .LBB54_99
; %bb.98:
	buffer_load_dword v136, v113, s[0:3], 0 offen
	ds_read_b32 v137, v112
	s_waitcnt vmcnt(0) lgkmcnt(0)
	v_mul_f32_e32 v136, v136, v137
	s_cbranch_execz .LBB54_100
	s_branch .LBB54_101
.LBB54_99:
                                        ; implicit-def: $vgpr136
.LBB54_100:
	ds_read_b32 v136, v112
.LBB54_101:
	s_and_saveexec_b64 s[12:13], s[4:5]
	s_cbranch_execz .LBB54_105
; %bb.102:
	v_subrev_u32_e32 v137, 44, v0
	s_movk_i32 s14, 0x190
	s_mov_b64 s[4:5], 0
.LBB54_103:                             ; =>This Inner Loop Header: Depth=1
	buffer_load_dword v138, v135, s[0:3], 0 offen
	v_mov_b32_e32 v139, s14
	ds_read_b32 v139, v139
	v_add_u32_e32 v137, -1, v137
	s_add_i32 s14, s14, 4
	v_cmp_eq_u32_e32 vcc, 0, v137
	v_add_u32_e32 v135, 4, v135
	s_or_b64 s[4:5], vcc, s[4:5]
	s_waitcnt vmcnt(0) lgkmcnt(0)
	v_fmac_f32_e32 v136, v138, v139
	s_andn2_b64 exec, exec, s[4:5]
	s_cbranch_execnz .LBB54_103
; %bb.104:
	s_or_b64 exec, exec, s[4:5]
.LBB54_105:
	s_or_b64 exec, exec, s[12:13]
	v_mov_b32_e32 v135, 0
	ds_read_b32 v135, v135 offset:172
	s_waitcnt lgkmcnt(0)
	v_mul_f32_e32 v135, v136, v135
	buffer_store_dword v135, off, s[0:3], 0 offset:172
.LBB54_106:
	s_or_b64 exec, exec, s[8:9]
	buffer_load_dword v135, off, s[0:3], 0 offset:168
	v_cmp_lt_u32_e64 s[4:5], 42, v0
	s_waitcnt vmcnt(0)
	ds_write_b32 v112, v135
	s_waitcnt lgkmcnt(0)
	; wave barrier
	s_waitcnt lgkmcnt(0)
	s_and_saveexec_b64 s[8:9], s[4:5]
	s_cbranch_execz .LBB54_116
; %bb.107:
	s_andn2_b64 vcc, exec, s[10:11]
	s_cbranch_vccnz .LBB54_109
; %bb.108:
	buffer_load_dword v135, v113, s[0:3], 0 offen
	ds_read_b32 v136, v112
	s_waitcnt vmcnt(0) lgkmcnt(0)
	v_mul_f32_e32 v135, v135, v136
	s_cbranch_execz .LBB54_110
	s_branch .LBB54_111
.LBB54_109:
                                        ; implicit-def: $vgpr135
.LBB54_110:
	ds_read_b32 v135, v112
.LBB54_111:
	s_and_saveexec_b64 s[12:13], s[6:7]
	s_cbranch_execz .LBB54_115
; %bb.112:
	v_mov_b32_e32 v136, 0
	v_add_u32_e32 v136, 0xac, v136
	v_subrev_u32_e32 v137, 43, v0
	s_movk_i32 s14, 0x18c
	s_mov_b64 s[6:7], 0
.LBB54_113:                             ; =>This Inner Loop Header: Depth=1
	buffer_load_dword v138, v136, s[0:3], 0 offen
	v_mov_b32_e32 v139, s14
	ds_read_b32 v139, v139
	v_add_u32_e32 v137, -1, v137
	s_add_i32 s14, s14, 4
	v_cmp_eq_u32_e32 vcc, 0, v137
	v_add_u32_e32 v136, 4, v136
	s_or_b64 s[6:7], vcc, s[6:7]
	s_waitcnt vmcnt(0) lgkmcnt(0)
	v_fmac_f32_e32 v135, v138, v139
	s_andn2_b64 exec, exec, s[6:7]
	s_cbranch_execnz .LBB54_113
; %bb.114:
	s_or_b64 exec, exec, s[6:7]
.LBB54_115:
	s_or_b64 exec, exec, s[12:13]
	v_mov_b32_e32 v136, 0
	ds_read_b32 v136, v136 offset:168
	s_waitcnt lgkmcnt(0)
	v_mul_f32_e32 v135, v135, v136
	buffer_store_dword v135, off, s[0:3], 0 offset:168
.LBB54_116:
	s_or_b64 exec, exec, s[8:9]
	buffer_load_dword v135, off, s[0:3], 0 offset:164
	v_cmp_lt_u32_e64 s[6:7], 41, v0
	s_waitcnt vmcnt(0)
	ds_write_b32 v112, v135
	s_waitcnt lgkmcnt(0)
	; wave barrier
	s_waitcnt lgkmcnt(0)
	s_and_saveexec_b64 s[8:9], s[6:7]
	s_cbranch_execz .LBB54_126
; %bb.117:
	s_andn2_b64 vcc, exec, s[10:11]
	s_cbranch_vccnz .LBB54_119
; %bb.118:
	buffer_load_dword v135, v113, s[0:3], 0 offen
	ds_read_b32 v136, v112
	s_waitcnt vmcnt(0) lgkmcnt(0)
	v_mul_f32_e32 v135, v135, v136
	s_cbranch_execz .LBB54_120
	s_branch .LBB54_121
.LBB54_119:
                                        ; implicit-def: $vgpr135
.LBB54_120:
	ds_read_b32 v135, v112
.LBB54_121:
	s_and_saveexec_b64 s[12:13], s[4:5]
	s_cbranch_execz .LBB54_125
; %bb.122:
	v_subrev_u32_e32 v136, 42, v0
	s_movk_i32 s14, 0x188
	s_mov_b64 s[4:5], 0
.LBB54_123:                             ; =>This Inner Loop Header: Depth=1
	buffer_load_dword v137, v134, s[0:3], 0 offen
	v_mov_b32_e32 v138, s14
	ds_read_b32 v138, v138
	v_add_u32_e32 v136, -1, v136
	s_add_i32 s14, s14, 4
	v_cmp_eq_u32_e32 vcc, 0, v136
	v_add_u32_e32 v134, 4, v134
	s_or_b64 s[4:5], vcc, s[4:5]
	s_waitcnt vmcnt(0) lgkmcnt(0)
	v_fmac_f32_e32 v135, v137, v138
	s_andn2_b64 exec, exec, s[4:5]
	s_cbranch_execnz .LBB54_123
; %bb.124:
	s_or_b64 exec, exec, s[4:5]
.LBB54_125:
	s_or_b64 exec, exec, s[12:13]
	v_mov_b32_e32 v134, 0
	ds_read_b32 v134, v134 offset:164
	s_waitcnt lgkmcnt(0)
	v_mul_f32_e32 v134, v135, v134
	buffer_store_dword v134, off, s[0:3], 0 offset:164
.LBB54_126:
	s_or_b64 exec, exec, s[8:9]
	buffer_load_dword v134, off, s[0:3], 0 offset:160
	v_cmp_lt_u32_e64 s[4:5], 40, v0
	s_waitcnt vmcnt(0)
	ds_write_b32 v112, v134
	s_waitcnt lgkmcnt(0)
	; wave barrier
	s_waitcnt lgkmcnt(0)
	s_and_saveexec_b64 s[8:9], s[4:5]
	s_cbranch_execz .LBB54_136
; %bb.127:
	s_andn2_b64 vcc, exec, s[10:11]
	s_cbranch_vccnz .LBB54_129
; %bb.128:
	buffer_load_dword v134, v113, s[0:3], 0 offen
	ds_read_b32 v135, v112
	s_waitcnt vmcnt(0) lgkmcnt(0)
	v_mul_f32_e32 v134, v134, v135
	s_cbranch_execz .LBB54_130
	s_branch .LBB54_131
.LBB54_129:
                                        ; implicit-def: $vgpr134
.LBB54_130:
	ds_read_b32 v134, v112
.LBB54_131:
	s_and_saveexec_b64 s[12:13], s[6:7]
	s_cbranch_execz .LBB54_135
; %bb.132:
	v_mov_b32_e32 v135, 0
	v_add_u32_e32 v135, 0xa4, v135
	v_subrev_u32_e32 v136, 41, v0
	s_movk_i32 s14, 0x184
	s_mov_b64 s[6:7], 0
.LBB54_133:                             ; =>This Inner Loop Header: Depth=1
	buffer_load_dword v137, v135, s[0:3], 0 offen
	v_mov_b32_e32 v138, s14
	ds_read_b32 v138, v138
	v_add_u32_e32 v136, -1, v136
	s_add_i32 s14, s14, 4
	v_cmp_eq_u32_e32 vcc, 0, v136
	v_add_u32_e32 v135, 4, v135
	s_or_b64 s[6:7], vcc, s[6:7]
	s_waitcnt vmcnt(0) lgkmcnt(0)
	v_fmac_f32_e32 v134, v137, v138
	s_andn2_b64 exec, exec, s[6:7]
	s_cbranch_execnz .LBB54_133
; %bb.134:
	s_or_b64 exec, exec, s[6:7]
.LBB54_135:
	s_or_b64 exec, exec, s[12:13]
	v_mov_b32_e32 v135, 0
	ds_read_b32 v135, v135 offset:160
	s_waitcnt lgkmcnt(0)
	v_mul_f32_e32 v134, v134, v135
	buffer_store_dword v134, off, s[0:3], 0 offset:160
.LBB54_136:
	s_or_b64 exec, exec, s[8:9]
	buffer_load_dword v134, off, s[0:3], 0 offset:156
	v_cmp_lt_u32_e64 s[6:7], 39, v0
	s_waitcnt vmcnt(0)
	ds_write_b32 v112, v134
	s_waitcnt lgkmcnt(0)
	; wave barrier
	s_waitcnt lgkmcnt(0)
	s_and_saveexec_b64 s[8:9], s[6:7]
	s_cbranch_execz .LBB54_146
; %bb.137:
	s_andn2_b64 vcc, exec, s[10:11]
	s_cbranch_vccnz .LBB54_139
; %bb.138:
	buffer_load_dword v134, v113, s[0:3], 0 offen
	ds_read_b32 v135, v112
	s_waitcnt vmcnt(0) lgkmcnt(0)
	v_mul_f32_e32 v134, v134, v135
	s_cbranch_execz .LBB54_140
	s_branch .LBB54_141
.LBB54_139:
                                        ; implicit-def: $vgpr134
.LBB54_140:
	ds_read_b32 v134, v112
.LBB54_141:
	s_and_saveexec_b64 s[12:13], s[4:5]
	s_cbranch_execz .LBB54_145
; %bb.142:
	v_subrev_u32_e32 v135, 40, v0
	s_movk_i32 s14, 0x180
	s_mov_b64 s[4:5], 0
.LBB54_143:                             ; =>This Inner Loop Header: Depth=1
	buffer_load_dword v136, v133, s[0:3], 0 offen
	v_mov_b32_e32 v137, s14
	ds_read_b32 v137, v137
	v_add_u32_e32 v135, -1, v135
	s_add_i32 s14, s14, 4
	v_cmp_eq_u32_e32 vcc, 0, v135
	v_add_u32_e32 v133, 4, v133
	s_or_b64 s[4:5], vcc, s[4:5]
	s_waitcnt vmcnt(0) lgkmcnt(0)
	v_fmac_f32_e32 v134, v136, v137
	s_andn2_b64 exec, exec, s[4:5]
	s_cbranch_execnz .LBB54_143
; %bb.144:
	s_or_b64 exec, exec, s[4:5]
.LBB54_145:
	s_or_b64 exec, exec, s[12:13]
	v_mov_b32_e32 v133, 0
	ds_read_b32 v133, v133 offset:156
	s_waitcnt lgkmcnt(0)
	v_mul_f32_e32 v133, v134, v133
	buffer_store_dword v133, off, s[0:3], 0 offset:156
.LBB54_146:
	s_or_b64 exec, exec, s[8:9]
	buffer_load_dword v133, off, s[0:3], 0 offset:152
	v_cmp_lt_u32_e64 s[4:5], 38, v0
	s_waitcnt vmcnt(0)
	ds_write_b32 v112, v133
	s_waitcnt lgkmcnt(0)
	; wave barrier
	s_waitcnt lgkmcnt(0)
	s_and_saveexec_b64 s[8:9], s[4:5]
	s_cbranch_execz .LBB54_156
; %bb.147:
	s_andn2_b64 vcc, exec, s[10:11]
	s_cbranch_vccnz .LBB54_149
; %bb.148:
	buffer_load_dword v133, v113, s[0:3], 0 offen
	ds_read_b32 v134, v112
	s_waitcnt vmcnt(0) lgkmcnt(0)
	v_mul_f32_e32 v133, v133, v134
	s_cbranch_execz .LBB54_150
	s_branch .LBB54_151
.LBB54_149:
                                        ; implicit-def: $vgpr133
.LBB54_150:
	ds_read_b32 v133, v112
.LBB54_151:
	s_and_saveexec_b64 s[12:13], s[6:7]
	s_cbranch_execz .LBB54_155
; %bb.152:
	v_mov_b32_e32 v134, 0
	v_add_u32_e32 v134, 0x9c, v134
	v_subrev_u32_e32 v135, 39, v0
	s_movk_i32 s14, 0x17c
	s_mov_b64 s[6:7], 0
.LBB54_153:                             ; =>This Inner Loop Header: Depth=1
	buffer_load_dword v136, v134, s[0:3], 0 offen
	v_mov_b32_e32 v137, s14
	ds_read_b32 v137, v137
	v_add_u32_e32 v135, -1, v135
	s_add_i32 s14, s14, 4
	v_cmp_eq_u32_e32 vcc, 0, v135
	v_add_u32_e32 v134, 4, v134
	s_or_b64 s[6:7], vcc, s[6:7]
	s_waitcnt vmcnt(0) lgkmcnt(0)
	v_fmac_f32_e32 v133, v136, v137
	s_andn2_b64 exec, exec, s[6:7]
	s_cbranch_execnz .LBB54_153
; %bb.154:
	s_or_b64 exec, exec, s[6:7]
.LBB54_155:
	s_or_b64 exec, exec, s[12:13]
	v_mov_b32_e32 v134, 0
	ds_read_b32 v134, v134 offset:152
	s_waitcnt lgkmcnt(0)
	v_mul_f32_e32 v133, v133, v134
	buffer_store_dword v133, off, s[0:3], 0 offset:152
.LBB54_156:
	s_or_b64 exec, exec, s[8:9]
	buffer_load_dword v133, off, s[0:3], 0 offset:148
	v_cmp_lt_u32_e64 s[6:7], 37, v0
	s_waitcnt vmcnt(0)
	ds_write_b32 v112, v133
	s_waitcnt lgkmcnt(0)
	; wave barrier
	s_waitcnt lgkmcnt(0)
	s_and_saveexec_b64 s[8:9], s[6:7]
	s_cbranch_execz .LBB54_166
; %bb.157:
	s_andn2_b64 vcc, exec, s[10:11]
	s_cbranch_vccnz .LBB54_159
; %bb.158:
	buffer_load_dword v133, v113, s[0:3], 0 offen
	ds_read_b32 v134, v112
	s_waitcnt vmcnt(0) lgkmcnt(0)
	v_mul_f32_e32 v133, v133, v134
	s_cbranch_execz .LBB54_160
	s_branch .LBB54_161
.LBB54_159:
                                        ; implicit-def: $vgpr133
.LBB54_160:
	ds_read_b32 v133, v112
.LBB54_161:
	s_and_saveexec_b64 s[12:13], s[4:5]
	s_cbranch_execz .LBB54_165
; %bb.162:
	v_subrev_u32_e32 v134, 38, v0
	s_movk_i32 s14, 0x178
	s_mov_b64 s[4:5], 0
.LBB54_163:                             ; =>This Inner Loop Header: Depth=1
	buffer_load_dword v135, v132, s[0:3], 0 offen
	v_mov_b32_e32 v136, s14
	ds_read_b32 v136, v136
	v_add_u32_e32 v134, -1, v134
	s_add_i32 s14, s14, 4
	v_cmp_eq_u32_e32 vcc, 0, v134
	v_add_u32_e32 v132, 4, v132
	s_or_b64 s[4:5], vcc, s[4:5]
	s_waitcnt vmcnt(0) lgkmcnt(0)
	v_fmac_f32_e32 v133, v135, v136
	s_andn2_b64 exec, exec, s[4:5]
	s_cbranch_execnz .LBB54_163
; %bb.164:
	s_or_b64 exec, exec, s[4:5]
.LBB54_165:
	s_or_b64 exec, exec, s[12:13]
	v_mov_b32_e32 v132, 0
	ds_read_b32 v132, v132 offset:148
	s_waitcnt lgkmcnt(0)
	v_mul_f32_e32 v132, v133, v132
	buffer_store_dword v132, off, s[0:3], 0 offset:148
.LBB54_166:
	s_or_b64 exec, exec, s[8:9]
	buffer_load_dword v132, off, s[0:3], 0 offset:144
	v_cmp_lt_u32_e64 s[4:5], 36, v0
	s_waitcnt vmcnt(0)
	ds_write_b32 v112, v132
	s_waitcnt lgkmcnt(0)
	; wave barrier
	s_waitcnt lgkmcnt(0)
	s_and_saveexec_b64 s[8:9], s[4:5]
	s_cbranch_execz .LBB54_176
; %bb.167:
	s_andn2_b64 vcc, exec, s[10:11]
	s_cbranch_vccnz .LBB54_169
; %bb.168:
	buffer_load_dword v132, v113, s[0:3], 0 offen
	ds_read_b32 v133, v112
	s_waitcnt vmcnt(0) lgkmcnt(0)
	v_mul_f32_e32 v132, v132, v133
	s_cbranch_execz .LBB54_170
	s_branch .LBB54_171
.LBB54_169:
                                        ; implicit-def: $vgpr132
.LBB54_170:
	ds_read_b32 v132, v112
.LBB54_171:
	s_and_saveexec_b64 s[12:13], s[6:7]
	s_cbranch_execz .LBB54_175
; %bb.172:
	v_mov_b32_e32 v133, 0
	v_add_u32_e32 v133, 0x94, v133
	v_subrev_u32_e32 v134, 37, v0
	s_movk_i32 s14, 0x174
	s_mov_b64 s[6:7], 0
.LBB54_173:                             ; =>This Inner Loop Header: Depth=1
	buffer_load_dword v135, v133, s[0:3], 0 offen
	v_mov_b32_e32 v136, s14
	ds_read_b32 v136, v136
	v_add_u32_e32 v134, -1, v134
	s_add_i32 s14, s14, 4
	v_cmp_eq_u32_e32 vcc, 0, v134
	v_add_u32_e32 v133, 4, v133
	s_or_b64 s[6:7], vcc, s[6:7]
	s_waitcnt vmcnt(0) lgkmcnt(0)
	v_fmac_f32_e32 v132, v135, v136
	s_andn2_b64 exec, exec, s[6:7]
	s_cbranch_execnz .LBB54_173
; %bb.174:
	s_or_b64 exec, exec, s[6:7]
.LBB54_175:
	s_or_b64 exec, exec, s[12:13]
	v_mov_b32_e32 v133, 0
	ds_read_b32 v133, v133 offset:144
	s_waitcnt lgkmcnt(0)
	v_mul_f32_e32 v132, v132, v133
	buffer_store_dword v132, off, s[0:3], 0 offset:144
.LBB54_176:
	s_or_b64 exec, exec, s[8:9]
	buffer_load_dword v132, off, s[0:3], 0 offset:140
	v_cmp_lt_u32_e64 s[6:7], 35, v0
	s_waitcnt vmcnt(0)
	ds_write_b32 v112, v132
	s_waitcnt lgkmcnt(0)
	; wave barrier
	s_waitcnt lgkmcnt(0)
	s_and_saveexec_b64 s[8:9], s[6:7]
	s_cbranch_execz .LBB54_186
; %bb.177:
	s_andn2_b64 vcc, exec, s[10:11]
	s_cbranch_vccnz .LBB54_179
; %bb.178:
	buffer_load_dword v132, v113, s[0:3], 0 offen
	ds_read_b32 v133, v112
	s_waitcnt vmcnt(0) lgkmcnt(0)
	v_mul_f32_e32 v132, v132, v133
	s_cbranch_execz .LBB54_180
	s_branch .LBB54_181
.LBB54_179:
                                        ; implicit-def: $vgpr132
.LBB54_180:
	ds_read_b32 v132, v112
.LBB54_181:
	s_and_saveexec_b64 s[12:13], s[4:5]
	s_cbranch_execz .LBB54_185
; %bb.182:
	v_subrev_u32_e32 v133, 36, v0
	s_movk_i32 s14, 0x170
	s_mov_b64 s[4:5], 0
.LBB54_183:                             ; =>This Inner Loop Header: Depth=1
	buffer_load_dword v134, v131, s[0:3], 0 offen
	v_mov_b32_e32 v135, s14
	ds_read_b32 v135, v135
	v_add_u32_e32 v133, -1, v133
	s_add_i32 s14, s14, 4
	v_cmp_eq_u32_e32 vcc, 0, v133
	v_add_u32_e32 v131, 4, v131
	s_or_b64 s[4:5], vcc, s[4:5]
	s_waitcnt vmcnt(0) lgkmcnt(0)
	v_fmac_f32_e32 v132, v134, v135
	s_andn2_b64 exec, exec, s[4:5]
	s_cbranch_execnz .LBB54_183
; %bb.184:
	s_or_b64 exec, exec, s[4:5]
.LBB54_185:
	s_or_b64 exec, exec, s[12:13]
	v_mov_b32_e32 v131, 0
	ds_read_b32 v131, v131 offset:140
	s_waitcnt lgkmcnt(0)
	v_mul_f32_e32 v131, v132, v131
	buffer_store_dword v131, off, s[0:3], 0 offset:140
.LBB54_186:
	s_or_b64 exec, exec, s[8:9]
	buffer_load_dword v131, off, s[0:3], 0 offset:136
	v_cmp_lt_u32_e64 s[4:5], 34, v0
	s_waitcnt vmcnt(0)
	ds_write_b32 v112, v131
	s_waitcnt lgkmcnt(0)
	; wave barrier
	s_waitcnt lgkmcnt(0)
	s_and_saveexec_b64 s[8:9], s[4:5]
	s_cbranch_execz .LBB54_196
; %bb.187:
	s_andn2_b64 vcc, exec, s[10:11]
	s_cbranch_vccnz .LBB54_189
; %bb.188:
	buffer_load_dword v131, v113, s[0:3], 0 offen
	ds_read_b32 v132, v112
	s_waitcnt vmcnt(0) lgkmcnt(0)
	v_mul_f32_e32 v131, v131, v132
	s_cbranch_execz .LBB54_190
	s_branch .LBB54_191
.LBB54_189:
                                        ; implicit-def: $vgpr131
.LBB54_190:
	ds_read_b32 v131, v112
.LBB54_191:
	s_and_saveexec_b64 s[12:13], s[6:7]
	s_cbranch_execz .LBB54_195
; %bb.192:
	v_mov_b32_e32 v132, 0
	v_add_u32_e32 v132, 0x8c, v132
	v_subrev_u32_e32 v133, 35, v0
	s_movk_i32 s14, 0x16c
	s_mov_b64 s[6:7], 0
.LBB54_193:                             ; =>This Inner Loop Header: Depth=1
	buffer_load_dword v134, v132, s[0:3], 0 offen
	v_mov_b32_e32 v135, s14
	ds_read_b32 v135, v135
	v_add_u32_e32 v133, -1, v133
	s_add_i32 s14, s14, 4
	v_cmp_eq_u32_e32 vcc, 0, v133
	v_add_u32_e32 v132, 4, v132
	s_or_b64 s[6:7], vcc, s[6:7]
	s_waitcnt vmcnt(0) lgkmcnt(0)
	v_fmac_f32_e32 v131, v134, v135
	s_andn2_b64 exec, exec, s[6:7]
	s_cbranch_execnz .LBB54_193
; %bb.194:
	s_or_b64 exec, exec, s[6:7]
.LBB54_195:
	s_or_b64 exec, exec, s[12:13]
	v_mov_b32_e32 v132, 0
	ds_read_b32 v132, v132 offset:136
	s_waitcnt lgkmcnt(0)
	v_mul_f32_e32 v131, v131, v132
	buffer_store_dword v131, off, s[0:3], 0 offset:136
.LBB54_196:
	s_or_b64 exec, exec, s[8:9]
	buffer_load_dword v131, off, s[0:3], 0 offset:132
	v_cmp_lt_u32_e64 s[6:7], 33, v0
	s_waitcnt vmcnt(0)
	ds_write_b32 v112, v131
	s_waitcnt lgkmcnt(0)
	; wave barrier
	s_waitcnt lgkmcnt(0)
	s_and_saveexec_b64 s[8:9], s[6:7]
	s_cbranch_execz .LBB54_206
; %bb.197:
	s_andn2_b64 vcc, exec, s[10:11]
	s_cbranch_vccnz .LBB54_199
; %bb.198:
	buffer_load_dword v131, v113, s[0:3], 0 offen
	ds_read_b32 v132, v112
	s_waitcnt vmcnt(0) lgkmcnt(0)
	v_mul_f32_e32 v131, v131, v132
	s_cbranch_execz .LBB54_200
	s_branch .LBB54_201
.LBB54_199:
                                        ; implicit-def: $vgpr131
.LBB54_200:
	ds_read_b32 v131, v112
.LBB54_201:
	s_and_saveexec_b64 s[12:13], s[4:5]
	s_cbranch_execz .LBB54_205
; %bb.202:
	v_subrev_u32_e32 v132, 34, v0
	s_movk_i32 s14, 0x168
	s_mov_b64 s[4:5], 0
.LBB54_203:                             ; =>This Inner Loop Header: Depth=1
	buffer_load_dword v133, v130, s[0:3], 0 offen
	v_mov_b32_e32 v134, s14
	ds_read_b32 v134, v134
	v_add_u32_e32 v132, -1, v132
	s_add_i32 s14, s14, 4
	v_cmp_eq_u32_e32 vcc, 0, v132
	v_add_u32_e32 v130, 4, v130
	s_or_b64 s[4:5], vcc, s[4:5]
	s_waitcnt vmcnt(0) lgkmcnt(0)
	v_fmac_f32_e32 v131, v133, v134
	s_andn2_b64 exec, exec, s[4:5]
	s_cbranch_execnz .LBB54_203
; %bb.204:
	s_or_b64 exec, exec, s[4:5]
.LBB54_205:
	s_or_b64 exec, exec, s[12:13]
	v_mov_b32_e32 v130, 0
	ds_read_b32 v130, v130 offset:132
	s_waitcnt lgkmcnt(0)
	v_mul_f32_e32 v130, v131, v130
	buffer_store_dword v130, off, s[0:3], 0 offset:132
.LBB54_206:
	s_or_b64 exec, exec, s[8:9]
	buffer_load_dword v130, off, s[0:3], 0 offset:128
	v_cmp_lt_u32_e64 s[4:5], 32, v0
	s_waitcnt vmcnt(0)
	ds_write_b32 v112, v130
	s_waitcnt lgkmcnt(0)
	; wave barrier
	s_waitcnt lgkmcnt(0)
	s_and_saveexec_b64 s[8:9], s[4:5]
	s_cbranch_execz .LBB54_216
; %bb.207:
	s_andn2_b64 vcc, exec, s[10:11]
	s_cbranch_vccnz .LBB54_209
; %bb.208:
	buffer_load_dword v130, v113, s[0:3], 0 offen
	ds_read_b32 v131, v112
	s_waitcnt vmcnt(0) lgkmcnt(0)
	v_mul_f32_e32 v130, v130, v131
	s_cbranch_execz .LBB54_210
	s_branch .LBB54_211
.LBB54_209:
                                        ; implicit-def: $vgpr130
.LBB54_210:
	ds_read_b32 v130, v112
.LBB54_211:
	s_and_saveexec_b64 s[12:13], s[6:7]
	s_cbranch_execz .LBB54_215
; %bb.212:
	v_mov_b32_e32 v131, 0
	v_add_u32_e32 v131, 0x84, v131
	v_subrev_u32_e32 v132, 33, v0
	s_movk_i32 s14, 0x164
	s_mov_b64 s[6:7], 0
.LBB54_213:                             ; =>This Inner Loop Header: Depth=1
	buffer_load_dword v133, v131, s[0:3], 0 offen
	v_mov_b32_e32 v134, s14
	ds_read_b32 v134, v134
	v_add_u32_e32 v132, -1, v132
	s_add_i32 s14, s14, 4
	v_cmp_eq_u32_e32 vcc, 0, v132
	v_add_u32_e32 v131, 4, v131
	s_or_b64 s[6:7], vcc, s[6:7]
	s_waitcnt vmcnt(0) lgkmcnt(0)
	v_fmac_f32_e32 v130, v133, v134
	s_andn2_b64 exec, exec, s[6:7]
	s_cbranch_execnz .LBB54_213
; %bb.214:
	s_or_b64 exec, exec, s[6:7]
.LBB54_215:
	s_or_b64 exec, exec, s[12:13]
	v_mov_b32_e32 v131, 0
	ds_read_b32 v131, v131 offset:128
	s_waitcnt lgkmcnt(0)
	v_mul_f32_e32 v130, v130, v131
	buffer_store_dword v130, off, s[0:3], 0 offset:128
.LBB54_216:
	s_or_b64 exec, exec, s[8:9]
	buffer_load_dword v130, off, s[0:3], 0 offset:124
	v_cmp_lt_u32_e64 s[6:7], 31, v0
	s_waitcnt vmcnt(0)
	ds_write_b32 v112, v130
	s_waitcnt lgkmcnt(0)
	; wave barrier
	s_waitcnt lgkmcnt(0)
	s_and_saveexec_b64 s[8:9], s[6:7]
	s_cbranch_execz .LBB54_226
; %bb.217:
	s_andn2_b64 vcc, exec, s[10:11]
	s_cbranch_vccnz .LBB54_219
; %bb.218:
	buffer_load_dword v130, v113, s[0:3], 0 offen
	ds_read_b32 v131, v112
	s_waitcnt vmcnt(0) lgkmcnt(0)
	v_mul_f32_e32 v130, v130, v131
	s_cbranch_execz .LBB54_220
	s_branch .LBB54_221
.LBB54_219:
                                        ; implicit-def: $vgpr130
.LBB54_220:
	ds_read_b32 v130, v112
.LBB54_221:
	s_and_saveexec_b64 s[12:13], s[4:5]
	s_cbranch_execz .LBB54_225
; %bb.222:
	v_subrev_u32_e32 v131, 32, v0
	s_movk_i32 s14, 0x160
	s_mov_b64 s[4:5], 0
.LBB54_223:                             ; =>This Inner Loop Header: Depth=1
	buffer_load_dword v132, v129, s[0:3], 0 offen
	v_mov_b32_e32 v133, s14
	ds_read_b32 v133, v133
	v_add_u32_e32 v131, -1, v131
	s_add_i32 s14, s14, 4
	v_cmp_eq_u32_e32 vcc, 0, v131
	v_add_u32_e32 v129, 4, v129
	s_or_b64 s[4:5], vcc, s[4:5]
	s_waitcnt vmcnt(0) lgkmcnt(0)
	v_fmac_f32_e32 v130, v132, v133
	s_andn2_b64 exec, exec, s[4:5]
	s_cbranch_execnz .LBB54_223
; %bb.224:
	s_or_b64 exec, exec, s[4:5]
.LBB54_225:
	s_or_b64 exec, exec, s[12:13]
	v_mov_b32_e32 v129, 0
	ds_read_b32 v129, v129 offset:124
	s_waitcnt lgkmcnt(0)
	v_mul_f32_e32 v129, v130, v129
	buffer_store_dword v129, off, s[0:3], 0 offset:124
.LBB54_226:
	s_or_b64 exec, exec, s[8:9]
	buffer_load_dword v129, off, s[0:3], 0 offset:120
	v_cmp_lt_u32_e64 s[4:5], 30, v0
	s_waitcnt vmcnt(0)
	ds_write_b32 v112, v129
	s_waitcnt lgkmcnt(0)
	; wave barrier
	s_waitcnt lgkmcnt(0)
	s_and_saveexec_b64 s[8:9], s[4:5]
	s_cbranch_execz .LBB54_236
; %bb.227:
	s_andn2_b64 vcc, exec, s[10:11]
	s_cbranch_vccnz .LBB54_229
; %bb.228:
	buffer_load_dword v129, v113, s[0:3], 0 offen
	ds_read_b32 v130, v112
	s_waitcnt vmcnt(0) lgkmcnt(0)
	v_mul_f32_e32 v129, v129, v130
	s_cbranch_execz .LBB54_230
	s_branch .LBB54_231
.LBB54_229:
                                        ; implicit-def: $vgpr129
.LBB54_230:
	ds_read_b32 v129, v112
.LBB54_231:
	s_and_saveexec_b64 s[12:13], s[6:7]
	s_cbranch_execz .LBB54_235
; %bb.232:
	v_mov_b32_e32 v130, 0
	v_add_u32_e32 v130, 0x7c, v130
	v_subrev_u32_e32 v131, 31, v0
	s_movk_i32 s14, 0x15c
	s_mov_b64 s[6:7], 0
.LBB54_233:                             ; =>This Inner Loop Header: Depth=1
	buffer_load_dword v132, v130, s[0:3], 0 offen
	v_mov_b32_e32 v133, s14
	ds_read_b32 v133, v133
	v_add_u32_e32 v131, -1, v131
	s_add_i32 s14, s14, 4
	v_cmp_eq_u32_e32 vcc, 0, v131
	v_add_u32_e32 v130, 4, v130
	s_or_b64 s[6:7], vcc, s[6:7]
	s_waitcnt vmcnt(0) lgkmcnt(0)
	v_fmac_f32_e32 v129, v132, v133
	s_andn2_b64 exec, exec, s[6:7]
	s_cbranch_execnz .LBB54_233
; %bb.234:
	s_or_b64 exec, exec, s[6:7]
.LBB54_235:
	s_or_b64 exec, exec, s[12:13]
	v_mov_b32_e32 v130, 0
	ds_read_b32 v130, v130 offset:120
	s_waitcnt lgkmcnt(0)
	v_mul_f32_e32 v129, v129, v130
	buffer_store_dword v129, off, s[0:3], 0 offset:120
.LBB54_236:
	s_or_b64 exec, exec, s[8:9]
	buffer_load_dword v129, off, s[0:3], 0 offset:116
	v_cmp_lt_u32_e64 s[6:7], 29, v0
	s_waitcnt vmcnt(0)
	ds_write_b32 v112, v129
	s_waitcnt lgkmcnt(0)
	; wave barrier
	s_waitcnt lgkmcnt(0)
	s_and_saveexec_b64 s[8:9], s[6:7]
	s_cbranch_execz .LBB54_246
; %bb.237:
	s_andn2_b64 vcc, exec, s[10:11]
	s_cbranch_vccnz .LBB54_239
; %bb.238:
	buffer_load_dword v129, v113, s[0:3], 0 offen
	ds_read_b32 v130, v112
	s_waitcnt vmcnt(0) lgkmcnt(0)
	v_mul_f32_e32 v129, v129, v130
	s_cbranch_execz .LBB54_240
	s_branch .LBB54_241
.LBB54_239:
                                        ; implicit-def: $vgpr129
.LBB54_240:
	ds_read_b32 v129, v112
.LBB54_241:
	s_and_saveexec_b64 s[12:13], s[4:5]
	s_cbranch_execz .LBB54_245
; %bb.242:
	v_subrev_u32_e32 v130, 30, v0
	s_movk_i32 s14, 0x158
	s_mov_b64 s[4:5], 0
.LBB54_243:                             ; =>This Inner Loop Header: Depth=1
	buffer_load_dword v131, v128, s[0:3], 0 offen
	v_mov_b32_e32 v132, s14
	ds_read_b32 v132, v132
	v_add_u32_e32 v130, -1, v130
	s_add_i32 s14, s14, 4
	v_cmp_eq_u32_e32 vcc, 0, v130
	v_add_u32_e32 v128, 4, v128
	s_or_b64 s[4:5], vcc, s[4:5]
	s_waitcnt vmcnt(0) lgkmcnt(0)
	v_fmac_f32_e32 v129, v131, v132
	s_andn2_b64 exec, exec, s[4:5]
	s_cbranch_execnz .LBB54_243
; %bb.244:
	s_or_b64 exec, exec, s[4:5]
.LBB54_245:
	s_or_b64 exec, exec, s[12:13]
	v_mov_b32_e32 v128, 0
	ds_read_b32 v128, v128 offset:116
	s_waitcnt lgkmcnt(0)
	v_mul_f32_e32 v128, v129, v128
	buffer_store_dword v128, off, s[0:3], 0 offset:116
.LBB54_246:
	s_or_b64 exec, exec, s[8:9]
	buffer_load_dword v128, off, s[0:3], 0 offset:112
	v_cmp_lt_u32_e64 s[4:5], 28, v0
	s_waitcnt vmcnt(0)
	ds_write_b32 v112, v128
	s_waitcnt lgkmcnt(0)
	; wave barrier
	s_waitcnt lgkmcnt(0)
	s_and_saveexec_b64 s[8:9], s[4:5]
	s_cbranch_execz .LBB54_256
; %bb.247:
	s_andn2_b64 vcc, exec, s[10:11]
	s_cbranch_vccnz .LBB54_249
; %bb.248:
	buffer_load_dword v128, v113, s[0:3], 0 offen
	ds_read_b32 v129, v112
	s_waitcnt vmcnt(0) lgkmcnt(0)
	v_mul_f32_e32 v128, v128, v129
	s_cbranch_execz .LBB54_250
	s_branch .LBB54_251
.LBB54_249:
                                        ; implicit-def: $vgpr128
.LBB54_250:
	ds_read_b32 v128, v112
.LBB54_251:
	s_and_saveexec_b64 s[12:13], s[6:7]
	s_cbranch_execz .LBB54_255
; %bb.252:
	v_mov_b32_e32 v129, 0
	v_add_u32_e32 v129, 0x74, v129
	v_subrev_u32_e32 v130, 29, v0
	s_movk_i32 s14, 0x154
	s_mov_b64 s[6:7], 0
.LBB54_253:                             ; =>This Inner Loop Header: Depth=1
	buffer_load_dword v131, v129, s[0:3], 0 offen
	v_mov_b32_e32 v132, s14
	ds_read_b32 v132, v132
	v_add_u32_e32 v130, -1, v130
	s_add_i32 s14, s14, 4
	v_cmp_eq_u32_e32 vcc, 0, v130
	v_add_u32_e32 v129, 4, v129
	s_or_b64 s[6:7], vcc, s[6:7]
	s_waitcnt vmcnt(0) lgkmcnt(0)
	v_fmac_f32_e32 v128, v131, v132
	s_andn2_b64 exec, exec, s[6:7]
	s_cbranch_execnz .LBB54_253
; %bb.254:
	s_or_b64 exec, exec, s[6:7]
.LBB54_255:
	s_or_b64 exec, exec, s[12:13]
	v_mov_b32_e32 v129, 0
	ds_read_b32 v129, v129 offset:112
	s_waitcnt lgkmcnt(0)
	v_mul_f32_e32 v128, v128, v129
	buffer_store_dword v128, off, s[0:3], 0 offset:112
.LBB54_256:
	s_or_b64 exec, exec, s[8:9]
	buffer_load_dword v128, off, s[0:3], 0 offset:108
	v_cmp_lt_u32_e64 s[6:7], 27, v0
	s_waitcnt vmcnt(0)
	ds_write_b32 v112, v128
	s_waitcnt lgkmcnt(0)
	; wave barrier
	s_waitcnt lgkmcnt(0)
	s_and_saveexec_b64 s[8:9], s[6:7]
	s_cbranch_execz .LBB54_266
; %bb.257:
	s_andn2_b64 vcc, exec, s[10:11]
	s_cbranch_vccnz .LBB54_259
; %bb.258:
	buffer_load_dword v128, v113, s[0:3], 0 offen
	ds_read_b32 v129, v112
	s_waitcnt vmcnt(0) lgkmcnt(0)
	v_mul_f32_e32 v128, v128, v129
	s_cbranch_execz .LBB54_260
	s_branch .LBB54_261
.LBB54_259:
                                        ; implicit-def: $vgpr128
.LBB54_260:
	ds_read_b32 v128, v112
.LBB54_261:
	s_and_saveexec_b64 s[12:13], s[4:5]
	s_cbranch_execz .LBB54_265
; %bb.262:
	v_subrev_u32_e32 v129, 28, v0
	s_movk_i32 s14, 0x150
	s_mov_b64 s[4:5], 0
.LBB54_263:                             ; =>This Inner Loop Header: Depth=1
	buffer_load_dword v130, v127, s[0:3], 0 offen
	v_mov_b32_e32 v131, s14
	ds_read_b32 v131, v131
	v_add_u32_e32 v129, -1, v129
	s_add_i32 s14, s14, 4
	v_cmp_eq_u32_e32 vcc, 0, v129
	v_add_u32_e32 v127, 4, v127
	s_or_b64 s[4:5], vcc, s[4:5]
	s_waitcnt vmcnt(0) lgkmcnt(0)
	v_fmac_f32_e32 v128, v130, v131
	s_andn2_b64 exec, exec, s[4:5]
	s_cbranch_execnz .LBB54_263
; %bb.264:
	s_or_b64 exec, exec, s[4:5]
.LBB54_265:
	s_or_b64 exec, exec, s[12:13]
	v_mov_b32_e32 v127, 0
	ds_read_b32 v127, v127 offset:108
	s_waitcnt lgkmcnt(0)
	v_mul_f32_e32 v127, v128, v127
	buffer_store_dword v127, off, s[0:3], 0 offset:108
.LBB54_266:
	s_or_b64 exec, exec, s[8:9]
	buffer_load_dword v127, off, s[0:3], 0 offset:104
	v_cmp_lt_u32_e64 s[4:5], 26, v0
	s_waitcnt vmcnt(0)
	ds_write_b32 v112, v127
	s_waitcnt lgkmcnt(0)
	; wave barrier
	s_waitcnt lgkmcnt(0)
	s_and_saveexec_b64 s[8:9], s[4:5]
	s_cbranch_execz .LBB54_276
; %bb.267:
	s_andn2_b64 vcc, exec, s[10:11]
	s_cbranch_vccnz .LBB54_269
; %bb.268:
	buffer_load_dword v127, v113, s[0:3], 0 offen
	ds_read_b32 v128, v112
	s_waitcnt vmcnt(0) lgkmcnt(0)
	v_mul_f32_e32 v127, v127, v128
	s_cbranch_execz .LBB54_270
	s_branch .LBB54_271
.LBB54_269:
                                        ; implicit-def: $vgpr127
.LBB54_270:
	ds_read_b32 v127, v112
.LBB54_271:
	s_and_saveexec_b64 s[12:13], s[6:7]
	s_cbranch_execz .LBB54_275
; %bb.272:
	v_mov_b32_e32 v128, 0
	v_add_u32_e32 v128, 0x6c, v128
	v_subrev_u32_e32 v129, 27, v0
	s_movk_i32 s14, 0x14c
	s_mov_b64 s[6:7], 0
.LBB54_273:                             ; =>This Inner Loop Header: Depth=1
	buffer_load_dword v130, v128, s[0:3], 0 offen
	v_mov_b32_e32 v131, s14
	ds_read_b32 v131, v131
	v_add_u32_e32 v129, -1, v129
	s_add_i32 s14, s14, 4
	v_cmp_eq_u32_e32 vcc, 0, v129
	v_add_u32_e32 v128, 4, v128
	s_or_b64 s[6:7], vcc, s[6:7]
	s_waitcnt vmcnt(0) lgkmcnt(0)
	v_fmac_f32_e32 v127, v130, v131
	s_andn2_b64 exec, exec, s[6:7]
	s_cbranch_execnz .LBB54_273
; %bb.274:
	s_or_b64 exec, exec, s[6:7]
.LBB54_275:
	s_or_b64 exec, exec, s[12:13]
	v_mov_b32_e32 v128, 0
	ds_read_b32 v128, v128 offset:104
	s_waitcnt lgkmcnt(0)
	v_mul_f32_e32 v127, v127, v128
	buffer_store_dword v127, off, s[0:3], 0 offset:104
.LBB54_276:
	s_or_b64 exec, exec, s[8:9]
	buffer_load_dword v127, off, s[0:3], 0 offset:100
	v_cmp_lt_u32_e64 s[6:7], 25, v0
	s_waitcnt vmcnt(0)
	ds_write_b32 v112, v127
	s_waitcnt lgkmcnt(0)
	; wave barrier
	s_waitcnt lgkmcnt(0)
	s_and_saveexec_b64 s[8:9], s[6:7]
	s_cbranch_execz .LBB54_286
; %bb.277:
	s_andn2_b64 vcc, exec, s[10:11]
	s_cbranch_vccnz .LBB54_279
; %bb.278:
	buffer_load_dword v127, v113, s[0:3], 0 offen
	ds_read_b32 v128, v112
	s_waitcnt vmcnt(0) lgkmcnt(0)
	v_mul_f32_e32 v127, v127, v128
	s_cbranch_execz .LBB54_280
	s_branch .LBB54_281
.LBB54_279:
                                        ; implicit-def: $vgpr127
.LBB54_280:
	ds_read_b32 v127, v112
.LBB54_281:
	s_and_saveexec_b64 s[12:13], s[4:5]
	s_cbranch_execz .LBB54_285
; %bb.282:
	v_subrev_u32_e32 v128, 26, v0
	s_movk_i32 s14, 0x148
	s_mov_b64 s[4:5], 0
.LBB54_283:                             ; =>This Inner Loop Header: Depth=1
	buffer_load_dword v129, v126, s[0:3], 0 offen
	v_mov_b32_e32 v130, s14
	ds_read_b32 v130, v130
	v_add_u32_e32 v128, -1, v128
	s_add_i32 s14, s14, 4
	v_cmp_eq_u32_e32 vcc, 0, v128
	v_add_u32_e32 v126, 4, v126
	s_or_b64 s[4:5], vcc, s[4:5]
	s_waitcnt vmcnt(0) lgkmcnt(0)
	v_fmac_f32_e32 v127, v129, v130
	s_andn2_b64 exec, exec, s[4:5]
	s_cbranch_execnz .LBB54_283
; %bb.284:
	s_or_b64 exec, exec, s[4:5]
.LBB54_285:
	s_or_b64 exec, exec, s[12:13]
	v_mov_b32_e32 v126, 0
	ds_read_b32 v126, v126 offset:100
	s_waitcnt lgkmcnt(0)
	v_mul_f32_e32 v126, v127, v126
	buffer_store_dword v126, off, s[0:3], 0 offset:100
.LBB54_286:
	s_or_b64 exec, exec, s[8:9]
	buffer_load_dword v126, off, s[0:3], 0 offset:96
	v_cmp_lt_u32_e64 s[4:5], 24, v0
	s_waitcnt vmcnt(0)
	ds_write_b32 v112, v126
	s_waitcnt lgkmcnt(0)
	; wave barrier
	s_waitcnt lgkmcnt(0)
	s_and_saveexec_b64 s[8:9], s[4:5]
	s_cbranch_execz .LBB54_296
; %bb.287:
	s_andn2_b64 vcc, exec, s[10:11]
	s_cbranch_vccnz .LBB54_289
; %bb.288:
	buffer_load_dword v126, v113, s[0:3], 0 offen
	ds_read_b32 v127, v112
	s_waitcnt vmcnt(0) lgkmcnt(0)
	v_mul_f32_e32 v126, v126, v127
	s_cbranch_execz .LBB54_290
	s_branch .LBB54_291
.LBB54_289:
                                        ; implicit-def: $vgpr126
.LBB54_290:
	ds_read_b32 v126, v112
.LBB54_291:
	s_and_saveexec_b64 s[12:13], s[6:7]
	s_cbranch_execz .LBB54_295
; %bb.292:
	v_mov_b32_e32 v127, 0
	v_add_u32_e32 v127, 0x64, v127
	v_subrev_u32_e32 v128, 25, v0
	s_movk_i32 s14, 0x144
	s_mov_b64 s[6:7], 0
.LBB54_293:                             ; =>This Inner Loop Header: Depth=1
	buffer_load_dword v129, v127, s[0:3], 0 offen
	v_mov_b32_e32 v130, s14
	ds_read_b32 v130, v130
	v_add_u32_e32 v128, -1, v128
	s_add_i32 s14, s14, 4
	v_cmp_eq_u32_e32 vcc, 0, v128
	v_add_u32_e32 v127, 4, v127
	s_or_b64 s[6:7], vcc, s[6:7]
	s_waitcnt vmcnt(0) lgkmcnt(0)
	v_fmac_f32_e32 v126, v129, v130
	s_andn2_b64 exec, exec, s[6:7]
	s_cbranch_execnz .LBB54_293
; %bb.294:
	s_or_b64 exec, exec, s[6:7]
.LBB54_295:
	s_or_b64 exec, exec, s[12:13]
	v_mov_b32_e32 v127, 0
	ds_read_b32 v127, v127 offset:96
	s_waitcnt lgkmcnt(0)
	v_mul_f32_e32 v126, v126, v127
	buffer_store_dword v126, off, s[0:3], 0 offset:96
.LBB54_296:
	s_or_b64 exec, exec, s[8:9]
	buffer_load_dword v126, off, s[0:3], 0 offset:92
	v_cmp_lt_u32_e64 s[6:7], 23, v0
	s_waitcnt vmcnt(0)
	ds_write_b32 v112, v126
	s_waitcnt lgkmcnt(0)
	; wave barrier
	s_waitcnt lgkmcnt(0)
	s_and_saveexec_b64 s[8:9], s[6:7]
	s_cbranch_execz .LBB54_306
; %bb.297:
	s_andn2_b64 vcc, exec, s[10:11]
	s_cbranch_vccnz .LBB54_299
; %bb.298:
	buffer_load_dword v126, v113, s[0:3], 0 offen
	ds_read_b32 v127, v112
	s_waitcnt vmcnt(0) lgkmcnt(0)
	v_mul_f32_e32 v126, v126, v127
	s_cbranch_execz .LBB54_300
	s_branch .LBB54_301
.LBB54_299:
                                        ; implicit-def: $vgpr126
.LBB54_300:
	ds_read_b32 v126, v112
.LBB54_301:
	s_and_saveexec_b64 s[12:13], s[4:5]
	s_cbranch_execz .LBB54_305
; %bb.302:
	v_subrev_u32_e32 v127, 24, v0
	s_movk_i32 s14, 0x140
	s_mov_b64 s[4:5], 0
.LBB54_303:                             ; =>This Inner Loop Header: Depth=1
	buffer_load_dword v128, v125, s[0:3], 0 offen
	v_mov_b32_e32 v129, s14
	ds_read_b32 v129, v129
	v_add_u32_e32 v127, -1, v127
	s_add_i32 s14, s14, 4
	v_cmp_eq_u32_e32 vcc, 0, v127
	v_add_u32_e32 v125, 4, v125
	s_or_b64 s[4:5], vcc, s[4:5]
	s_waitcnt vmcnt(0) lgkmcnt(0)
	v_fmac_f32_e32 v126, v128, v129
	s_andn2_b64 exec, exec, s[4:5]
	s_cbranch_execnz .LBB54_303
; %bb.304:
	s_or_b64 exec, exec, s[4:5]
.LBB54_305:
	s_or_b64 exec, exec, s[12:13]
	v_mov_b32_e32 v125, 0
	ds_read_b32 v125, v125 offset:92
	s_waitcnt lgkmcnt(0)
	v_mul_f32_e32 v125, v126, v125
	buffer_store_dword v125, off, s[0:3], 0 offset:92
.LBB54_306:
	s_or_b64 exec, exec, s[8:9]
	buffer_load_dword v125, off, s[0:3], 0 offset:88
	v_cmp_lt_u32_e64 s[4:5], 22, v0
	s_waitcnt vmcnt(0)
	ds_write_b32 v112, v125
	s_waitcnt lgkmcnt(0)
	; wave barrier
	s_waitcnt lgkmcnt(0)
	s_and_saveexec_b64 s[8:9], s[4:5]
	s_cbranch_execz .LBB54_316
; %bb.307:
	s_andn2_b64 vcc, exec, s[10:11]
	s_cbranch_vccnz .LBB54_309
; %bb.308:
	buffer_load_dword v125, v113, s[0:3], 0 offen
	ds_read_b32 v126, v112
	s_waitcnt vmcnt(0) lgkmcnt(0)
	v_mul_f32_e32 v125, v125, v126
	s_cbranch_execz .LBB54_310
	s_branch .LBB54_311
.LBB54_309:
                                        ; implicit-def: $vgpr125
.LBB54_310:
	ds_read_b32 v125, v112
.LBB54_311:
	s_and_saveexec_b64 s[12:13], s[6:7]
	s_cbranch_execz .LBB54_315
; %bb.312:
	v_mov_b32_e32 v126, 0
	v_add_u32_e32 v126, 0x5c, v126
	v_subrev_u32_e32 v127, 23, v0
	s_movk_i32 s14, 0x13c
	s_mov_b64 s[6:7], 0
.LBB54_313:                             ; =>This Inner Loop Header: Depth=1
	buffer_load_dword v128, v126, s[0:3], 0 offen
	v_mov_b32_e32 v129, s14
	ds_read_b32 v129, v129
	v_add_u32_e32 v127, -1, v127
	s_add_i32 s14, s14, 4
	v_cmp_eq_u32_e32 vcc, 0, v127
	v_add_u32_e32 v126, 4, v126
	s_or_b64 s[6:7], vcc, s[6:7]
	s_waitcnt vmcnt(0) lgkmcnt(0)
	v_fmac_f32_e32 v125, v128, v129
	s_andn2_b64 exec, exec, s[6:7]
	s_cbranch_execnz .LBB54_313
; %bb.314:
	s_or_b64 exec, exec, s[6:7]
.LBB54_315:
	s_or_b64 exec, exec, s[12:13]
	v_mov_b32_e32 v126, 0
	ds_read_b32 v126, v126 offset:88
	s_waitcnt lgkmcnt(0)
	v_mul_f32_e32 v125, v125, v126
	buffer_store_dword v125, off, s[0:3], 0 offset:88
.LBB54_316:
	s_or_b64 exec, exec, s[8:9]
	buffer_load_dword v125, off, s[0:3], 0 offset:84
	v_cmp_lt_u32_e64 s[6:7], 21, v0
	s_waitcnt vmcnt(0)
	ds_write_b32 v112, v125
	s_waitcnt lgkmcnt(0)
	; wave barrier
	s_waitcnt lgkmcnt(0)
	s_and_saveexec_b64 s[8:9], s[6:7]
	s_cbranch_execz .LBB54_326
; %bb.317:
	s_andn2_b64 vcc, exec, s[10:11]
	s_cbranch_vccnz .LBB54_319
; %bb.318:
	buffer_load_dword v125, v113, s[0:3], 0 offen
	ds_read_b32 v126, v112
	s_waitcnt vmcnt(0) lgkmcnt(0)
	v_mul_f32_e32 v125, v125, v126
	s_cbranch_execz .LBB54_320
	s_branch .LBB54_321
.LBB54_319:
                                        ; implicit-def: $vgpr125
.LBB54_320:
	ds_read_b32 v125, v112
.LBB54_321:
	s_and_saveexec_b64 s[12:13], s[4:5]
	s_cbranch_execz .LBB54_325
; %bb.322:
	v_subrev_u32_e32 v126, 22, v0
	s_movk_i32 s14, 0x138
	s_mov_b64 s[4:5], 0
.LBB54_323:                             ; =>This Inner Loop Header: Depth=1
	buffer_load_dword v127, v124, s[0:3], 0 offen
	v_mov_b32_e32 v128, s14
	ds_read_b32 v128, v128
	v_add_u32_e32 v126, -1, v126
	s_add_i32 s14, s14, 4
	v_cmp_eq_u32_e32 vcc, 0, v126
	v_add_u32_e32 v124, 4, v124
	s_or_b64 s[4:5], vcc, s[4:5]
	s_waitcnt vmcnt(0) lgkmcnt(0)
	v_fmac_f32_e32 v125, v127, v128
	s_andn2_b64 exec, exec, s[4:5]
	s_cbranch_execnz .LBB54_323
; %bb.324:
	s_or_b64 exec, exec, s[4:5]
.LBB54_325:
	s_or_b64 exec, exec, s[12:13]
	v_mov_b32_e32 v124, 0
	ds_read_b32 v124, v124 offset:84
	s_waitcnt lgkmcnt(0)
	v_mul_f32_e32 v124, v125, v124
	buffer_store_dword v124, off, s[0:3], 0 offset:84
.LBB54_326:
	s_or_b64 exec, exec, s[8:9]
	buffer_load_dword v124, off, s[0:3], 0 offset:80
	v_cmp_lt_u32_e64 s[4:5], 20, v0
	s_waitcnt vmcnt(0)
	ds_write_b32 v112, v124
	s_waitcnt lgkmcnt(0)
	; wave barrier
	s_waitcnt lgkmcnt(0)
	s_and_saveexec_b64 s[8:9], s[4:5]
	s_cbranch_execz .LBB54_336
; %bb.327:
	s_andn2_b64 vcc, exec, s[10:11]
	s_cbranch_vccnz .LBB54_329
; %bb.328:
	buffer_load_dword v124, v113, s[0:3], 0 offen
	ds_read_b32 v125, v112
	s_waitcnt vmcnt(0) lgkmcnt(0)
	v_mul_f32_e32 v124, v124, v125
	s_cbranch_execz .LBB54_330
	s_branch .LBB54_331
.LBB54_329:
                                        ; implicit-def: $vgpr124
.LBB54_330:
	ds_read_b32 v124, v112
.LBB54_331:
	s_and_saveexec_b64 s[12:13], s[6:7]
	s_cbranch_execz .LBB54_335
; %bb.332:
	v_mov_b32_e32 v125, 0
	v_add_u32_e32 v125, 0x54, v125
	v_subrev_u32_e32 v126, 21, v0
	s_movk_i32 s14, 0x134
	s_mov_b64 s[6:7], 0
.LBB54_333:                             ; =>This Inner Loop Header: Depth=1
	buffer_load_dword v127, v125, s[0:3], 0 offen
	v_mov_b32_e32 v128, s14
	ds_read_b32 v128, v128
	v_add_u32_e32 v126, -1, v126
	s_add_i32 s14, s14, 4
	v_cmp_eq_u32_e32 vcc, 0, v126
	v_add_u32_e32 v125, 4, v125
	s_or_b64 s[6:7], vcc, s[6:7]
	s_waitcnt vmcnt(0) lgkmcnt(0)
	v_fmac_f32_e32 v124, v127, v128
	s_andn2_b64 exec, exec, s[6:7]
	s_cbranch_execnz .LBB54_333
; %bb.334:
	s_or_b64 exec, exec, s[6:7]
.LBB54_335:
	s_or_b64 exec, exec, s[12:13]
	v_mov_b32_e32 v125, 0
	ds_read_b32 v125, v125 offset:80
	s_waitcnt lgkmcnt(0)
	v_mul_f32_e32 v124, v124, v125
	buffer_store_dword v124, off, s[0:3], 0 offset:80
.LBB54_336:
	s_or_b64 exec, exec, s[8:9]
	buffer_load_dword v124, off, s[0:3], 0 offset:76
	v_cmp_lt_u32_e64 s[6:7], 19, v0
	s_waitcnt vmcnt(0)
	ds_write_b32 v112, v124
	s_waitcnt lgkmcnt(0)
	; wave barrier
	s_waitcnt lgkmcnt(0)
	s_and_saveexec_b64 s[8:9], s[6:7]
	s_cbranch_execz .LBB54_346
; %bb.337:
	s_andn2_b64 vcc, exec, s[10:11]
	s_cbranch_vccnz .LBB54_339
; %bb.338:
	buffer_load_dword v124, v113, s[0:3], 0 offen
	ds_read_b32 v125, v112
	s_waitcnt vmcnt(0) lgkmcnt(0)
	v_mul_f32_e32 v124, v124, v125
	s_cbranch_execz .LBB54_340
	s_branch .LBB54_341
.LBB54_339:
                                        ; implicit-def: $vgpr124
.LBB54_340:
	ds_read_b32 v124, v112
.LBB54_341:
	s_and_saveexec_b64 s[12:13], s[4:5]
	s_cbranch_execz .LBB54_345
; %bb.342:
	v_subrev_u32_e32 v125, 20, v0
	s_movk_i32 s14, 0x130
	s_mov_b64 s[4:5], 0
.LBB54_343:                             ; =>This Inner Loop Header: Depth=1
	buffer_load_dword v126, v123, s[0:3], 0 offen
	v_mov_b32_e32 v127, s14
	ds_read_b32 v127, v127
	v_add_u32_e32 v125, -1, v125
	s_add_i32 s14, s14, 4
	v_cmp_eq_u32_e32 vcc, 0, v125
	v_add_u32_e32 v123, 4, v123
	s_or_b64 s[4:5], vcc, s[4:5]
	s_waitcnt vmcnt(0) lgkmcnt(0)
	v_fmac_f32_e32 v124, v126, v127
	s_andn2_b64 exec, exec, s[4:5]
	s_cbranch_execnz .LBB54_343
; %bb.344:
	s_or_b64 exec, exec, s[4:5]
.LBB54_345:
	s_or_b64 exec, exec, s[12:13]
	v_mov_b32_e32 v123, 0
	ds_read_b32 v123, v123 offset:76
	s_waitcnt lgkmcnt(0)
	v_mul_f32_e32 v123, v124, v123
	buffer_store_dword v123, off, s[0:3], 0 offset:76
.LBB54_346:
	s_or_b64 exec, exec, s[8:9]
	buffer_load_dword v123, off, s[0:3], 0 offset:72
	v_cmp_lt_u32_e64 s[4:5], 18, v0
	s_waitcnt vmcnt(0)
	ds_write_b32 v112, v123
	s_waitcnt lgkmcnt(0)
	; wave barrier
	s_waitcnt lgkmcnt(0)
	s_and_saveexec_b64 s[8:9], s[4:5]
	s_cbranch_execz .LBB54_356
; %bb.347:
	s_andn2_b64 vcc, exec, s[10:11]
	s_cbranch_vccnz .LBB54_349
; %bb.348:
	buffer_load_dword v123, v113, s[0:3], 0 offen
	ds_read_b32 v124, v112
	s_waitcnt vmcnt(0) lgkmcnt(0)
	v_mul_f32_e32 v123, v123, v124
	s_cbranch_execz .LBB54_350
	s_branch .LBB54_351
.LBB54_349:
                                        ; implicit-def: $vgpr123
.LBB54_350:
	ds_read_b32 v123, v112
.LBB54_351:
	s_and_saveexec_b64 s[12:13], s[6:7]
	s_cbranch_execz .LBB54_355
; %bb.352:
	v_mov_b32_e32 v124, 0
	v_add_u32_e32 v124, 0x4c, v124
	v_subrev_u32_e32 v125, 19, v0
	s_movk_i32 s14, 0x12c
	s_mov_b64 s[6:7], 0
.LBB54_353:                             ; =>This Inner Loop Header: Depth=1
	buffer_load_dword v126, v124, s[0:3], 0 offen
	v_mov_b32_e32 v127, s14
	ds_read_b32 v127, v127
	v_add_u32_e32 v125, -1, v125
	s_add_i32 s14, s14, 4
	v_cmp_eq_u32_e32 vcc, 0, v125
	v_add_u32_e32 v124, 4, v124
	s_or_b64 s[6:7], vcc, s[6:7]
	s_waitcnt vmcnt(0) lgkmcnt(0)
	v_fmac_f32_e32 v123, v126, v127
	s_andn2_b64 exec, exec, s[6:7]
	s_cbranch_execnz .LBB54_353
; %bb.354:
	s_or_b64 exec, exec, s[6:7]
.LBB54_355:
	s_or_b64 exec, exec, s[12:13]
	v_mov_b32_e32 v124, 0
	ds_read_b32 v124, v124 offset:72
	s_waitcnt lgkmcnt(0)
	v_mul_f32_e32 v123, v123, v124
	buffer_store_dword v123, off, s[0:3], 0 offset:72
.LBB54_356:
	s_or_b64 exec, exec, s[8:9]
	buffer_load_dword v123, off, s[0:3], 0 offset:68
	v_cmp_lt_u32_e64 s[6:7], 17, v0
	s_waitcnt vmcnt(0)
	ds_write_b32 v112, v123
	s_waitcnt lgkmcnt(0)
	; wave barrier
	s_waitcnt lgkmcnt(0)
	s_and_saveexec_b64 s[8:9], s[6:7]
	s_cbranch_execz .LBB54_366
; %bb.357:
	s_andn2_b64 vcc, exec, s[10:11]
	s_cbranch_vccnz .LBB54_359
; %bb.358:
	buffer_load_dword v123, v113, s[0:3], 0 offen
	ds_read_b32 v124, v112
	s_waitcnt vmcnt(0) lgkmcnt(0)
	v_mul_f32_e32 v123, v123, v124
	s_cbranch_execz .LBB54_360
	s_branch .LBB54_361
.LBB54_359:
                                        ; implicit-def: $vgpr123
.LBB54_360:
	ds_read_b32 v123, v112
.LBB54_361:
	s_and_saveexec_b64 s[12:13], s[4:5]
	s_cbranch_execz .LBB54_365
; %bb.362:
	v_subrev_u32_e32 v124, 18, v0
	s_movk_i32 s14, 0x128
	s_mov_b64 s[4:5], 0
.LBB54_363:                             ; =>This Inner Loop Header: Depth=1
	buffer_load_dword v125, v122, s[0:3], 0 offen
	v_mov_b32_e32 v126, s14
	ds_read_b32 v126, v126
	v_add_u32_e32 v124, -1, v124
	s_add_i32 s14, s14, 4
	v_cmp_eq_u32_e32 vcc, 0, v124
	v_add_u32_e32 v122, 4, v122
	s_or_b64 s[4:5], vcc, s[4:5]
	s_waitcnt vmcnt(0) lgkmcnt(0)
	v_fmac_f32_e32 v123, v125, v126
	s_andn2_b64 exec, exec, s[4:5]
	s_cbranch_execnz .LBB54_363
; %bb.364:
	s_or_b64 exec, exec, s[4:5]
.LBB54_365:
	s_or_b64 exec, exec, s[12:13]
	v_mov_b32_e32 v122, 0
	ds_read_b32 v122, v122 offset:68
	s_waitcnt lgkmcnt(0)
	v_mul_f32_e32 v122, v123, v122
	buffer_store_dword v122, off, s[0:3], 0 offset:68
.LBB54_366:
	s_or_b64 exec, exec, s[8:9]
	buffer_load_dword v122, off, s[0:3], 0 offset:64
	v_cmp_lt_u32_e64 s[4:5], 16, v0
	s_waitcnt vmcnt(0)
	ds_write_b32 v112, v122
	s_waitcnt lgkmcnt(0)
	; wave barrier
	s_waitcnt lgkmcnt(0)
	s_and_saveexec_b64 s[8:9], s[4:5]
	s_cbranch_execz .LBB54_376
; %bb.367:
	s_andn2_b64 vcc, exec, s[10:11]
	s_cbranch_vccnz .LBB54_369
; %bb.368:
	buffer_load_dword v122, v113, s[0:3], 0 offen
	ds_read_b32 v123, v112
	s_waitcnt vmcnt(0) lgkmcnt(0)
	v_mul_f32_e32 v122, v122, v123
	s_cbranch_execz .LBB54_370
	s_branch .LBB54_371
.LBB54_369:
                                        ; implicit-def: $vgpr122
.LBB54_370:
	ds_read_b32 v122, v112
.LBB54_371:
	s_and_saveexec_b64 s[12:13], s[6:7]
	s_cbranch_execz .LBB54_375
; %bb.372:
	v_mov_b32_e32 v123, 0
	v_add_u32_e32 v123, 0x44, v123
	v_subrev_u32_e32 v124, 17, v0
	s_movk_i32 s14, 0x124
	s_mov_b64 s[6:7], 0
.LBB54_373:                             ; =>This Inner Loop Header: Depth=1
	buffer_load_dword v125, v123, s[0:3], 0 offen
	v_mov_b32_e32 v126, s14
	ds_read_b32 v126, v126
	v_add_u32_e32 v124, -1, v124
	s_add_i32 s14, s14, 4
	v_cmp_eq_u32_e32 vcc, 0, v124
	v_add_u32_e32 v123, 4, v123
	s_or_b64 s[6:7], vcc, s[6:7]
	s_waitcnt vmcnt(0) lgkmcnt(0)
	v_fmac_f32_e32 v122, v125, v126
	s_andn2_b64 exec, exec, s[6:7]
	s_cbranch_execnz .LBB54_373
; %bb.374:
	s_or_b64 exec, exec, s[6:7]
.LBB54_375:
	s_or_b64 exec, exec, s[12:13]
	v_mov_b32_e32 v123, 0
	ds_read_b32 v123, v123 offset:64
	s_waitcnt lgkmcnt(0)
	v_mul_f32_e32 v122, v122, v123
	buffer_store_dword v122, off, s[0:3], 0 offset:64
.LBB54_376:
	s_or_b64 exec, exec, s[8:9]
	buffer_load_dword v122, off, s[0:3], 0 offset:60
	v_cmp_lt_u32_e64 s[6:7], 15, v0
	s_waitcnt vmcnt(0)
	ds_write_b32 v112, v122
	s_waitcnt lgkmcnt(0)
	; wave barrier
	s_waitcnt lgkmcnt(0)
	s_and_saveexec_b64 s[8:9], s[6:7]
	s_cbranch_execz .LBB54_386
; %bb.377:
	s_andn2_b64 vcc, exec, s[10:11]
	s_cbranch_vccnz .LBB54_379
; %bb.378:
	buffer_load_dword v122, v113, s[0:3], 0 offen
	ds_read_b32 v123, v112
	s_waitcnt vmcnt(0) lgkmcnt(0)
	v_mul_f32_e32 v122, v122, v123
	s_cbranch_execz .LBB54_380
	s_branch .LBB54_381
.LBB54_379:
                                        ; implicit-def: $vgpr122
.LBB54_380:
	ds_read_b32 v122, v112
.LBB54_381:
	s_and_saveexec_b64 s[12:13], s[4:5]
	s_cbranch_execz .LBB54_385
; %bb.382:
	v_add_u32_e32 v123, -16, v0
	s_movk_i32 s14, 0x120
	s_mov_b64 s[4:5], 0
.LBB54_383:                             ; =>This Inner Loop Header: Depth=1
	buffer_load_dword v124, v121, s[0:3], 0 offen
	v_mov_b32_e32 v125, s14
	ds_read_b32 v125, v125
	v_add_u32_e32 v123, -1, v123
	s_add_i32 s14, s14, 4
	v_cmp_eq_u32_e32 vcc, 0, v123
	v_add_u32_e32 v121, 4, v121
	s_or_b64 s[4:5], vcc, s[4:5]
	s_waitcnt vmcnt(0) lgkmcnt(0)
	v_fmac_f32_e32 v122, v124, v125
	s_andn2_b64 exec, exec, s[4:5]
	s_cbranch_execnz .LBB54_383
; %bb.384:
	s_or_b64 exec, exec, s[4:5]
.LBB54_385:
	s_or_b64 exec, exec, s[12:13]
	v_mov_b32_e32 v121, 0
	ds_read_b32 v121, v121 offset:60
	s_waitcnt lgkmcnt(0)
	v_mul_f32_e32 v121, v122, v121
	buffer_store_dword v121, off, s[0:3], 0 offset:60
.LBB54_386:
	s_or_b64 exec, exec, s[8:9]
	buffer_load_dword v121, off, s[0:3], 0 offset:56
	v_cmp_lt_u32_e64 s[4:5], 14, v0
	s_waitcnt vmcnt(0)
	ds_write_b32 v112, v121
	s_waitcnt lgkmcnt(0)
	; wave barrier
	s_waitcnt lgkmcnt(0)
	s_and_saveexec_b64 s[8:9], s[4:5]
	s_cbranch_execz .LBB54_396
; %bb.387:
	s_andn2_b64 vcc, exec, s[10:11]
	s_cbranch_vccnz .LBB54_389
; %bb.388:
	buffer_load_dword v121, v113, s[0:3], 0 offen
	ds_read_b32 v122, v112
	s_waitcnt vmcnt(0) lgkmcnt(0)
	v_mul_f32_e32 v121, v121, v122
	s_cbranch_execz .LBB54_390
	s_branch .LBB54_391
.LBB54_389:
                                        ; implicit-def: $vgpr121
.LBB54_390:
	ds_read_b32 v121, v112
.LBB54_391:
	s_and_saveexec_b64 s[12:13], s[6:7]
	s_cbranch_execz .LBB54_395
; %bb.392:
	v_mov_b32_e32 v122, 0
	v_add_u32_e32 v122, 60, v122
	v_add_u32_e32 v123, -15, v0
	s_movk_i32 s14, 0x11c
	s_mov_b64 s[6:7], 0
.LBB54_393:                             ; =>This Inner Loop Header: Depth=1
	buffer_load_dword v124, v122, s[0:3], 0 offen
	v_mov_b32_e32 v125, s14
	ds_read_b32 v125, v125
	v_add_u32_e32 v123, -1, v123
	s_add_i32 s14, s14, 4
	v_cmp_eq_u32_e32 vcc, 0, v123
	v_add_u32_e32 v122, 4, v122
	s_or_b64 s[6:7], vcc, s[6:7]
	s_waitcnt vmcnt(0) lgkmcnt(0)
	v_fmac_f32_e32 v121, v124, v125
	s_andn2_b64 exec, exec, s[6:7]
	s_cbranch_execnz .LBB54_393
; %bb.394:
	s_or_b64 exec, exec, s[6:7]
.LBB54_395:
	s_or_b64 exec, exec, s[12:13]
	v_mov_b32_e32 v122, 0
	ds_read_b32 v122, v122 offset:56
	s_waitcnt lgkmcnt(0)
	v_mul_f32_e32 v121, v121, v122
	buffer_store_dword v121, off, s[0:3], 0 offset:56
.LBB54_396:
	s_or_b64 exec, exec, s[8:9]
	buffer_load_dword v121, off, s[0:3], 0 offset:52
	v_cmp_lt_u32_e64 s[6:7], 13, v0
	s_waitcnt vmcnt(0)
	ds_write_b32 v112, v121
	s_waitcnt lgkmcnt(0)
	; wave barrier
	s_waitcnt lgkmcnt(0)
	s_and_saveexec_b64 s[8:9], s[6:7]
	s_cbranch_execz .LBB54_406
; %bb.397:
	s_andn2_b64 vcc, exec, s[10:11]
	s_cbranch_vccnz .LBB54_399
; %bb.398:
	buffer_load_dword v121, v113, s[0:3], 0 offen
	ds_read_b32 v122, v112
	s_waitcnt vmcnt(0) lgkmcnt(0)
	v_mul_f32_e32 v121, v121, v122
	s_cbranch_execz .LBB54_400
	s_branch .LBB54_401
.LBB54_399:
                                        ; implicit-def: $vgpr121
.LBB54_400:
	ds_read_b32 v121, v112
.LBB54_401:
	s_and_saveexec_b64 s[12:13], s[4:5]
	s_cbranch_execz .LBB54_405
; %bb.402:
	v_add_u32_e32 v122, -14, v0
	s_movk_i32 s14, 0x118
	s_mov_b64 s[4:5], 0
.LBB54_403:                             ; =>This Inner Loop Header: Depth=1
	buffer_load_dword v123, v120, s[0:3], 0 offen
	v_mov_b32_e32 v124, s14
	ds_read_b32 v124, v124
	v_add_u32_e32 v122, -1, v122
	s_add_i32 s14, s14, 4
	v_cmp_eq_u32_e32 vcc, 0, v122
	v_add_u32_e32 v120, 4, v120
	s_or_b64 s[4:5], vcc, s[4:5]
	s_waitcnt vmcnt(0) lgkmcnt(0)
	v_fmac_f32_e32 v121, v123, v124
	s_andn2_b64 exec, exec, s[4:5]
	s_cbranch_execnz .LBB54_403
; %bb.404:
	s_or_b64 exec, exec, s[4:5]
.LBB54_405:
	s_or_b64 exec, exec, s[12:13]
	v_mov_b32_e32 v120, 0
	ds_read_b32 v120, v120 offset:52
	s_waitcnt lgkmcnt(0)
	v_mul_f32_e32 v120, v121, v120
	buffer_store_dword v120, off, s[0:3], 0 offset:52
.LBB54_406:
	s_or_b64 exec, exec, s[8:9]
	buffer_load_dword v120, off, s[0:3], 0 offset:48
	v_cmp_lt_u32_e64 s[4:5], 12, v0
	s_waitcnt vmcnt(0)
	ds_write_b32 v112, v120
	s_waitcnt lgkmcnt(0)
	; wave barrier
	s_waitcnt lgkmcnt(0)
	s_and_saveexec_b64 s[8:9], s[4:5]
	s_cbranch_execz .LBB54_416
; %bb.407:
	s_andn2_b64 vcc, exec, s[10:11]
	s_cbranch_vccnz .LBB54_409
; %bb.408:
	buffer_load_dword v120, v113, s[0:3], 0 offen
	ds_read_b32 v121, v112
	s_waitcnt vmcnt(0) lgkmcnt(0)
	v_mul_f32_e32 v120, v120, v121
	s_cbranch_execz .LBB54_410
	s_branch .LBB54_411
.LBB54_409:
                                        ; implicit-def: $vgpr120
.LBB54_410:
	ds_read_b32 v120, v112
.LBB54_411:
	s_and_saveexec_b64 s[12:13], s[6:7]
	s_cbranch_execz .LBB54_415
; %bb.412:
	v_mov_b32_e32 v121, 0
	v_add_u32_e32 v121, 52, v121
	v_add_u32_e32 v122, -13, v0
	s_movk_i32 s14, 0x114
	s_mov_b64 s[6:7], 0
.LBB54_413:                             ; =>This Inner Loop Header: Depth=1
	buffer_load_dword v123, v121, s[0:3], 0 offen
	v_mov_b32_e32 v124, s14
	ds_read_b32 v124, v124
	v_add_u32_e32 v122, -1, v122
	s_add_i32 s14, s14, 4
	v_cmp_eq_u32_e32 vcc, 0, v122
	v_add_u32_e32 v121, 4, v121
	s_or_b64 s[6:7], vcc, s[6:7]
	s_waitcnt vmcnt(0) lgkmcnt(0)
	v_fmac_f32_e32 v120, v123, v124
	s_andn2_b64 exec, exec, s[6:7]
	s_cbranch_execnz .LBB54_413
; %bb.414:
	s_or_b64 exec, exec, s[6:7]
.LBB54_415:
	s_or_b64 exec, exec, s[12:13]
	v_mov_b32_e32 v121, 0
	ds_read_b32 v121, v121 offset:48
	s_waitcnt lgkmcnt(0)
	v_mul_f32_e32 v120, v120, v121
	buffer_store_dword v120, off, s[0:3], 0 offset:48
.LBB54_416:
	s_or_b64 exec, exec, s[8:9]
	buffer_load_dword v120, off, s[0:3], 0 offset:44
	v_cmp_lt_u32_e64 s[6:7], 11, v0
	s_waitcnt vmcnt(0)
	ds_write_b32 v112, v120
	s_waitcnt lgkmcnt(0)
	; wave barrier
	s_waitcnt lgkmcnt(0)
	s_and_saveexec_b64 s[8:9], s[6:7]
	s_cbranch_execz .LBB54_426
; %bb.417:
	s_andn2_b64 vcc, exec, s[10:11]
	s_cbranch_vccnz .LBB54_419
; %bb.418:
	buffer_load_dword v120, v113, s[0:3], 0 offen
	ds_read_b32 v121, v112
	s_waitcnt vmcnt(0) lgkmcnt(0)
	v_mul_f32_e32 v120, v120, v121
	s_cbranch_execz .LBB54_420
	s_branch .LBB54_421
.LBB54_419:
                                        ; implicit-def: $vgpr120
.LBB54_420:
	ds_read_b32 v120, v112
.LBB54_421:
	s_and_saveexec_b64 s[12:13], s[4:5]
	s_cbranch_execz .LBB54_425
; %bb.422:
	v_add_u32_e32 v121, -12, v0
	s_movk_i32 s14, 0x110
	s_mov_b64 s[4:5], 0
.LBB54_423:                             ; =>This Inner Loop Header: Depth=1
	buffer_load_dword v122, v119, s[0:3], 0 offen
	v_mov_b32_e32 v123, s14
	ds_read_b32 v123, v123
	v_add_u32_e32 v121, -1, v121
	s_add_i32 s14, s14, 4
	v_cmp_eq_u32_e32 vcc, 0, v121
	v_add_u32_e32 v119, 4, v119
	s_or_b64 s[4:5], vcc, s[4:5]
	s_waitcnt vmcnt(0) lgkmcnt(0)
	v_fmac_f32_e32 v120, v122, v123
	s_andn2_b64 exec, exec, s[4:5]
	s_cbranch_execnz .LBB54_423
; %bb.424:
	s_or_b64 exec, exec, s[4:5]
.LBB54_425:
	s_or_b64 exec, exec, s[12:13]
	v_mov_b32_e32 v119, 0
	ds_read_b32 v119, v119 offset:44
	s_waitcnt lgkmcnt(0)
	v_mul_f32_e32 v119, v120, v119
	buffer_store_dword v119, off, s[0:3], 0 offset:44
.LBB54_426:
	s_or_b64 exec, exec, s[8:9]
	buffer_load_dword v119, off, s[0:3], 0 offset:40
	v_cmp_lt_u32_e64 s[4:5], 10, v0
	s_waitcnt vmcnt(0)
	ds_write_b32 v112, v119
	s_waitcnt lgkmcnt(0)
	; wave barrier
	s_waitcnt lgkmcnt(0)
	s_and_saveexec_b64 s[8:9], s[4:5]
	s_cbranch_execz .LBB54_436
; %bb.427:
	s_andn2_b64 vcc, exec, s[10:11]
	s_cbranch_vccnz .LBB54_429
; %bb.428:
	buffer_load_dword v119, v113, s[0:3], 0 offen
	ds_read_b32 v120, v112
	s_waitcnt vmcnt(0) lgkmcnt(0)
	v_mul_f32_e32 v119, v119, v120
	s_cbranch_execz .LBB54_430
	s_branch .LBB54_431
.LBB54_429:
                                        ; implicit-def: $vgpr119
.LBB54_430:
	ds_read_b32 v119, v112
.LBB54_431:
	s_and_saveexec_b64 s[12:13], s[6:7]
	s_cbranch_execz .LBB54_435
; %bb.432:
	v_mov_b32_e32 v120, 0
	v_add_u32_e32 v120, 44, v120
	v_add_u32_e32 v121, -11, v0
	s_movk_i32 s14, 0x10c
	s_mov_b64 s[6:7], 0
.LBB54_433:                             ; =>This Inner Loop Header: Depth=1
	buffer_load_dword v122, v120, s[0:3], 0 offen
	v_mov_b32_e32 v123, s14
	ds_read_b32 v123, v123
	v_add_u32_e32 v121, -1, v121
	s_add_i32 s14, s14, 4
	v_cmp_eq_u32_e32 vcc, 0, v121
	v_add_u32_e32 v120, 4, v120
	s_or_b64 s[6:7], vcc, s[6:7]
	s_waitcnt vmcnt(0) lgkmcnt(0)
	v_fmac_f32_e32 v119, v122, v123
	s_andn2_b64 exec, exec, s[6:7]
	s_cbranch_execnz .LBB54_433
; %bb.434:
	s_or_b64 exec, exec, s[6:7]
.LBB54_435:
	s_or_b64 exec, exec, s[12:13]
	v_mov_b32_e32 v120, 0
	ds_read_b32 v120, v120 offset:40
	s_waitcnt lgkmcnt(0)
	v_mul_f32_e32 v119, v119, v120
	buffer_store_dword v119, off, s[0:3], 0 offset:40
.LBB54_436:
	s_or_b64 exec, exec, s[8:9]
	buffer_load_dword v119, off, s[0:3], 0 offset:36
	v_cmp_lt_u32_e64 s[6:7], 9, v0
	s_waitcnt vmcnt(0)
	ds_write_b32 v112, v119
	s_waitcnt lgkmcnt(0)
	; wave barrier
	s_waitcnt lgkmcnt(0)
	s_and_saveexec_b64 s[8:9], s[6:7]
	s_cbranch_execz .LBB54_446
; %bb.437:
	s_andn2_b64 vcc, exec, s[10:11]
	s_cbranch_vccnz .LBB54_439
; %bb.438:
	buffer_load_dword v119, v113, s[0:3], 0 offen
	ds_read_b32 v120, v112
	s_waitcnt vmcnt(0) lgkmcnt(0)
	v_mul_f32_e32 v119, v119, v120
	s_cbranch_execz .LBB54_440
	s_branch .LBB54_441
.LBB54_439:
                                        ; implicit-def: $vgpr119
.LBB54_440:
	ds_read_b32 v119, v112
.LBB54_441:
	s_and_saveexec_b64 s[12:13], s[4:5]
	s_cbranch_execz .LBB54_445
; %bb.442:
	v_add_u32_e32 v120, -10, v0
	s_movk_i32 s14, 0x108
	s_mov_b64 s[4:5], 0
.LBB54_443:                             ; =>This Inner Loop Header: Depth=1
	buffer_load_dword v121, v118, s[0:3], 0 offen
	v_mov_b32_e32 v122, s14
	ds_read_b32 v122, v122
	v_add_u32_e32 v120, -1, v120
	s_add_i32 s14, s14, 4
	v_cmp_eq_u32_e32 vcc, 0, v120
	v_add_u32_e32 v118, 4, v118
	s_or_b64 s[4:5], vcc, s[4:5]
	s_waitcnt vmcnt(0) lgkmcnt(0)
	v_fmac_f32_e32 v119, v121, v122
	s_andn2_b64 exec, exec, s[4:5]
	s_cbranch_execnz .LBB54_443
; %bb.444:
	s_or_b64 exec, exec, s[4:5]
.LBB54_445:
	s_or_b64 exec, exec, s[12:13]
	v_mov_b32_e32 v118, 0
	ds_read_b32 v118, v118 offset:36
	s_waitcnt lgkmcnt(0)
	v_mul_f32_e32 v118, v119, v118
	buffer_store_dword v118, off, s[0:3], 0 offset:36
.LBB54_446:
	s_or_b64 exec, exec, s[8:9]
	buffer_load_dword v118, off, s[0:3], 0 offset:32
	v_cmp_lt_u32_e64 s[4:5], 8, v0
	s_waitcnt vmcnt(0)
	ds_write_b32 v112, v118
	s_waitcnt lgkmcnt(0)
	; wave barrier
	s_waitcnt lgkmcnt(0)
	s_and_saveexec_b64 s[8:9], s[4:5]
	s_cbranch_execz .LBB54_456
; %bb.447:
	s_andn2_b64 vcc, exec, s[10:11]
	s_cbranch_vccnz .LBB54_449
; %bb.448:
	buffer_load_dword v118, v113, s[0:3], 0 offen
	ds_read_b32 v119, v112
	s_waitcnt vmcnt(0) lgkmcnt(0)
	v_mul_f32_e32 v118, v118, v119
	s_cbranch_execz .LBB54_450
	s_branch .LBB54_451
.LBB54_449:
                                        ; implicit-def: $vgpr118
.LBB54_450:
	ds_read_b32 v118, v112
.LBB54_451:
	s_and_saveexec_b64 s[12:13], s[6:7]
	s_cbranch_execz .LBB54_455
; %bb.452:
	v_mov_b32_e32 v119, 0
	v_add_u32_e32 v119, 36, v119
	v_add_u32_e32 v120, -9, v0
	s_movk_i32 s14, 0x104
	s_mov_b64 s[6:7], 0
.LBB54_453:                             ; =>This Inner Loop Header: Depth=1
	buffer_load_dword v121, v119, s[0:3], 0 offen
	v_mov_b32_e32 v122, s14
	ds_read_b32 v122, v122
	v_add_u32_e32 v120, -1, v120
	s_add_i32 s14, s14, 4
	v_cmp_eq_u32_e32 vcc, 0, v120
	v_add_u32_e32 v119, 4, v119
	s_or_b64 s[6:7], vcc, s[6:7]
	s_waitcnt vmcnt(0) lgkmcnt(0)
	v_fmac_f32_e32 v118, v121, v122
	s_andn2_b64 exec, exec, s[6:7]
	s_cbranch_execnz .LBB54_453
; %bb.454:
	s_or_b64 exec, exec, s[6:7]
.LBB54_455:
	s_or_b64 exec, exec, s[12:13]
	v_mov_b32_e32 v119, 0
	ds_read_b32 v119, v119 offset:32
	s_waitcnt lgkmcnt(0)
	v_mul_f32_e32 v118, v118, v119
	buffer_store_dword v118, off, s[0:3], 0 offset:32
.LBB54_456:
	s_or_b64 exec, exec, s[8:9]
	buffer_load_dword v118, off, s[0:3], 0 offset:28
	v_cmp_lt_u32_e64 s[6:7], 7, v0
	s_waitcnt vmcnt(0)
	ds_write_b32 v112, v118
	s_waitcnt lgkmcnt(0)
	; wave barrier
	s_waitcnt lgkmcnt(0)
	s_and_saveexec_b64 s[8:9], s[6:7]
	s_cbranch_execz .LBB54_466
; %bb.457:
	s_andn2_b64 vcc, exec, s[10:11]
	s_cbranch_vccnz .LBB54_459
; %bb.458:
	buffer_load_dword v118, v113, s[0:3], 0 offen
	ds_read_b32 v119, v112
	s_waitcnt vmcnt(0) lgkmcnt(0)
	v_mul_f32_e32 v118, v118, v119
	s_cbranch_execz .LBB54_460
	s_branch .LBB54_461
.LBB54_459:
                                        ; implicit-def: $vgpr118
.LBB54_460:
	ds_read_b32 v118, v112
.LBB54_461:
	s_and_saveexec_b64 s[12:13], s[4:5]
	s_cbranch_execz .LBB54_465
; %bb.462:
	v_add_u32_e32 v119, -8, v0
	s_movk_i32 s14, 0x100
	s_mov_b64 s[4:5], 0
.LBB54_463:                             ; =>This Inner Loop Header: Depth=1
	buffer_load_dword v120, v117, s[0:3], 0 offen
	v_mov_b32_e32 v121, s14
	ds_read_b32 v121, v121
	v_add_u32_e32 v119, -1, v119
	s_add_i32 s14, s14, 4
	v_cmp_eq_u32_e32 vcc, 0, v119
	v_add_u32_e32 v117, 4, v117
	s_or_b64 s[4:5], vcc, s[4:5]
	s_waitcnt vmcnt(0) lgkmcnt(0)
	v_fmac_f32_e32 v118, v120, v121
	s_andn2_b64 exec, exec, s[4:5]
	s_cbranch_execnz .LBB54_463
; %bb.464:
	s_or_b64 exec, exec, s[4:5]
.LBB54_465:
	s_or_b64 exec, exec, s[12:13]
	v_mov_b32_e32 v117, 0
	ds_read_b32 v117, v117 offset:28
	s_waitcnt lgkmcnt(0)
	v_mul_f32_e32 v117, v118, v117
	buffer_store_dword v117, off, s[0:3], 0 offset:28
.LBB54_466:
	s_or_b64 exec, exec, s[8:9]
	buffer_load_dword v117, off, s[0:3], 0 offset:24
	v_cmp_lt_u32_e64 s[4:5], 6, v0
	s_waitcnt vmcnt(0)
	ds_write_b32 v112, v117
	s_waitcnt lgkmcnt(0)
	; wave barrier
	s_waitcnt lgkmcnt(0)
	s_and_saveexec_b64 s[8:9], s[4:5]
	s_cbranch_execz .LBB54_476
; %bb.467:
	s_andn2_b64 vcc, exec, s[10:11]
	s_cbranch_vccnz .LBB54_469
; %bb.468:
	buffer_load_dword v117, v113, s[0:3], 0 offen
	ds_read_b32 v118, v112
	s_waitcnt vmcnt(0) lgkmcnt(0)
	v_mul_f32_e32 v117, v117, v118
	s_cbranch_execz .LBB54_470
	s_branch .LBB54_471
.LBB54_469:
                                        ; implicit-def: $vgpr117
.LBB54_470:
	ds_read_b32 v117, v112
.LBB54_471:
	s_and_saveexec_b64 s[12:13], s[6:7]
	s_cbranch_execz .LBB54_475
; %bb.472:
	v_mov_b32_e32 v118, 0
	v_add_u32_e32 v118, 28, v118
	v_add_u32_e32 v119, -7, v0
	s_movk_i32 s14, 0xfc
	s_mov_b64 s[6:7], 0
.LBB54_473:                             ; =>This Inner Loop Header: Depth=1
	buffer_load_dword v120, v118, s[0:3], 0 offen
	v_mov_b32_e32 v121, s14
	ds_read_b32 v121, v121
	v_add_u32_e32 v119, -1, v119
	s_add_i32 s14, s14, 4
	v_cmp_eq_u32_e32 vcc, 0, v119
	v_add_u32_e32 v118, 4, v118
	s_or_b64 s[6:7], vcc, s[6:7]
	s_waitcnt vmcnt(0) lgkmcnt(0)
	v_fmac_f32_e32 v117, v120, v121
	s_andn2_b64 exec, exec, s[6:7]
	s_cbranch_execnz .LBB54_473
; %bb.474:
	s_or_b64 exec, exec, s[6:7]
.LBB54_475:
	s_or_b64 exec, exec, s[12:13]
	v_mov_b32_e32 v118, 0
	ds_read_b32 v118, v118 offset:24
	s_waitcnt lgkmcnt(0)
	v_mul_f32_e32 v117, v117, v118
	buffer_store_dword v117, off, s[0:3], 0 offset:24
.LBB54_476:
	s_or_b64 exec, exec, s[8:9]
	buffer_load_dword v117, off, s[0:3], 0 offset:20
	v_cmp_lt_u32_e64 s[6:7], 5, v0
	s_waitcnt vmcnt(0)
	ds_write_b32 v112, v117
	s_waitcnt lgkmcnt(0)
	; wave barrier
	s_waitcnt lgkmcnt(0)
	s_and_saveexec_b64 s[8:9], s[6:7]
	s_cbranch_execz .LBB54_486
; %bb.477:
	s_andn2_b64 vcc, exec, s[10:11]
	s_cbranch_vccnz .LBB54_479
; %bb.478:
	buffer_load_dword v117, v113, s[0:3], 0 offen
	ds_read_b32 v118, v112
	s_waitcnt vmcnt(0) lgkmcnt(0)
	v_mul_f32_e32 v117, v117, v118
	s_cbranch_execz .LBB54_480
	s_branch .LBB54_481
.LBB54_479:
                                        ; implicit-def: $vgpr117
.LBB54_480:
	ds_read_b32 v117, v112
.LBB54_481:
	s_and_saveexec_b64 s[12:13], s[4:5]
	s_cbranch_execz .LBB54_485
; %bb.482:
	v_add_u32_e32 v118, -6, v0
	s_movk_i32 s14, 0xf8
	s_mov_b64 s[4:5], 0
.LBB54_483:                             ; =>This Inner Loop Header: Depth=1
	buffer_load_dword v119, v116, s[0:3], 0 offen
	v_mov_b32_e32 v120, s14
	ds_read_b32 v120, v120
	v_add_u32_e32 v118, -1, v118
	s_add_i32 s14, s14, 4
	v_cmp_eq_u32_e32 vcc, 0, v118
	v_add_u32_e32 v116, 4, v116
	s_or_b64 s[4:5], vcc, s[4:5]
	s_waitcnt vmcnt(0) lgkmcnt(0)
	v_fmac_f32_e32 v117, v119, v120
	s_andn2_b64 exec, exec, s[4:5]
	s_cbranch_execnz .LBB54_483
; %bb.484:
	s_or_b64 exec, exec, s[4:5]
.LBB54_485:
	s_or_b64 exec, exec, s[12:13]
	v_mov_b32_e32 v116, 0
	ds_read_b32 v116, v116 offset:20
	s_waitcnt lgkmcnt(0)
	v_mul_f32_e32 v116, v117, v116
	buffer_store_dword v116, off, s[0:3], 0 offset:20
.LBB54_486:
	s_or_b64 exec, exec, s[8:9]
	buffer_load_dword v116, off, s[0:3], 0 offset:16
	v_cmp_lt_u32_e64 s[4:5], 4, v0
	s_waitcnt vmcnt(0)
	ds_write_b32 v112, v116
	s_waitcnt lgkmcnt(0)
	; wave barrier
	s_waitcnt lgkmcnt(0)
	s_and_saveexec_b64 s[8:9], s[4:5]
	s_cbranch_execz .LBB54_496
; %bb.487:
	s_andn2_b64 vcc, exec, s[10:11]
	s_cbranch_vccnz .LBB54_489
; %bb.488:
	buffer_load_dword v116, v113, s[0:3], 0 offen
	ds_read_b32 v117, v112
	s_waitcnt vmcnt(0) lgkmcnt(0)
	v_mul_f32_e32 v116, v116, v117
	s_cbranch_execz .LBB54_490
	s_branch .LBB54_491
.LBB54_489:
                                        ; implicit-def: $vgpr116
.LBB54_490:
	ds_read_b32 v116, v112
.LBB54_491:
	s_and_saveexec_b64 s[12:13], s[6:7]
	s_cbranch_execz .LBB54_495
; %bb.492:
	v_mov_b32_e32 v117, 0
	v_add_u32_e32 v117, 20, v117
	v_add_u32_e32 v118, -5, v0
	s_movk_i32 s14, 0xf4
	s_mov_b64 s[6:7], 0
.LBB54_493:                             ; =>This Inner Loop Header: Depth=1
	buffer_load_dword v119, v117, s[0:3], 0 offen
	v_mov_b32_e32 v120, s14
	ds_read_b32 v120, v120
	v_add_u32_e32 v118, -1, v118
	s_add_i32 s14, s14, 4
	v_cmp_eq_u32_e32 vcc, 0, v118
	v_add_u32_e32 v117, 4, v117
	s_or_b64 s[6:7], vcc, s[6:7]
	s_waitcnt vmcnt(0) lgkmcnt(0)
	v_fmac_f32_e32 v116, v119, v120
	s_andn2_b64 exec, exec, s[6:7]
	s_cbranch_execnz .LBB54_493
; %bb.494:
	s_or_b64 exec, exec, s[6:7]
.LBB54_495:
	s_or_b64 exec, exec, s[12:13]
	v_mov_b32_e32 v117, 0
	ds_read_b32 v117, v117 offset:16
	s_waitcnt lgkmcnt(0)
	v_mul_f32_e32 v116, v116, v117
	buffer_store_dword v116, off, s[0:3], 0 offset:16
.LBB54_496:
	s_or_b64 exec, exec, s[8:9]
	buffer_load_dword v116, off, s[0:3], 0 offset:12
	v_cmp_lt_u32_e64 s[6:7], 3, v0
	s_waitcnt vmcnt(0)
	ds_write_b32 v112, v116
	s_waitcnt lgkmcnt(0)
	; wave barrier
	s_waitcnt lgkmcnt(0)
	s_and_saveexec_b64 s[8:9], s[6:7]
	s_cbranch_execz .LBB54_506
; %bb.497:
	s_andn2_b64 vcc, exec, s[10:11]
	s_cbranch_vccnz .LBB54_499
; %bb.498:
	buffer_load_dword v116, v113, s[0:3], 0 offen
	ds_read_b32 v117, v112
	s_waitcnt vmcnt(0) lgkmcnt(0)
	v_mul_f32_e32 v116, v116, v117
	s_cbranch_execz .LBB54_500
	s_branch .LBB54_501
.LBB54_499:
                                        ; implicit-def: $vgpr116
.LBB54_500:
	ds_read_b32 v116, v112
.LBB54_501:
	s_and_saveexec_b64 s[12:13], s[4:5]
	s_cbranch_execz .LBB54_505
; %bb.502:
	v_add_u32_e32 v117, -4, v0
	s_movk_i32 s14, 0xf0
	s_mov_b64 s[4:5], 0
.LBB54_503:                             ; =>This Inner Loop Header: Depth=1
	buffer_load_dword v118, v115, s[0:3], 0 offen
	v_mov_b32_e32 v119, s14
	ds_read_b32 v119, v119
	v_add_u32_e32 v117, -1, v117
	s_add_i32 s14, s14, 4
	v_cmp_eq_u32_e32 vcc, 0, v117
	v_add_u32_e32 v115, 4, v115
	s_or_b64 s[4:5], vcc, s[4:5]
	s_waitcnt vmcnt(0) lgkmcnt(0)
	v_fmac_f32_e32 v116, v118, v119
	s_andn2_b64 exec, exec, s[4:5]
	s_cbranch_execnz .LBB54_503
; %bb.504:
	s_or_b64 exec, exec, s[4:5]
.LBB54_505:
	s_or_b64 exec, exec, s[12:13]
	v_mov_b32_e32 v115, 0
	ds_read_b32 v115, v115 offset:12
	s_waitcnt lgkmcnt(0)
	v_mul_f32_e32 v115, v116, v115
	buffer_store_dword v115, off, s[0:3], 0 offset:12
.LBB54_506:
	s_or_b64 exec, exec, s[8:9]
	buffer_load_dword v115, off, s[0:3], 0 offset:8
	v_cmp_lt_u32_e64 s[4:5], 2, v0
	s_waitcnt vmcnt(0)
	ds_write_b32 v112, v115
	s_waitcnt lgkmcnt(0)
	; wave barrier
	s_waitcnt lgkmcnt(0)
	s_and_saveexec_b64 s[8:9], s[4:5]
	s_cbranch_execz .LBB54_516
; %bb.507:
	s_andn2_b64 vcc, exec, s[10:11]
	s_cbranch_vccnz .LBB54_509
; %bb.508:
	buffer_load_dword v115, v113, s[0:3], 0 offen
	ds_read_b32 v116, v112
	s_waitcnt vmcnt(0) lgkmcnt(0)
	v_mul_f32_e32 v115, v115, v116
	s_cbranch_execz .LBB54_510
	s_branch .LBB54_511
.LBB54_509:
                                        ; implicit-def: $vgpr115
.LBB54_510:
	ds_read_b32 v115, v112
.LBB54_511:
	s_and_saveexec_b64 s[12:13], s[6:7]
	s_cbranch_execz .LBB54_515
; %bb.512:
	v_mov_b32_e32 v116, 0
	v_or_b32_e32 v116, 12, v116
	v_add_u32_e32 v117, -3, v0
	s_movk_i32 s14, 0xec
	s_mov_b64 s[6:7], 0
.LBB54_513:                             ; =>This Inner Loop Header: Depth=1
	buffer_load_dword v118, v116, s[0:3], 0 offen
	v_mov_b32_e32 v119, s14
	ds_read_b32 v119, v119
	v_add_u32_e32 v117, -1, v117
	s_add_i32 s14, s14, 4
	v_cmp_eq_u32_e32 vcc, 0, v117
	v_add_u32_e32 v116, 4, v116
	s_or_b64 s[6:7], vcc, s[6:7]
	s_waitcnt vmcnt(0) lgkmcnt(0)
	v_fmac_f32_e32 v115, v118, v119
	s_andn2_b64 exec, exec, s[6:7]
	s_cbranch_execnz .LBB54_513
; %bb.514:
	s_or_b64 exec, exec, s[6:7]
.LBB54_515:
	s_or_b64 exec, exec, s[12:13]
	v_mov_b32_e32 v116, 0
	ds_read_b32 v116, v116 offset:8
	s_waitcnt lgkmcnt(0)
	v_mul_f32_e32 v115, v115, v116
	buffer_store_dword v115, off, s[0:3], 0 offset:8
.LBB54_516:
	s_or_b64 exec, exec, s[8:9]
	buffer_load_dword v115, off, s[0:3], 0 offset:4
	v_cmp_lt_u32_e64 s[6:7], 1, v0
	s_waitcnt vmcnt(0)
	ds_write_b32 v112, v115
	s_waitcnt lgkmcnt(0)
	; wave barrier
	s_waitcnt lgkmcnt(0)
	s_and_saveexec_b64 s[8:9], s[6:7]
	s_cbranch_execz .LBB54_526
; %bb.517:
	s_andn2_b64 vcc, exec, s[10:11]
	s_cbranch_vccnz .LBB54_519
; %bb.518:
	buffer_load_dword v115, v113, s[0:3], 0 offen
	ds_read_b32 v116, v112
	s_waitcnt vmcnt(0) lgkmcnt(0)
	v_mul_f32_e32 v115, v115, v116
	s_cbranch_execz .LBB54_520
	s_branch .LBB54_521
.LBB54_519:
                                        ; implicit-def: $vgpr115
.LBB54_520:
	ds_read_b32 v115, v112
.LBB54_521:
	s_and_saveexec_b64 s[12:13], s[4:5]
	s_cbranch_execz .LBB54_525
; %bb.522:
	v_add_u32_e32 v116, -2, v0
	s_movk_i32 s14, 0xe8
	s_mov_b64 s[4:5], 0
.LBB54_523:                             ; =>This Inner Loop Header: Depth=1
	buffer_load_dword v117, v114, s[0:3], 0 offen
	v_mov_b32_e32 v118, s14
	ds_read_b32 v118, v118
	v_add_u32_e32 v116, -1, v116
	s_add_i32 s14, s14, 4
	v_cmp_eq_u32_e32 vcc, 0, v116
	v_add_u32_e32 v114, 4, v114
	s_or_b64 s[4:5], vcc, s[4:5]
	s_waitcnt vmcnt(0) lgkmcnt(0)
	v_fmac_f32_e32 v115, v117, v118
	s_andn2_b64 exec, exec, s[4:5]
	s_cbranch_execnz .LBB54_523
; %bb.524:
	s_or_b64 exec, exec, s[4:5]
.LBB54_525:
	s_or_b64 exec, exec, s[12:13]
	v_mov_b32_e32 v114, 0
	ds_read_b32 v114, v114 offset:4
	s_waitcnt lgkmcnt(0)
	v_mul_f32_e32 v114, v115, v114
	buffer_store_dword v114, off, s[0:3], 0 offset:4
.LBB54_526:
	s_or_b64 exec, exec, s[8:9]
	buffer_load_dword v114, off, s[0:3], 0
	v_cmp_ne_u32_e32 vcc, 0, v0
	s_waitcnt vmcnt(0)
	ds_write_b32 v112, v114
	s_waitcnt lgkmcnt(0)
	; wave barrier
	s_waitcnt lgkmcnt(0)
	s_and_saveexec_b64 s[4:5], vcc
	s_cbranch_execz .LBB54_536
; %bb.527:
	s_andn2_b64 vcc, exec, s[10:11]
	s_cbranch_vccnz .LBB54_529
; %bb.528:
	buffer_load_dword v114, v113, s[0:3], 0 offen
	ds_read_b32 v115, v112
	s_waitcnt vmcnt(0) lgkmcnt(0)
	v_mul_f32_e32 v114, v114, v115
	s_cbranch_execz .LBB54_530
	s_branch .LBB54_531
.LBB54_529:
                                        ; implicit-def: $vgpr114
.LBB54_530:
	ds_read_b32 v114, v112
.LBB54_531:
	s_and_saveexec_b64 s[8:9], s[6:7]
	s_cbranch_execz .LBB54_535
; %bb.532:
	v_mov_b32_e32 v115, 0
	v_or_b32_e32 v115, 4, v115
	v_add_u32_e32 v116, -1, v0
	s_movk_i32 s12, 0xe4
	s_mov_b64 s[6:7], 0
.LBB54_533:                             ; =>This Inner Loop Header: Depth=1
	buffer_load_dword v117, v115, s[0:3], 0 offen
	v_mov_b32_e32 v118, s12
	ds_read_b32 v118, v118
	v_add_u32_e32 v116, -1, v116
	s_add_i32 s12, s12, 4
	v_cmp_eq_u32_e32 vcc, 0, v116
	v_add_u32_e32 v115, 4, v115
	s_or_b64 s[6:7], vcc, s[6:7]
	s_waitcnt vmcnt(0) lgkmcnt(0)
	v_fmac_f32_e32 v114, v117, v118
	s_andn2_b64 exec, exec, s[6:7]
	s_cbranch_execnz .LBB54_533
; %bb.534:
	s_or_b64 exec, exec, s[6:7]
.LBB54_535:
	s_or_b64 exec, exec, s[8:9]
	v_mov_b32_e32 v115, 0
	ds_read_b32 v115, v115
	s_waitcnt lgkmcnt(0)
	v_mul_f32_e32 v114, v114, v115
	buffer_store_dword v114, off, s[0:3], 0
.LBB54_536:
	s_or_b64 exec, exec, s[4:5]
	s_mov_b64 s[4:5], 0
.LBB54_537:
	s_and_b64 vcc, exec, s[4:5]
	s_cbranch_vccz .LBB54_1071
; %bb.538:
	buffer_load_dword v114, off, s[0:3], 0 offset:4
	v_cmp_eq_u32_e64 s[6:7], 0, v0
	s_waitcnt vmcnt(0)
	ds_write_b32 v112, v114
	s_waitcnt lgkmcnt(0)
	; wave barrier
	s_waitcnt lgkmcnt(0)
	s_and_saveexec_b64 s[4:5], s[6:7]
	s_cbranch_execz .LBB54_544
; %bb.539:
	s_and_b64 vcc, exec, s[10:11]
	s_cbranch_vccz .LBB54_541
; %bb.540:
	buffer_load_dword v114, v113, s[0:3], 0 offen
	ds_read_b32 v115, v112
	s_waitcnt vmcnt(0) lgkmcnt(0)
	v_mul_f32_e32 v114, v114, v115
	s_cbranch_execz .LBB54_542
	s_branch .LBB54_543
.LBB54_541:
                                        ; implicit-def: $vgpr114
.LBB54_542:
	ds_read_b32 v114, v112
.LBB54_543:
	v_mov_b32_e32 v115, 0
	ds_read_b32 v115, v115 offset:4
	s_waitcnt lgkmcnt(0)
	v_mul_f32_e32 v114, v114, v115
	buffer_store_dword v114, off, s[0:3], 0 offset:4
.LBB54_544:
	s_or_b64 exec, exec, s[4:5]
	buffer_load_dword v114, off, s[0:3], 0 offset:8
	v_cndmask_b32_e64 v115, 0, 1, s[10:11]
	v_cmp_gt_u32_e32 vcc, 2, v0
	v_cmp_ne_u32_e64 s[4:5], 1, v115
	s_waitcnt vmcnt(0)
	ds_write_b32 v112, v114
	s_waitcnt lgkmcnt(0)
	; wave barrier
	s_waitcnt lgkmcnt(0)
	s_and_saveexec_b64 s[8:9], vcc
	s_cbranch_execz .LBB54_552
; %bb.545:
	s_and_b64 vcc, exec, s[4:5]
	s_cbranch_vccnz .LBB54_547
; %bb.546:
	buffer_load_dword v114, v113, s[0:3], 0 offen
	ds_read_b32 v115, v112
	s_waitcnt vmcnt(0) lgkmcnt(0)
	v_mul_f32_e32 v114, v114, v115
	s_cbranch_execz .LBB54_548
	s_branch .LBB54_549
.LBB54_547:
                                        ; implicit-def: $vgpr114
.LBB54_548:
	ds_read_b32 v114, v112
.LBB54_549:
	s_and_saveexec_b64 s[10:11], s[6:7]
	s_cbranch_execz .LBB54_551
; %bb.550:
	buffer_load_dword v115, v113, s[0:3], 0 offen offset:4
	ds_read_b32 v116, v112 offset:4
	s_waitcnt vmcnt(0) lgkmcnt(0)
	v_fmac_f32_e32 v114, v115, v116
.LBB54_551:
	s_or_b64 exec, exec, s[10:11]
	v_mov_b32_e32 v115, 0
	ds_read_b32 v115, v115 offset:8
	s_waitcnt lgkmcnt(0)
	v_mul_f32_e32 v114, v114, v115
	buffer_store_dword v114, off, s[0:3], 0 offset:8
.LBB54_552:
	s_or_b64 exec, exec, s[8:9]
	buffer_load_dword v114, off, s[0:3], 0 offset:12
	v_cmp_gt_u32_e32 vcc, 3, v0
	s_waitcnt vmcnt(0)
	ds_write_b32 v112, v114
	s_waitcnt lgkmcnt(0)
	; wave barrier
	s_waitcnt lgkmcnt(0)
	s_and_saveexec_b64 s[8:9], vcc
	s_cbranch_execz .LBB54_560
; %bb.553:
	s_and_b64 vcc, exec, s[4:5]
	s_cbranch_vccnz .LBB54_555
; %bb.554:
	buffer_load_dword v114, v113, s[0:3], 0 offen
	ds_read_b32 v115, v112
	s_waitcnt vmcnt(0) lgkmcnt(0)
	v_mul_f32_e32 v114, v114, v115
	s_cbranch_execz .LBB54_556
	s_branch .LBB54_557
.LBB54_555:
                                        ; implicit-def: $vgpr114
.LBB54_556:
	ds_read_b32 v114, v112
.LBB54_557:
	v_cmp_ne_u32_e32 vcc, 2, v0
	s_and_saveexec_b64 s[10:11], vcc
	s_cbranch_execz .LBB54_559
; %bb.558:
	buffer_load_dword v115, v113, s[0:3], 0 offen offset:4
	buffer_load_dword v116, off, s[0:3], 0 offset:8
	v_mov_b32_e32 v117, 0
	ds_read_b32 v118, v112 offset:4
	ds_read_b32 v117, v117 offset:232
	s_waitcnt vmcnt(1) lgkmcnt(1)
	v_fmac_f32_e32 v114, v115, v118
	s_waitcnt vmcnt(0) lgkmcnt(0)
	v_fma_f32 v115, v116, v117, v114
	v_cndmask_b32_e64 v114, v114, v115, s[6:7]
.LBB54_559:
	s_or_b64 exec, exec, s[10:11]
	v_mov_b32_e32 v115, 0
	ds_read_b32 v115, v115 offset:12
	s_waitcnt lgkmcnt(0)
	v_mul_f32_e32 v114, v114, v115
	buffer_store_dword v114, off, s[0:3], 0 offset:12
.LBB54_560:
	s_or_b64 exec, exec, s[8:9]
	buffer_load_dword v114, off, s[0:3], 0 offset:16
	v_cmp_gt_u32_e32 vcc, 4, v0
	s_waitcnt vmcnt(0)
	ds_write_b32 v112, v114
	s_waitcnt lgkmcnt(0)
	; wave barrier
	s_waitcnt lgkmcnt(0)
	s_and_saveexec_b64 s[6:7], vcc
	s_cbranch_execz .LBB54_570
; %bb.561:
	s_and_b64 vcc, exec, s[4:5]
	s_cbranch_vccnz .LBB54_563
; %bb.562:
	buffer_load_dword v114, v113, s[0:3], 0 offen
	ds_read_b32 v115, v112
	s_waitcnt vmcnt(0) lgkmcnt(0)
	v_mul_f32_e32 v114, v114, v115
	s_cbranch_execz .LBB54_564
	s_branch .LBB54_565
.LBB54_563:
                                        ; implicit-def: $vgpr114
.LBB54_564:
	ds_read_b32 v114, v112
.LBB54_565:
	v_cmp_ne_u32_e32 vcc, 3, v0
	s_and_saveexec_b64 s[8:9], vcc
	s_cbranch_execz .LBB54_569
; %bb.566:
	v_mov_b32_e32 v116, 0
	v_add_u32_e32 v115, 0xe4, v1
	v_add3_u32 v116, v1, v116, 4
	s_mov_b64 s[10:11], 0
	v_mov_b32_e32 v117, v0
.LBB54_567:                             ; =>This Inner Loop Header: Depth=1
	buffer_load_dword v118, v116, s[0:3], 0 offen
	ds_read_b32 v119, v115
	v_add_u32_e32 v117, 1, v117
	v_cmp_lt_u32_e32 vcc, 2, v117
	v_add_u32_e32 v115, 4, v115
	v_add_u32_e32 v116, 4, v116
	s_or_b64 s[10:11], vcc, s[10:11]
	s_waitcnt vmcnt(0) lgkmcnt(0)
	v_fmac_f32_e32 v114, v118, v119
	s_andn2_b64 exec, exec, s[10:11]
	s_cbranch_execnz .LBB54_567
; %bb.568:
	s_or_b64 exec, exec, s[10:11]
.LBB54_569:
	s_or_b64 exec, exec, s[8:9]
	v_mov_b32_e32 v115, 0
	ds_read_b32 v115, v115 offset:16
	s_waitcnt lgkmcnt(0)
	v_mul_f32_e32 v114, v114, v115
	buffer_store_dword v114, off, s[0:3], 0 offset:16
.LBB54_570:
	s_or_b64 exec, exec, s[6:7]
	buffer_load_dword v114, off, s[0:3], 0 offset:20
	v_cmp_gt_u32_e32 vcc, 5, v0
	s_waitcnt vmcnt(0)
	ds_write_b32 v112, v114
	s_waitcnt lgkmcnt(0)
	; wave barrier
	s_waitcnt lgkmcnt(0)
	s_and_saveexec_b64 s[6:7], vcc
	s_cbranch_execz .LBB54_580
; %bb.571:
	s_and_b64 vcc, exec, s[4:5]
	s_cbranch_vccnz .LBB54_573
; %bb.572:
	buffer_load_dword v114, v113, s[0:3], 0 offen
	ds_read_b32 v115, v112
	s_waitcnt vmcnt(0) lgkmcnt(0)
	v_mul_f32_e32 v114, v114, v115
	s_cbranch_execz .LBB54_574
	s_branch .LBB54_575
.LBB54_573:
                                        ; implicit-def: $vgpr114
.LBB54_574:
	ds_read_b32 v114, v112
.LBB54_575:
	v_cmp_ne_u32_e32 vcc, 4, v0
	s_and_saveexec_b64 s[8:9], vcc
	s_cbranch_execz .LBB54_579
; %bb.576:
	v_mov_b32_e32 v116, 0
	v_add_u32_e32 v115, 0xe4, v1
	v_add3_u32 v116, v1, v116, 4
	s_mov_b64 s[10:11], 0
	v_mov_b32_e32 v117, v0
.LBB54_577:                             ; =>This Inner Loop Header: Depth=1
	buffer_load_dword v118, v116, s[0:3], 0 offen
	ds_read_b32 v119, v115
	v_add_u32_e32 v117, 1, v117
	v_cmp_lt_u32_e32 vcc, 3, v117
	v_add_u32_e32 v115, 4, v115
	v_add_u32_e32 v116, 4, v116
	s_or_b64 s[10:11], vcc, s[10:11]
	s_waitcnt vmcnt(0) lgkmcnt(0)
	v_fmac_f32_e32 v114, v118, v119
	s_andn2_b64 exec, exec, s[10:11]
	s_cbranch_execnz .LBB54_577
; %bb.578:
	s_or_b64 exec, exec, s[10:11]
.LBB54_579:
	s_or_b64 exec, exec, s[8:9]
	v_mov_b32_e32 v115, 0
	ds_read_b32 v115, v115 offset:20
	s_waitcnt lgkmcnt(0)
	v_mul_f32_e32 v114, v114, v115
	buffer_store_dword v114, off, s[0:3], 0 offset:20
.LBB54_580:
	;; [unrolled: 56-line block ×44, first 2 shown]
	s_or_b64 exec, exec, s[6:7]
	buffer_load_dword v114, off, s[0:3], 0 offset:192
	v_cmp_gt_u32_e32 vcc, 48, v0
	s_waitcnt vmcnt(0)
	ds_write_b32 v112, v114
	s_waitcnt lgkmcnt(0)
	; wave barrier
	s_waitcnt lgkmcnt(0)
	s_and_saveexec_b64 s[6:7], vcc
	s_cbranch_execz .LBB54_1010
; %bb.1001:
	s_and_b64 vcc, exec, s[4:5]
	s_cbranch_vccnz .LBB54_1003
; %bb.1002:
	buffer_load_dword v114, v113, s[0:3], 0 offen
	ds_read_b32 v115, v112
	s_waitcnt vmcnt(0) lgkmcnt(0)
	v_mul_f32_e32 v114, v114, v115
	s_cbranch_execz .LBB54_1004
	s_branch .LBB54_1005
.LBB54_1003:
                                        ; implicit-def: $vgpr114
.LBB54_1004:
	ds_read_b32 v114, v112
.LBB54_1005:
	v_cmp_ne_u32_e32 vcc, 47, v0
	s_and_saveexec_b64 s[8:9], vcc
	s_cbranch_execz .LBB54_1009
; %bb.1006:
	v_mov_b32_e32 v116, 0
	v_add_u32_e32 v115, 0xe4, v1
	v_add3_u32 v116, v1, v116, 4
	s_mov_b64 s[10:11], 0
	v_mov_b32_e32 v117, v0
.LBB54_1007:                            ; =>This Inner Loop Header: Depth=1
	buffer_load_dword v118, v116, s[0:3], 0 offen
	ds_read_b32 v119, v115
	v_add_u32_e32 v117, 1, v117
	v_cmp_lt_u32_e32 vcc, 46, v117
	v_add_u32_e32 v115, 4, v115
	v_add_u32_e32 v116, 4, v116
	s_or_b64 s[10:11], vcc, s[10:11]
	s_waitcnt vmcnt(0) lgkmcnt(0)
	v_fmac_f32_e32 v114, v118, v119
	s_andn2_b64 exec, exec, s[10:11]
	s_cbranch_execnz .LBB54_1007
; %bb.1008:
	s_or_b64 exec, exec, s[10:11]
.LBB54_1009:
	s_or_b64 exec, exec, s[8:9]
	v_mov_b32_e32 v115, 0
	ds_read_b32 v115, v115 offset:192
	s_waitcnt lgkmcnt(0)
	v_mul_f32_e32 v114, v114, v115
	buffer_store_dword v114, off, s[0:3], 0 offset:192
.LBB54_1010:
	s_or_b64 exec, exec, s[6:7]
	buffer_load_dword v114, off, s[0:3], 0 offset:196
	v_cmp_gt_u32_e32 vcc, 49, v0
	s_waitcnt vmcnt(0)
	ds_write_b32 v112, v114
	s_waitcnt lgkmcnt(0)
	; wave barrier
	s_waitcnt lgkmcnt(0)
	s_and_saveexec_b64 s[6:7], vcc
	s_cbranch_execz .LBB54_1020
; %bb.1011:
	s_and_b64 vcc, exec, s[4:5]
	s_cbranch_vccnz .LBB54_1013
; %bb.1012:
	buffer_load_dword v114, v113, s[0:3], 0 offen
	ds_read_b32 v115, v112
	s_waitcnt vmcnt(0) lgkmcnt(0)
	v_mul_f32_e32 v114, v114, v115
	s_cbranch_execz .LBB54_1014
	s_branch .LBB54_1015
.LBB54_1013:
                                        ; implicit-def: $vgpr114
.LBB54_1014:
	ds_read_b32 v114, v112
.LBB54_1015:
	v_cmp_ne_u32_e32 vcc, 48, v0
	s_and_saveexec_b64 s[8:9], vcc
	s_cbranch_execz .LBB54_1019
; %bb.1016:
	v_mov_b32_e32 v116, 0
	v_add_u32_e32 v115, 0xe4, v1
	v_add3_u32 v116, v1, v116, 4
	s_mov_b64 s[10:11], 0
	v_mov_b32_e32 v117, v0
.LBB54_1017:                            ; =>This Inner Loop Header: Depth=1
	buffer_load_dword v118, v116, s[0:3], 0 offen
	ds_read_b32 v119, v115
	v_add_u32_e32 v117, 1, v117
	v_cmp_lt_u32_e32 vcc, 47, v117
	v_add_u32_e32 v115, 4, v115
	v_add_u32_e32 v116, 4, v116
	s_or_b64 s[10:11], vcc, s[10:11]
	s_waitcnt vmcnt(0) lgkmcnt(0)
	v_fmac_f32_e32 v114, v118, v119
	s_andn2_b64 exec, exec, s[10:11]
	s_cbranch_execnz .LBB54_1017
; %bb.1018:
	s_or_b64 exec, exec, s[10:11]
.LBB54_1019:
	s_or_b64 exec, exec, s[8:9]
	v_mov_b32_e32 v115, 0
	ds_read_b32 v115, v115 offset:196
	s_waitcnt lgkmcnt(0)
	v_mul_f32_e32 v114, v114, v115
	buffer_store_dword v114, off, s[0:3], 0 offset:196
.LBB54_1020:
	;; [unrolled: 56-line block ×5, first 2 shown]
	s_or_b64 exec, exec, s[6:7]
	buffer_load_dword v114, off, s[0:3], 0 offset:212
	v_cmp_gt_u32_e64 s[6:7], 53, v0
	s_waitcnt vmcnt(0)
	ds_write_b32 v112, v114
	s_waitcnt lgkmcnt(0)
	; wave barrier
	s_waitcnt lgkmcnt(0)
	s_and_saveexec_b64 s[8:9], s[6:7]
	s_cbranch_execz .LBB54_1060
; %bb.1051:
	s_and_b64 vcc, exec, s[4:5]
	s_cbranch_vccnz .LBB54_1053
; %bb.1052:
	buffer_load_dword v114, v113, s[0:3], 0 offen
	ds_read_b32 v115, v112
	s_waitcnt vmcnt(0) lgkmcnt(0)
	v_mul_f32_e32 v114, v114, v115
	s_cbranch_execz .LBB54_1054
	s_branch .LBB54_1055
.LBB54_1053:
                                        ; implicit-def: $vgpr114
.LBB54_1054:
	ds_read_b32 v114, v112
.LBB54_1055:
	v_cmp_ne_u32_e32 vcc, 52, v0
	s_and_saveexec_b64 s[10:11], vcc
	s_cbranch_execz .LBB54_1059
; %bb.1056:
	v_mov_b32_e32 v116, 0
	v_add_u32_e32 v115, 0xe4, v1
	v_add3_u32 v116, v1, v116, 4
	s_mov_b64 s[12:13], 0
	v_mov_b32_e32 v117, v0
.LBB54_1057:                            ; =>This Inner Loop Header: Depth=1
	buffer_load_dword v118, v116, s[0:3], 0 offen
	ds_read_b32 v119, v115
	v_add_u32_e32 v117, 1, v117
	v_cmp_lt_u32_e32 vcc, 51, v117
	v_add_u32_e32 v115, 4, v115
	v_add_u32_e32 v116, 4, v116
	s_or_b64 s[12:13], vcc, s[12:13]
	s_waitcnt vmcnt(0) lgkmcnt(0)
	v_fmac_f32_e32 v114, v118, v119
	s_andn2_b64 exec, exec, s[12:13]
	s_cbranch_execnz .LBB54_1057
; %bb.1058:
	s_or_b64 exec, exec, s[12:13]
.LBB54_1059:
	s_or_b64 exec, exec, s[10:11]
	v_mov_b32_e32 v115, 0
	ds_read_b32 v115, v115 offset:212
	s_waitcnt lgkmcnt(0)
	v_mul_f32_e32 v114, v114, v115
	buffer_store_dword v114, off, s[0:3], 0 offset:212
.LBB54_1060:
	s_or_b64 exec, exec, s[8:9]
	buffer_load_dword v114, off, s[0:3], 0 offset:216
	v_cmp_ne_u32_e32 vcc, 54, v0
	s_waitcnt vmcnt(0)
	ds_write_b32 v112, v114
	s_waitcnt lgkmcnt(0)
	; wave barrier
	s_waitcnt lgkmcnt(0)
	s_and_saveexec_b64 s[8:9], vcc
	s_cbranch_execz .LBB54_1070
; %bb.1061:
	s_and_b64 vcc, exec, s[4:5]
	s_cbranch_vccnz .LBB54_1063
; %bb.1062:
	buffer_load_dword v113, v113, s[0:3], 0 offen
	ds_read_b32 v114, v112
	s_waitcnt vmcnt(0) lgkmcnt(0)
	v_mul_f32_e32 v113, v113, v114
	s_cbranch_execz .LBB54_1064
	s_branch .LBB54_1065
.LBB54_1063:
                                        ; implicit-def: $vgpr113
.LBB54_1064:
	ds_read_b32 v113, v112
.LBB54_1065:
	s_and_saveexec_b64 s[4:5], s[6:7]
	s_cbranch_execz .LBB54_1069
; %bb.1066:
	v_mov_b32_e32 v114, 0
	v_add_u32_e32 v112, 0xe4, v1
	v_add3_u32 v1, v1, v114, 4
	s_mov_b64 s[6:7], 0
.LBB54_1067:                            ; =>This Inner Loop Header: Depth=1
	buffer_load_dword v114, v1, s[0:3], 0 offen
	ds_read_b32 v115, v112
	v_add_u32_e32 v0, 1, v0
	v_cmp_lt_u32_e32 vcc, 52, v0
	v_add_u32_e32 v112, 4, v112
	v_add_u32_e32 v1, 4, v1
	s_or_b64 s[6:7], vcc, s[6:7]
	s_waitcnt vmcnt(0) lgkmcnt(0)
	v_fmac_f32_e32 v113, v114, v115
	s_andn2_b64 exec, exec, s[6:7]
	s_cbranch_execnz .LBB54_1067
; %bb.1068:
	s_or_b64 exec, exec, s[6:7]
.LBB54_1069:
	s_or_b64 exec, exec, s[4:5]
	v_mov_b32_e32 v0, 0
	ds_read_b32 v0, v0 offset:216
	s_waitcnt lgkmcnt(0)
	v_mul_f32_e32 v0, v113, v0
	buffer_store_dword v0, off, s[0:3], 0 offset:216
.LBB54_1070:
	s_or_b64 exec, exec, s[8:9]
.LBB54_1071:
	buffer_load_dword v0, off, s[0:3], 0
	buffer_load_dword v1, off, s[0:3], 0 offset:4
	buffer_load_dword v112, off, s[0:3], 0 offset:8
	;; [unrolled: 1-line block ×47, first 2 shown]
	s_waitcnt vmcnt(47)
	global_store_dword v[110:111], v0, off
	buffer_load_dword v0, off, s[0:3], 0 offset:192
	s_nop 0
	buffer_load_dword v110, off, s[0:3], 0 offset:196
	buffer_load_dword v111, off, s[0:3], 0 offset:200
	buffer_load_dword v158, off, s[0:3], 0 offset:204
	buffer_load_dword v159, off, s[0:3], 0 offset:208
	buffer_load_dword v160, off, s[0:3], 0 offset:212
	buffer_load_dword v161, off, s[0:3], 0 offset:216
	s_waitcnt vmcnt(54)
	global_store_dword v[108:109], v1, off
	s_waitcnt vmcnt(54)
	global_store_dword v[2:3], v112, off
	;; [unrolled: 2-line block ×54, first 2 shown]
.LBB54_1072:
	s_endpgm
	.section	.rodata,"a",@progbits
	.p2align	6, 0x0
	.amdhsa_kernel _ZN9rocsolver6v33100L18trti2_kernel_smallILi55EfPfEEv13rocblas_fill_17rocblas_diagonal_T1_iil
		.amdhsa_group_segment_fixed_size 444
		.amdhsa_private_segment_fixed_size 224
		.amdhsa_kernarg_size 32
		.amdhsa_user_sgpr_count 8
		.amdhsa_user_sgpr_private_segment_buffer 1
		.amdhsa_user_sgpr_dispatch_ptr 0
		.amdhsa_user_sgpr_queue_ptr 0
		.amdhsa_user_sgpr_kernarg_segment_ptr 1
		.amdhsa_user_sgpr_dispatch_id 0
		.amdhsa_user_sgpr_flat_scratch_init 1
		.amdhsa_user_sgpr_kernarg_preload_length 0
		.amdhsa_user_sgpr_kernarg_preload_offset 0
		.amdhsa_user_sgpr_private_segment_size 0
		.amdhsa_uses_dynamic_stack 0
		.amdhsa_system_sgpr_private_segment_wavefront_offset 1
		.amdhsa_system_sgpr_workgroup_id_x 1
		.amdhsa_system_sgpr_workgroup_id_y 0
		.amdhsa_system_sgpr_workgroup_id_z 0
		.amdhsa_system_sgpr_workgroup_info 0
		.amdhsa_system_vgpr_workitem_id 0
		.amdhsa_next_free_vgpr 164
		.amdhsa_next_free_sgpr 20
		.amdhsa_accum_offset 164
		.amdhsa_reserve_vcc 1
		.amdhsa_reserve_flat_scratch 0
		.amdhsa_float_round_mode_32 0
		.amdhsa_float_round_mode_16_64 0
		.amdhsa_float_denorm_mode_32 3
		.amdhsa_float_denorm_mode_16_64 3
		.amdhsa_dx10_clamp 1
		.amdhsa_ieee_mode 1
		.amdhsa_fp16_overflow 0
		.amdhsa_tg_split 0
		.amdhsa_exception_fp_ieee_invalid_op 0
		.amdhsa_exception_fp_denorm_src 0
		.amdhsa_exception_fp_ieee_div_zero 0
		.amdhsa_exception_fp_ieee_overflow 0
		.amdhsa_exception_fp_ieee_underflow 0
		.amdhsa_exception_fp_ieee_inexact 0
		.amdhsa_exception_int_div_zero 0
	.end_amdhsa_kernel
	.section	.text._ZN9rocsolver6v33100L18trti2_kernel_smallILi55EfPfEEv13rocblas_fill_17rocblas_diagonal_T1_iil,"axG",@progbits,_ZN9rocsolver6v33100L18trti2_kernel_smallILi55EfPfEEv13rocblas_fill_17rocblas_diagonal_T1_iil,comdat
.Lfunc_end54:
	.size	_ZN9rocsolver6v33100L18trti2_kernel_smallILi55EfPfEEv13rocblas_fill_17rocblas_diagonal_T1_iil, .Lfunc_end54-_ZN9rocsolver6v33100L18trti2_kernel_smallILi55EfPfEEv13rocblas_fill_17rocblas_diagonal_T1_iil
                                        ; -- End function
	.section	.AMDGPU.csdata,"",@progbits
; Kernel info:
; codeLenInByte = 26944
; NumSgprs: 24
; NumVgprs: 164
; NumAgprs: 0
; TotalNumVgprs: 164
; ScratchSize: 224
; MemoryBound: 0
; FloatMode: 240
; IeeeMode: 1
; LDSByteSize: 444 bytes/workgroup (compile time only)
; SGPRBlocks: 2
; VGPRBlocks: 20
; NumSGPRsForWavesPerEU: 24
; NumVGPRsForWavesPerEU: 164
; AccumOffset: 164
; Occupancy: 3
; WaveLimiterHint : 0
; COMPUTE_PGM_RSRC2:SCRATCH_EN: 1
; COMPUTE_PGM_RSRC2:USER_SGPR: 8
; COMPUTE_PGM_RSRC2:TRAP_HANDLER: 0
; COMPUTE_PGM_RSRC2:TGID_X_EN: 1
; COMPUTE_PGM_RSRC2:TGID_Y_EN: 0
; COMPUTE_PGM_RSRC2:TGID_Z_EN: 0
; COMPUTE_PGM_RSRC2:TIDIG_COMP_CNT: 0
; COMPUTE_PGM_RSRC3_GFX90A:ACCUM_OFFSET: 40
; COMPUTE_PGM_RSRC3_GFX90A:TG_SPLIT: 0
	.section	.text._ZN9rocsolver6v33100L18trti2_kernel_smallILi56EfPfEEv13rocblas_fill_17rocblas_diagonal_T1_iil,"axG",@progbits,_ZN9rocsolver6v33100L18trti2_kernel_smallILi56EfPfEEv13rocblas_fill_17rocblas_diagonal_T1_iil,comdat
	.globl	_ZN9rocsolver6v33100L18trti2_kernel_smallILi56EfPfEEv13rocblas_fill_17rocblas_diagonal_T1_iil ; -- Begin function _ZN9rocsolver6v33100L18trti2_kernel_smallILi56EfPfEEv13rocblas_fill_17rocblas_diagonal_T1_iil
	.p2align	8
	.type	_ZN9rocsolver6v33100L18trti2_kernel_smallILi56EfPfEEv13rocblas_fill_17rocblas_diagonal_T1_iil,@function
_ZN9rocsolver6v33100L18trti2_kernel_smallILi56EfPfEEv13rocblas_fill_17rocblas_diagonal_T1_iil: ; @_ZN9rocsolver6v33100L18trti2_kernel_smallILi56EfPfEEv13rocblas_fill_17rocblas_diagonal_T1_iil
; %bb.0:
	s_add_u32 s0, s0, s9
	s_addc_u32 s1, s1, 0
	v_cmp_gt_u32_e32 vcc, 56, v0
	s_and_saveexec_b64 s[6:7], vcc
	s_cbranch_execz .LBB55_1092
; %bb.1:
	s_load_dwordx8 s[12:19], s[4:5], 0x0
	s_ashr_i32 s6, s8, 31
	s_waitcnt lgkmcnt(0)
	s_mul_i32 s7, s8, s19
	s_mul_hi_u32 s9, s8, s18
	s_add_i32 s7, s9, s7
	s_mul_i32 s6, s6, s18
	s_add_i32 s7, s7, s6
	s_mul_i32 s6, s8, s18
	s_ashr_i32 s5, s16, 31
	s_lshl_b64 s[6:7], s[6:7], 2
	s_mov_b32 s4, s16
	s_add_u32 s6, s14, s6
	s_addc_u32 s7, s15, s7
	s_lshl_b64 s[4:5], s[4:5], 2
	s_add_u32 s4, s6, s4
	s_addc_u32 s5, s7, s5
	s_add_i32 s6, s17, s17
	v_add_u32_e32 v4, s6, v0
	v_ashrrev_i32_e32 v5, 31, v4
	v_lshlrev_b64 v[2:3], 2, v[4:5]
	v_add_u32_e32 v6, s17, v4
	v_mov_b32_e32 v1, s5
	v_add_co_u32_e32 v2, vcc, s4, v2
	v_ashrrev_i32_e32 v7, 31, v6
	v_addc_co_u32_e32 v3, vcc, v1, v3, vcc
	v_lshlrev_b64 v[4:5], 2, v[6:7]
	v_add_u32_e32 v8, s17, v6
	v_add_co_u32_e32 v4, vcc, s4, v4
	v_ashrrev_i32_e32 v9, 31, v8
	v_addc_co_u32_e32 v5, vcc, v1, v5, vcc
	v_lshlrev_b64 v[6:7], 2, v[8:9]
	v_add_u32_e32 v10, s17, v8
	;; [unrolled: 5-line block ×43, first 2 shown]
	v_add_co_u32_e32 v88, vcc, s4, v88
	v_ashrrev_i32_e32 v93, 31, v92
	v_addc_co_u32_e32 v89, vcc, v1, v89, vcc
	v_lshlrev_b64 v[90:91], 2, v[92:93]
	v_add_co_u32_e32 v90, vcc, s4, v90
	v_addc_co_u32_e32 v91, vcc, v1, v91, vcc
	v_lshlrev_b32_e32 v1, 2, v0
	v_add_u32_e32 v94, s17, v92
	v_mov_b32_e32 v92, s5
	v_add_co_u32_e32 v108, vcc, s4, v1
	s_ashr_i32 s7, s17, 31
	s_mov_b32 s6, s17
	v_addc_co_u32_e32 v109, vcc, 0, v92, vcc
	s_lshl_b64 s[6:7], s[6:7], 2
	v_mov_b32_e32 v92, s7
	v_add_co_u32_e32 v112, vcc, s6, v108
	v_addc_co_u32_e32 v113, vcc, v109, v92, vcc
	global_load_dword v114, v1, s[4:5]
	global_load_dword v115, v[112:113], off
	global_load_dword v116, v[4:5], off
	;; [unrolled: 1-line block ×8, first 2 shown]
	v_ashrrev_i32_e32 v95, 31, v94
	v_lshlrev_b64 v[92:93], 2, v[94:95]
	v_mov_b32_e32 v96, s5
	v_add_co_u32_e32 v92, vcc, s4, v92
	v_addc_co_u32_e32 v93, vcc, v96, v93, vcc
	v_add_u32_e32 v96, s17, v94
	v_ashrrev_i32_e32 v97, 31, v96
	v_lshlrev_b64 v[94:95], 2, v[96:97]
	v_mov_b32_e32 v98, s5
	v_add_co_u32_e32 v94, vcc, s4, v94
	v_addc_co_u32_e32 v95, vcc, v98, v95, vcc
	v_add_u32_e32 v98, s17, v96
	;; [unrolled: 6-line block ×7, first 2 shown]
	v_ashrrev_i32_e32 v111, 31, v110
	v_lshlrev_b64 v[106:107], 2, v[110:111]
	v_add_u32_e32 v110, s17, v110
	v_mov_b32_e32 v123, s5
	v_add_co_u32_e32 v106, vcc, s4, v106
	v_ashrrev_i32_e32 v111, 31, v110
	v_addc_co_u32_e32 v107, vcc, v123, v107, vcc
	v_lshlrev_b64 v[110:111], 2, v[110:111]
	v_add_co_u32_e32 v110, vcc, s4, v110
	v_addc_co_u32_e32 v111, vcc, v123, v111, vcc
	global_load_dword v123, v[110:111], off
	s_waitcnt vmcnt(9)
	buffer_store_dword v114, off, s[0:3], 0
	s_waitcnt vmcnt(9)
	buffer_store_dword v115, off, s[0:3], 0 offset:4
	s_waitcnt vmcnt(9)
	buffer_store_dword v116, off, s[0:3], 0 offset:12
	global_load_dword v114, v[16:17], off
	global_load_dword v115, v[22:23], off
	s_nop 0
	global_load_dword v116, v[24:25], off
	global_load_dword v124, v[26:27], off
	;; [unrolled: 1-line block ×38, first 2 shown]
	s_waitcnt vmcnt(44)
	buffer_store_dword v122, off, s[0:3], 0 offset:8
	buffer_store_dword v117, off, s[0:3], 0 offset:16
	;; [unrolled: 1-line block ×3, first 2 shown]
	global_load_dword v117, v[96:97], off
	s_nop 0
	global_load_dword v118, v[106:107], off
	global_load_dword v122, v[102:103], off
	;; [unrolled: 1-line block ×5, first 2 shown]
	s_cmpk_lg_i32 s13, 0x84
	buffer_store_dword v119, off, s[0:3], 0 offset:24
	buffer_store_dword v120, off, s[0:3], 0 offset:28
	buffer_store_dword v121, off, s[0:3], 0 offset:32
	s_waitcnt vmcnt(51)
	buffer_store_dword v114, off, s[0:3], 0 offset:36
	s_waitcnt vmcnt(46)
	buffer_store_dword v127, off, s[0:3], 0 offset:44
	;; [unrolled: 2-line block ×3, first 2 shown]
	buffer_store_dword v115, off, s[0:3], 0 offset:48
	buffer_store_dword v116, off, s[0:3], 0 offset:52
	;; [unrolled: 1-line block ×5, first 2 shown]
	s_waitcnt vmcnt(51)
	buffer_store_dword v129, off, s[0:3], 0 offset:68
	s_waitcnt vmcnt(51)
	buffer_store_dword v130, off, s[0:3], 0 offset:72
	s_waitcnt vmcnt(51)
	buffer_store_dword v131, off, s[0:3], 0 offset:76
	s_waitcnt vmcnt(48)
	buffer_store_dword v135, off, s[0:3], 0 offset:84
	s_waitcnt vmcnt(48)
	buffer_store_dword v136, off, s[0:3], 0 offset:80
	buffer_store_dword v133, off, s[0:3], 0 offset:92
	buffer_store_dword v134, off, s[0:3], 0 offset:88
	s_waitcnt vmcnt(50)
	buffer_store_dword v137, off, s[0:3], 0 offset:100
	buffer_store_dword v132, off, s[0:3], 0 offset:96
	s_waitcnt vmcnt(46)
	buffer_store_dword v143, off, s[0:3], 0 offset:108
	s_waitcnt vmcnt(46)
	buffer_store_dword v144, off, s[0:3], 0 offset:104
	buffer_store_dword v141, off, s[0:3], 0 offset:116
	buffer_store_dword v142, off, s[0:3], 0 offset:112
	buffer_store_dword v139, off, s[0:3], 0 offset:124
	buffer_store_dword v140, off, s[0:3], 0 offset:120
	s_waitcnt vmcnt(50)
	buffer_store_dword v145, off, s[0:3], 0 offset:132
	buffer_store_dword v138, off, s[0:3], 0 offset:128
	s_waitcnt vmcnt(46)
	buffer_store_dword v151, off, s[0:3], 0 offset:140
	s_waitcnt vmcnt(46)
	buffer_store_dword v152, off, s[0:3], 0 offset:136
	buffer_store_dword v149, off, s[0:3], 0 offset:148
	buffer_store_dword v150, off, s[0:3], 0 offset:144
	;; [unrolled: 11-line block ×3, first 2 shown]
	buffer_store_dword v155, off, s[0:3], 0 offset:188
	buffer_store_dword v156, off, s[0:3], 0 offset:184
	s_waitcnt vmcnt(47)
	buffer_store_dword v117, off, s[0:3], 0 offset:196
	buffer_store_dword v154, off, s[0:3], 0 offset:192
	s_waitcnt vmcnt(46)
	buffer_store_dword v161, off, s[0:3], 0 offset:204
	s_waitcnt vmcnt(46)
	buffer_store_dword v162, off, s[0:3], 0 offset:200
	s_waitcnt vmcnt(46)
	buffer_store_dword v163, off, s[0:3], 0 offset:212
	buffer_store_dword v122, off, s[0:3], 0 offset:208
	;; [unrolled: 1-line block ×4, first 2 shown]
	s_cselect_b64 s[8:9], -1, 0
	s_cmpk_eq_i32 s13, 0x84
	v_mov_b32_e32 v141, 0
	v_mov_b32_e32 v114, -1.0
	s_cbranch_scc1 .LBB55_3
; %bb.2:
	v_lshl_add_u32 v114, v0, 2, v141
	buffer_load_dword v115, v114, s[0:3], 0 offen
	s_waitcnt vmcnt(0)
	v_div_scale_f32 v116, s[4:5], v115, v115, 1.0
	v_rcp_f32_e32 v117, v116
	v_div_scale_f32 v118, vcc, 1.0, v115, 1.0
	v_fma_f32 v119, -v116, v117, 1.0
	v_fmac_f32_e32 v117, v119, v117
	v_mul_f32_e32 v119, v118, v117
	v_fma_f32 v120, -v116, v119, v118
	v_fmac_f32_e32 v119, v120, v117
	v_fma_f32 v116, -v116, v119, v118
	v_div_fmas_f32 v116, v116, v117, v119
	v_div_fixup_f32 v115, v116, v115, 1.0
	buffer_store_dword v115, v114, s[0:3], 0 offen
	v_xor_b32_e32 v114, 0x80000000, v115
.LBB55_3:
	ds_write_b32 v1, v114
	s_cmpk_eq_i32 s12, 0x79
	v_add_u32_e32 v114, 0xe0, v1
	v_add_u32_e32 v115, 0, v1
	s_mov_b64 s[4:5], -1
	s_cbranch_scc1 .LBB55_547
; %bb.4:
	buffer_load_dword v116, off, s[0:3], 0 offset:216
	v_cmp_eq_u32_e64 s[4:5], 55, v0
	s_waitcnt vmcnt(0)
	ds_write_b32 v114, v116
	s_waitcnt lgkmcnt(0)
	; wave barrier
	s_waitcnt lgkmcnt(0)
	s_and_saveexec_b64 s[6:7], s[4:5]
	s_cbranch_execz .LBB55_10
; %bb.5:
	s_and_b64 vcc, exec, s[8:9]
	s_cbranch_vccz .LBB55_7
; %bb.6:
	buffer_load_dword v116, v115, s[0:3], 0 offen
	ds_read_b32 v117, v114
	s_waitcnt vmcnt(0) lgkmcnt(0)
	v_mul_f32_e32 v116, v116, v117
	s_cbranch_execz .LBB55_8
	s_branch .LBB55_9
.LBB55_7:
                                        ; implicit-def: $vgpr116
.LBB55_8:
	ds_read_b32 v116, v114
.LBB55_9:
	v_mov_b32_e32 v117, 0
	ds_read_b32 v117, v117 offset:216
	s_waitcnt lgkmcnt(0)
	v_mul_f32_e32 v116, v116, v117
	buffer_store_dword v116, off, s[0:3], 0 offset:216
.LBB55_10:
	s_or_b64 exec, exec, s[6:7]
	buffer_load_dword v142, off, s[0:3], 0 offset:212
	v_or_b32_e32 v116, 8, v141
	v_add_u32_e32 v117, 16, v141
	v_add_u32_e32 v118, 24, v141
	;; [unrolled: 1-line block ×25, first 2 shown]
	v_cmp_lt_u32_e64 s[6:7], 53, v0
	s_waitcnt vmcnt(0)
	ds_write_b32 v114, v142
	s_waitcnt lgkmcnt(0)
	; wave barrier
	s_waitcnt lgkmcnt(0)
	s_and_saveexec_b64 s[10:11], s[6:7]
	s_cbranch_execz .LBB55_16
; %bb.11:
	s_andn2_b64 vcc, exec, s[8:9]
	s_cbranch_vccnz .LBB55_13
; %bb.12:
	buffer_load_dword v142, v115, s[0:3], 0 offen
	ds_read_b32 v143, v114
	s_waitcnt vmcnt(0) lgkmcnt(0)
	v_mul_f32_e32 v142, v142, v143
	s_cbranch_execz .LBB55_14
	s_branch .LBB55_15
.LBB55_13:
                                        ; implicit-def: $vgpr142
.LBB55_14:
	ds_read_b32 v142, v114
.LBB55_15:
	buffer_load_dword v143, off, s[0:3], 0 offset:216
	v_mov_b32_e32 v144, 0
	ds_read2_b32 v[144:145], v144 offset0:53 offset1:110
	s_waitcnt vmcnt(0) lgkmcnt(0)
	v_fma_f32 v143, v143, v145, v142
	v_cndmask_b32_e64 v142, v142, v143, s[4:5]
	v_mul_f32_e32 v142, v142, v144
	buffer_store_dword v142, off, s[0:3], 0 offset:212
.LBB55_16:
	s_or_b64 exec, exec, s[10:11]
	buffer_load_dword v142, off, s[0:3], 0 offset:208
	v_cmp_lt_u32_e64 s[4:5], 52, v0
	s_waitcnt vmcnt(0)
	ds_write_b32 v114, v142
	s_waitcnt lgkmcnt(0)
	; wave barrier
	s_waitcnt lgkmcnt(0)
	s_and_saveexec_b64 s[10:11], s[4:5]
	s_cbranch_execz .LBB55_26
; %bb.17:
	s_andn2_b64 vcc, exec, s[8:9]
	s_cbranch_vccnz .LBB55_19
; %bb.18:
	buffer_load_dword v142, v115, s[0:3], 0 offen
	ds_read_b32 v143, v114
	s_waitcnt vmcnt(0) lgkmcnt(0)
	v_mul_f32_e32 v142, v142, v143
	s_cbranch_execz .LBB55_20
	s_branch .LBB55_21
.LBB55_19:
                                        ; implicit-def: $vgpr142
.LBB55_20:
	ds_read_b32 v142, v114
.LBB55_21:
	s_and_saveexec_b64 s[12:13], s[6:7]
	s_cbranch_execz .LBB55_25
; %bb.22:
	v_mov_b32_e32 v143, 0
	v_add_u32_e32 v143, 0xd4, v143
	v_subrev_u32_e32 v144, 53, v0
	s_movk_i32 s14, 0x1b4
	s_mov_b64 s[6:7], 0
.LBB55_23:                              ; =>This Inner Loop Header: Depth=1
	buffer_load_dword v145, v143, s[0:3], 0 offen
	v_mov_b32_e32 v146, s14
	ds_read_b32 v146, v146
	v_add_u32_e32 v144, -1, v144
	s_add_i32 s14, s14, 4
	v_cmp_eq_u32_e32 vcc, 0, v144
	v_add_u32_e32 v143, 4, v143
	s_or_b64 s[6:7], vcc, s[6:7]
	s_waitcnt vmcnt(0) lgkmcnt(0)
	v_fmac_f32_e32 v142, v145, v146
	s_andn2_b64 exec, exec, s[6:7]
	s_cbranch_execnz .LBB55_23
; %bb.24:
	s_or_b64 exec, exec, s[6:7]
.LBB55_25:
	s_or_b64 exec, exec, s[12:13]
	v_mov_b32_e32 v143, 0
	ds_read_b32 v143, v143 offset:208
	s_waitcnt lgkmcnt(0)
	v_mul_f32_e32 v142, v142, v143
	buffer_store_dword v142, off, s[0:3], 0 offset:208
.LBB55_26:
	s_or_b64 exec, exec, s[10:11]
	buffer_load_dword v142, off, s[0:3], 0 offset:204
	v_cmp_lt_u32_e64 s[6:7], 51, v0
	s_waitcnt vmcnt(0)
	ds_write_b32 v114, v142
	s_waitcnt lgkmcnt(0)
	; wave barrier
	s_waitcnt lgkmcnt(0)
	s_and_saveexec_b64 s[10:11], s[6:7]
	s_cbranch_execz .LBB55_36
; %bb.27:
	s_andn2_b64 vcc, exec, s[8:9]
	s_cbranch_vccnz .LBB55_29
; %bb.28:
	buffer_load_dword v142, v115, s[0:3], 0 offen
	ds_read_b32 v143, v114
	s_waitcnt vmcnt(0) lgkmcnt(0)
	v_mul_f32_e32 v142, v142, v143
	s_cbranch_execz .LBB55_30
	s_branch .LBB55_31
.LBB55_29:
                                        ; implicit-def: $vgpr142
.LBB55_30:
	ds_read_b32 v142, v114
.LBB55_31:
	s_and_saveexec_b64 s[12:13], s[4:5]
	s_cbranch_execz .LBB55_35
; %bb.32:
	v_subrev_u32_e32 v143, 52, v0
	s_movk_i32 s14, 0x1b0
	s_mov_b64 s[4:5], 0
.LBB55_33:                              ; =>This Inner Loop Header: Depth=1
	buffer_load_dword v144, v141, s[0:3], 0 offen
	v_mov_b32_e32 v145, s14
	ds_read_b32 v145, v145
	v_add_u32_e32 v143, -1, v143
	s_add_i32 s14, s14, 4
	v_cmp_eq_u32_e32 vcc, 0, v143
	v_add_u32_e32 v141, 4, v141
	s_or_b64 s[4:5], vcc, s[4:5]
	s_waitcnt vmcnt(0) lgkmcnt(0)
	v_fmac_f32_e32 v142, v144, v145
	s_andn2_b64 exec, exec, s[4:5]
	s_cbranch_execnz .LBB55_33
; %bb.34:
	s_or_b64 exec, exec, s[4:5]
.LBB55_35:
	s_or_b64 exec, exec, s[12:13]
	v_mov_b32_e32 v141, 0
	ds_read_b32 v141, v141 offset:204
	s_waitcnt lgkmcnt(0)
	v_mul_f32_e32 v141, v142, v141
	buffer_store_dword v141, off, s[0:3], 0 offset:204
.LBB55_36:
	s_or_b64 exec, exec, s[10:11]
	buffer_load_dword v141, off, s[0:3], 0 offset:200
	v_cmp_lt_u32_e64 s[4:5], 50, v0
	s_waitcnt vmcnt(0)
	ds_write_b32 v114, v141
	s_waitcnt lgkmcnt(0)
	; wave barrier
	s_waitcnt lgkmcnt(0)
	s_and_saveexec_b64 s[10:11], s[4:5]
	s_cbranch_execz .LBB55_46
; %bb.37:
	s_andn2_b64 vcc, exec, s[8:9]
	s_cbranch_vccnz .LBB55_39
; %bb.38:
	buffer_load_dword v141, v115, s[0:3], 0 offen
	ds_read_b32 v142, v114
	s_waitcnt vmcnt(0) lgkmcnt(0)
	v_mul_f32_e32 v141, v141, v142
	s_cbranch_execz .LBB55_40
	s_branch .LBB55_41
.LBB55_39:
                                        ; implicit-def: $vgpr141
.LBB55_40:
	ds_read_b32 v141, v114
.LBB55_41:
	s_and_saveexec_b64 s[12:13], s[6:7]
	s_cbranch_execz .LBB55_45
; %bb.42:
	v_mov_b32_e32 v142, 0
	v_add_u32_e32 v142, 0xcc, v142
	v_subrev_u32_e32 v143, 51, v0
	s_movk_i32 s14, 0x1ac
	s_mov_b64 s[6:7], 0
.LBB55_43:                              ; =>This Inner Loop Header: Depth=1
	buffer_load_dword v144, v142, s[0:3], 0 offen
	v_mov_b32_e32 v145, s14
	ds_read_b32 v145, v145
	v_add_u32_e32 v143, -1, v143
	s_add_i32 s14, s14, 4
	v_cmp_eq_u32_e32 vcc, 0, v143
	v_add_u32_e32 v142, 4, v142
	s_or_b64 s[6:7], vcc, s[6:7]
	s_waitcnt vmcnt(0) lgkmcnt(0)
	v_fmac_f32_e32 v141, v144, v145
	s_andn2_b64 exec, exec, s[6:7]
	s_cbranch_execnz .LBB55_43
; %bb.44:
	s_or_b64 exec, exec, s[6:7]
.LBB55_45:
	s_or_b64 exec, exec, s[12:13]
	v_mov_b32_e32 v142, 0
	ds_read_b32 v142, v142 offset:200
	s_waitcnt lgkmcnt(0)
	v_mul_f32_e32 v141, v141, v142
	buffer_store_dword v141, off, s[0:3], 0 offset:200
.LBB55_46:
	s_or_b64 exec, exec, s[10:11]
	buffer_load_dword v141, off, s[0:3], 0 offset:196
	v_cmp_lt_u32_e64 s[6:7], 49, v0
	s_waitcnt vmcnt(0)
	ds_write_b32 v114, v141
	s_waitcnt lgkmcnt(0)
	; wave barrier
	s_waitcnt lgkmcnt(0)
	s_and_saveexec_b64 s[10:11], s[6:7]
	s_cbranch_execz .LBB55_56
; %bb.47:
	s_andn2_b64 vcc, exec, s[8:9]
	s_cbranch_vccnz .LBB55_49
; %bb.48:
	buffer_load_dword v141, v115, s[0:3], 0 offen
	ds_read_b32 v142, v114
	s_waitcnt vmcnt(0) lgkmcnt(0)
	v_mul_f32_e32 v141, v141, v142
	s_cbranch_execz .LBB55_50
	s_branch .LBB55_51
.LBB55_49:
                                        ; implicit-def: $vgpr141
.LBB55_50:
	ds_read_b32 v141, v114
.LBB55_51:
	s_and_saveexec_b64 s[12:13], s[4:5]
	s_cbranch_execz .LBB55_55
; %bb.52:
	v_subrev_u32_e32 v142, 50, v0
	s_movk_i32 s14, 0x1a8
	s_mov_b64 s[4:5], 0
.LBB55_53:                              ; =>This Inner Loop Header: Depth=1
	buffer_load_dword v143, v140, s[0:3], 0 offen
	v_mov_b32_e32 v144, s14
	ds_read_b32 v144, v144
	v_add_u32_e32 v142, -1, v142
	s_add_i32 s14, s14, 4
	v_cmp_eq_u32_e32 vcc, 0, v142
	v_add_u32_e32 v140, 4, v140
	s_or_b64 s[4:5], vcc, s[4:5]
	s_waitcnt vmcnt(0) lgkmcnt(0)
	v_fmac_f32_e32 v141, v143, v144
	s_andn2_b64 exec, exec, s[4:5]
	s_cbranch_execnz .LBB55_53
; %bb.54:
	s_or_b64 exec, exec, s[4:5]
.LBB55_55:
	s_or_b64 exec, exec, s[12:13]
	v_mov_b32_e32 v140, 0
	ds_read_b32 v140, v140 offset:196
	s_waitcnt lgkmcnt(0)
	v_mul_f32_e32 v140, v141, v140
	buffer_store_dword v140, off, s[0:3], 0 offset:196
.LBB55_56:
	s_or_b64 exec, exec, s[10:11]
	buffer_load_dword v140, off, s[0:3], 0 offset:192
	v_cmp_lt_u32_e64 s[4:5], 48, v0
	s_waitcnt vmcnt(0)
	ds_write_b32 v114, v140
	s_waitcnt lgkmcnt(0)
	; wave barrier
	s_waitcnt lgkmcnt(0)
	s_and_saveexec_b64 s[10:11], s[4:5]
	s_cbranch_execz .LBB55_66
; %bb.57:
	s_andn2_b64 vcc, exec, s[8:9]
	s_cbranch_vccnz .LBB55_59
; %bb.58:
	buffer_load_dword v140, v115, s[0:3], 0 offen
	ds_read_b32 v141, v114
	s_waitcnt vmcnt(0) lgkmcnt(0)
	v_mul_f32_e32 v140, v140, v141
	s_cbranch_execz .LBB55_60
	s_branch .LBB55_61
.LBB55_59:
                                        ; implicit-def: $vgpr140
.LBB55_60:
	ds_read_b32 v140, v114
.LBB55_61:
	s_and_saveexec_b64 s[12:13], s[6:7]
	s_cbranch_execz .LBB55_65
; %bb.62:
	v_mov_b32_e32 v141, 0
	v_add_u32_e32 v141, 0xc4, v141
	v_subrev_u32_e32 v142, 49, v0
	s_movk_i32 s14, 0x1a4
	s_mov_b64 s[6:7], 0
.LBB55_63:                              ; =>This Inner Loop Header: Depth=1
	buffer_load_dword v143, v141, s[0:3], 0 offen
	v_mov_b32_e32 v144, s14
	ds_read_b32 v144, v144
	v_add_u32_e32 v142, -1, v142
	s_add_i32 s14, s14, 4
	v_cmp_eq_u32_e32 vcc, 0, v142
	v_add_u32_e32 v141, 4, v141
	s_or_b64 s[6:7], vcc, s[6:7]
	s_waitcnt vmcnt(0) lgkmcnt(0)
	v_fmac_f32_e32 v140, v143, v144
	s_andn2_b64 exec, exec, s[6:7]
	s_cbranch_execnz .LBB55_63
; %bb.64:
	s_or_b64 exec, exec, s[6:7]
.LBB55_65:
	s_or_b64 exec, exec, s[12:13]
	v_mov_b32_e32 v141, 0
	ds_read_b32 v141, v141 offset:192
	s_waitcnt lgkmcnt(0)
	v_mul_f32_e32 v140, v140, v141
	buffer_store_dword v140, off, s[0:3], 0 offset:192
.LBB55_66:
	s_or_b64 exec, exec, s[10:11]
	buffer_load_dword v140, off, s[0:3], 0 offset:188
	v_cmp_lt_u32_e64 s[6:7], 47, v0
	s_waitcnt vmcnt(0)
	ds_write_b32 v114, v140
	s_waitcnt lgkmcnt(0)
	; wave barrier
	s_waitcnt lgkmcnt(0)
	s_and_saveexec_b64 s[10:11], s[6:7]
	s_cbranch_execz .LBB55_76
; %bb.67:
	s_andn2_b64 vcc, exec, s[8:9]
	s_cbranch_vccnz .LBB55_69
; %bb.68:
	buffer_load_dword v140, v115, s[0:3], 0 offen
	ds_read_b32 v141, v114
	s_waitcnt vmcnt(0) lgkmcnt(0)
	v_mul_f32_e32 v140, v140, v141
	s_cbranch_execz .LBB55_70
	s_branch .LBB55_71
.LBB55_69:
                                        ; implicit-def: $vgpr140
.LBB55_70:
	ds_read_b32 v140, v114
.LBB55_71:
	s_and_saveexec_b64 s[12:13], s[4:5]
	s_cbranch_execz .LBB55_75
; %bb.72:
	v_subrev_u32_e32 v141, 48, v0
	s_movk_i32 s14, 0x1a0
	s_mov_b64 s[4:5], 0
.LBB55_73:                              ; =>This Inner Loop Header: Depth=1
	buffer_load_dword v142, v139, s[0:3], 0 offen
	v_mov_b32_e32 v143, s14
	ds_read_b32 v143, v143
	v_add_u32_e32 v141, -1, v141
	s_add_i32 s14, s14, 4
	v_cmp_eq_u32_e32 vcc, 0, v141
	v_add_u32_e32 v139, 4, v139
	s_or_b64 s[4:5], vcc, s[4:5]
	s_waitcnt vmcnt(0) lgkmcnt(0)
	v_fmac_f32_e32 v140, v142, v143
	s_andn2_b64 exec, exec, s[4:5]
	s_cbranch_execnz .LBB55_73
; %bb.74:
	s_or_b64 exec, exec, s[4:5]
.LBB55_75:
	s_or_b64 exec, exec, s[12:13]
	v_mov_b32_e32 v139, 0
	ds_read_b32 v139, v139 offset:188
	s_waitcnt lgkmcnt(0)
	v_mul_f32_e32 v139, v140, v139
	buffer_store_dword v139, off, s[0:3], 0 offset:188
.LBB55_76:
	s_or_b64 exec, exec, s[10:11]
	buffer_load_dword v139, off, s[0:3], 0 offset:184
	v_cmp_lt_u32_e64 s[4:5], 46, v0
	s_waitcnt vmcnt(0)
	ds_write_b32 v114, v139
	s_waitcnt lgkmcnt(0)
	; wave barrier
	s_waitcnt lgkmcnt(0)
	s_and_saveexec_b64 s[10:11], s[4:5]
	s_cbranch_execz .LBB55_86
; %bb.77:
	s_andn2_b64 vcc, exec, s[8:9]
	s_cbranch_vccnz .LBB55_79
; %bb.78:
	buffer_load_dword v139, v115, s[0:3], 0 offen
	ds_read_b32 v140, v114
	s_waitcnt vmcnt(0) lgkmcnt(0)
	v_mul_f32_e32 v139, v139, v140
	s_cbranch_execz .LBB55_80
	s_branch .LBB55_81
.LBB55_79:
                                        ; implicit-def: $vgpr139
.LBB55_80:
	ds_read_b32 v139, v114
.LBB55_81:
	s_and_saveexec_b64 s[12:13], s[6:7]
	s_cbranch_execz .LBB55_85
; %bb.82:
	v_mov_b32_e32 v140, 0
	v_add_u32_e32 v140, 0xbc, v140
	v_subrev_u32_e32 v141, 47, v0
	s_movk_i32 s14, 0x19c
	s_mov_b64 s[6:7], 0
.LBB55_83:                              ; =>This Inner Loop Header: Depth=1
	buffer_load_dword v142, v140, s[0:3], 0 offen
	v_mov_b32_e32 v143, s14
	ds_read_b32 v143, v143
	v_add_u32_e32 v141, -1, v141
	s_add_i32 s14, s14, 4
	v_cmp_eq_u32_e32 vcc, 0, v141
	v_add_u32_e32 v140, 4, v140
	s_or_b64 s[6:7], vcc, s[6:7]
	s_waitcnt vmcnt(0) lgkmcnt(0)
	v_fmac_f32_e32 v139, v142, v143
	s_andn2_b64 exec, exec, s[6:7]
	s_cbranch_execnz .LBB55_83
; %bb.84:
	s_or_b64 exec, exec, s[6:7]
.LBB55_85:
	s_or_b64 exec, exec, s[12:13]
	v_mov_b32_e32 v140, 0
	ds_read_b32 v140, v140 offset:184
	s_waitcnt lgkmcnt(0)
	v_mul_f32_e32 v139, v139, v140
	buffer_store_dword v139, off, s[0:3], 0 offset:184
.LBB55_86:
	s_or_b64 exec, exec, s[10:11]
	buffer_load_dword v139, off, s[0:3], 0 offset:180
	v_cmp_lt_u32_e64 s[6:7], 45, v0
	s_waitcnt vmcnt(0)
	ds_write_b32 v114, v139
	s_waitcnt lgkmcnt(0)
	; wave barrier
	s_waitcnt lgkmcnt(0)
	s_and_saveexec_b64 s[10:11], s[6:7]
	s_cbranch_execz .LBB55_96
; %bb.87:
	s_andn2_b64 vcc, exec, s[8:9]
	s_cbranch_vccnz .LBB55_89
; %bb.88:
	buffer_load_dword v139, v115, s[0:3], 0 offen
	ds_read_b32 v140, v114
	s_waitcnt vmcnt(0) lgkmcnt(0)
	v_mul_f32_e32 v139, v139, v140
	s_cbranch_execz .LBB55_90
	s_branch .LBB55_91
.LBB55_89:
                                        ; implicit-def: $vgpr139
.LBB55_90:
	ds_read_b32 v139, v114
.LBB55_91:
	s_and_saveexec_b64 s[12:13], s[4:5]
	s_cbranch_execz .LBB55_95
; %bb.92:
	v_subrev_u32_e32 v140, 46, v0
	s_movk_i32 s14, 0x198
	s_mov_b64 s[4:5], 0
.LBB55_93:                              ; =>This Inner Loop Header: Depth=1
	buffer_load_dword v141, v138, s[0:3], 0 offen
	v_mov_b32_e32 v142, s14
	ds_read_b32 v142, v142
	v_add_u32_e32 v140, -1, v140
	s_add_i32 s14, s14, 4
	v_cmp_eq_u32_e32 vcc, 0, v140
	v_add_u32_e32 v138, 4, v138
	s_or_b64 s[4:5], vcc, s[4:5]
	s_waitcnt vmcnt(0) lgkmcnt(0)
	v_fmac_f32_e32 v139, v141, v142
	s_andn2_b64 exec, exec, s[4:5]
	s_cbranch_execnz .LBB55_93
; %bb.94:
	s_or_b64 exec, exec, s[4:5]
.LBB55_95:
	s_or_b64 exec, exec, s[12:13]
	v_mov_b32_e32 v138, 0
	ds_read_b32 v138, v138 offset:180
	s_waitcnt lgkmcnt(0)
	v_mul_f32_e32 v138, v139, v138
	buffer_store_dword v138, off, s[0:3], 0 offset:180
.LBB55_96:
	s_or_b64 exec, exec, s[10:11]
	buffer_load_dword v138, off, s[0:3], 0 offset:176
	v_cmp_lt_u32_e64 s[4:5], 44, v0
	s_waitcnt vmcnt(0)
	ds_write_b32 v114, v138
	s_waitcnt lgkmcnt(0)
	; wave barrier
	s_waitcnt lgkmcnt(0)
	s_and_saveexec_b64 s[10:11], s[4:5]
	s_cbranch_execz .LBB55_106
; %bb.97:
	s_andn2_b64 vcc, exec, s[8:9]
	s_cbranch_vccnz .LBB55_99
; %bb.98:
	buffer_load_dword v138, v115, s[0:3], 0 offen
	ds_read_b32 v139, v114
	s_waitcnt vmcnt(0) lgkmcnt(0)
	v_mul_f32_e32 v138, v138, v139
	s_cbranch_execz .LBB55_100
	s_branch .LBB55_101
.LBB55_99:
                                        ; implicit-def: $vgpr138
.LBB55_100:
	ds_read_b32 v138, v114
.LBB55_101:
	s_and_saveexec_b64 s[12:13], s[6:7]
	s_cbranch_execz .LBB55_105
; %bb.102:
	v_mov_b32_e32 v139, 0
	v_add_u32_e32 v139, 0xb4, v139
	v_subrev_u32_e32 v140, 45, v0
	s_movk_i32 s14, 0x194
	s_mov_b64 s[6:7], 0
.LBB55_103:                             ; =>This Inner Loop Header: Depth=1
	buffer_load_dword v141, v139, s[0:3], 0 offen
	v_mov_b32_e32 v142, s14
	ds_read_b32 v142, v142
	v_add_u32_e32 v140, -1, v140
	s_add_i32 s14, s14, 4
	v_cmp_eq_u32_e32 vcc, 0, v140
	v_add_u32_e32 v139, 4, v139
	s_or_b64 s[6:7], vcc, s[6:7]
	s_waitcnt vmcnt(0) lgkmcnt(0)
	v_fmac_f32_e32 v138, v141, v142
	s_andn2_b64 exec, exec, s[6:7]
	s_cbranch_execnz .LBB55_103
; %bb.104:
	s_or_b64 exec, exec, s[6:7]
.LBB55_105:
	s_or_b64 exec, exec, s[12:13]
	v_mov_b32_e32 v139, 0
	ds_read_b32 v139, v139 offset:176
	s_waitcnt lgkmcnt(0)
	v_mul_f32_e32 v138, v138, v139
	buffer_store_dword v138, off, s[0:3], 0 offset:176
.LBB55_106:
	s_or_b64 exec, exec, s[10:11]
	buffer_load_dword v138, off, s[0:3], 0 offset:172
	v_cmp_lt_u32_e64 s[6:7], 43, v0
	s_waitcnt vmcnt(0)
	ds_write_b32 v114, v138
	s_waitcnt lgkmcnt(0)
	; wave barrier
	s_waitcnt lgkmcnt(0)
	s_and_saveexec_b64 s[10:11], s[6:7]
	s_cbranch_execz .LBB55_116
; %bb.107:
	s_andn2_b64 vcc, exec, s[8:9]
	s_cbranch_vccnz .LBB55_109
; %bb.108:
	buffer_load_dword v138, v115, s[0:3], 0 offen
	ds_read_b32 v139, v114
	s_waitcnt vmcnt(0) lgkmcnt(0)
	v_mul_f32_e32 v138, v138, v139
	s_cbranch_execz .LBB55_110
	s_branch .LBB55_111
.LBB55_109:
                                        ; implicit-def: $vgpr138
.LBB55_110:
	ds_read_b32 v138, v114
.LBB55_111:
	s_and_saveexec_b64 s[12:13], s[4:5]
	s_cbranch_execz .LBB55_115
; %bb.112:
	v_subrev_u32_e32 v139, 44, v0
	s_movk_i32 s14, 0x190
	s_mov_b64 s[4:5], 0
.LBB55_113:                             ; =>This Inner Loop Header: Depth=1
	buffer_load_dword v140, v137, s[0:3], 0 offen
	v_mov_b32_e32 v141, s14
	ds_read_b32 v141, v141
	v_add_u32_e32 v139, -1, v139
	s_add_i32 s14, s14, 4
	v_cmp_eq_u32_e32 vcc, 0, v139
	v_add_u32_e32 v137, 4, v137
	s_or_b64 s[4:5], vcc, s[4:5]
	s_waitcnt vmcnt(0) lgkmcnt(0)
	v_fmac_f32_e32 v138, v140, v141
	s_andn2_b64 exec, exec, s[4:5]
	s_cbranch_execnz .LBB55_113
; %bb.114:
	s_or_b64 exec, exec, s[4:5]
.LBB55_115:
	s_or_b64 exec, exec, s[12:13]
	v_mov_b32_e32 v137, 0
	ds_read_b32 v137, v137 offset:172
	s_waitcnt lgkmcnt(0)
	v_mul_f32_e32 v137, v138, v137
	buffer_store_dword v137, off, s[0:3], 0 offset:172
.LBB55_116:
	s_or_b64 exec, exec, s[10:11]
	buffer_load_dword v137, off, s[0:3], 0 offset:168
	v_cmp_lt_u32_e64 s[4:5], 42, v0
	s_waitcnt vmcnt(0)
	ds_write_b32 v114, v137
	s_waitcnt lgkmcnt(0)
	; wave barrier
	s_waitcnt lgkmcnt(0)
	s_and_saveexec_b64 s[10:11], s[4:5]
	s_cbranch_execz .LBB55_126
; %bb.117:
	s_andn2_b64 vcc, exec, s[8:9]
	s_cbranch_vccnz .LBB55_119
; %bb.118:
	buffer_load_dword v137, v115, s[0:3], 0 offen
	ds_read_b32 v138, v114
	s_waitcnt vmcnt(0) lgkmcnt(0)
	v_mul_f32_e32 v137, v137, v138
	s_cbranch_execz .LBB55_120
	s_branch .LBB55_121
.LBB55_119:
                                        ; implicit-def: $vgpr137
.LBB55_120:
	ds_read_b32 v137, v114
.LBB55_121:
	s_and_saveexec_b64 s[12:13], s[6:7]
	s_cbranch_execz .LBB55_125
; %bb.122:
	v_mov_b32_e32 v138, 0
	v_add_u32_e32 v138, 0xac, v138
	v_subrev_u32_e32 v139, 43, v0
	s_movk_i32 s14, 0x18c
	s_mov_b64 s[6:7], 0
.LBB55_123:                             ; =>This Inner Loop Header: Depth=1
	buffer_load_dword v140, v138, s[0:3], 0 offen
	v_mov_b32_e32 v141, s14
	ds_read_b32 v141, v141
	v_add_u32_e32 v139, -1, v139
	s_add_i32 s14, s14, 4
	v_cmp_eq_u32_e32 vcc, 0, v139
	v_add_u32_e32 v138, 4, v138
	s_or_b64 s[6:7], vcc, s[6:7]
	s_waitcnt vmcnt(0) lgkmcnt(0)
	v_fmac_f32_e32 v137, v140, v141
	s_andn2_b64 exec, exec, s[6:7]
	s_cbranch_execnz .LBB55_123
; %bb.124:
	s_or_b64 exec, exec, s[6:7]
.LBB55_125:
	s_or_b64 exec, exec, s[12:13]
	v_mov_b32_e32 v138, 0
	ds_read_b32 v138, v138 offset:168
	s_waitcnt lgkmcnt(0)
	v_mul_f32_e32 v137, v137, v138
	buffer_store_dword v137, off, s[0:3], 0 offset:168
.LBB55_126:
	s_or_b64 exec, exec, s[10:11]
	buffer_load_dword v137, off, s[0:3], 0 offset:164
	v_cmp_lt_u32_e64 s[6:7], 41, v0
	s_waitcnt vmcnt(0)
	ds_write_b32 v114, v137
	s_waitcnt lgkmcnt(0)
	; wave barrier
	s_waitcnt lgkmcnt(0)
	s_and_saveexec_b64 s[10:11], s[6:7]
	s_cbranch_execz .LBB55_136
; %bb.127:
	s_andn2_b64 vcc, exec, s[8:9]
	s_cbranch_vccnz .LBB55_129
; %bb.128:
	buffer_load_dword v137, v115, s[0:3], 0 offen
	ds_read_b32 v138, v114
	s_waitcnt vmcnt(0) lgkmcnt(0)
	v_mul_f32_e32 v137, v137, v138
	s_cbranch_execz .LBB55_130
	s_branch .LBB55_131
.LBB55_129:
                                        ; implicit-def: $vgpr137
.LBB55_130:
	ds_read_b32 v137, v114
.LBB55_131:
	s_and_saveexec_b64 s[12:13], s[4:5]
	s_cbranch_execz .LBB55_135
; %bb.132:
	v_subrev_u32_e32 v138, 42, v0
	s_movk_i32 s14, 0x188
	s_mov_b64 s[4:5], 0
.LBB55_133:                             ; =>This Inner Loop Header: Depth=1
	buffer_load_dword v139, v136, s[0:3], 0 offen
	v_mov_b32_e32 v140, s14
	ds_read_b32 v140, v140
	v_add_u32_e32 v138, -1, v138
	s_add_i32 s14, s14, 4
	v_cmp_eq_u32_e32 vcc, 0, v138
	v_add_u32_e32 v136, 4, v136
	s_or_b64 s[4:5], vcc, s[4:5]
	s_waitcnt vmcnt(0) lgkmcnt(0)
	v_fmac_f32_e32 v137, v139, v140
	s_andn2_b64 exec, exec, s[4:5]
	s_cbranch_execnz .LBB55_133
; %bb.134:
	s_or_b64 exec, exec, s[4:5]
.LBB55_135:
	s_or_b64 exec, exec, s[12:13]
	v_mov_b32_e32 v136, 0
	ds_read_b32 v136, v136 offset:164
	s_waitcnt lgkmcnt(0)
	v_mul_f32_e32 v136, v137, v136
	buffer_store_dword v136, off, s[0:3], 0 offset:164
.LBB55_136:
	s_or_b64 exec, exec, s[10:11]
	buffer_load_dword v136, off, s[0:3], 0 offset:160
	v_cmp_lt_u32_e64 s[4:5], 40, v0
	s_waitcnt vmcnt(0)
	ds_write_b32 v114, v136
	s_waitcnt lgkmcnt(0)
	; wave barrier
	s_waitcnt lgkmcnt(0)
	s_and_saveexec_b64 s[10:11], s[4:5]
	s_cbranch_execz .LBB55_146
; %bb.137:
	s_andn2_b64 vcc, exec, s[8:9]
	s_cbranch_vccnz .LBB55_139
; %bb.138:
	buffer_load_dword v136, v115, s[0:3], 0 offen
	ds_read_b32 v137, v114
	s_waitcnt vmcnt(0) lgkmcnt(0)
	v_mul_f32_e32 v136, v136, v137
	s_cbranch_execz .LBB55_140
	s_branch .LBB55_141
.LBB55_139:
                                        ; implicit-def: $vgpr136
.LBB55_140:
	ds_read_b32 v136, v114
.LBB55_141:
	s_and_saveexec_b64 s[12:13], s[6:7]
	s_cbranch_execz .LBB55_145
; %bb.142:
	v_mov_b32_e32 v137, 0
	v_add_u32_e32 v137, 0xa4, v137
	v_subrev_u32_e32 v138, 41, v0
	s_movk_i32 s14, 0x184
	s_mov_b64 s[6:7], 0
.LBB55_143:                             ; =>This Inner Loop Header: Depth=1
	buffer_load_dword v139, v137, s[0:3], 0 offen
	v_mov_b32_e32 v140, s14
	ds_read_b32 v140, v140
	v_add_u32_e32 v138, -1, v138
	s_add_i32 s14, s14, 4
	v_cmp_eq_u32_e32 vcc, 0, v138
	v_add_u32_e32 v137, 4, v137
	s_or_b64 s[6:7], vcc, s[6:7]
	s_waitcnt vmcnt(0) lgkmcnt(0)
	v_fmac_f32_e32 v136, v139, v140
	s_andn2_b64 exec, exec, s[6:7]
	s_cbranch_execnz .LBB55_143
; %bb.144:
	s_or_b64 exec, exec, s[6:7]
.LBB55_145:
	s_or_b64 exec, exec, s[12:13]
	v_mov_b32_e32 v137, 0
	ds_read_b32 v137, v137 offset:160
	s_waitcnt lgkmcnt(0)
	v_mul_f32_e32 v136, v136, v137
	buffer_store_dword v136, off, s[0:3], 0 offset:160
.LBB55_146:
	s_or_b64 exec, exec, s[10:11]
	buffer_load_dword v136, off, s[0:3], 0 offset:156
	v_cmp_lt_u32_e64 s[6:7], 39, v0
	s_waitcnt vmcnt(0)
	ds_write_b32 v114, v136
	s_waitcnt lgkmcnt(0)
	; wave barrier
	s_waitcnt lgkmcnt(0)
	s_and_saveexec_b64 s[10:11], s[6:7]
	s_cbranch_execz .LBB55_156
; %bb.147:
	s_andn2_b64 vcc, exec, s[8:9]
	s_cbranch_vccnz .LBB55_149
; %bb.148:
	buffer_load_dword v136, v115, s[0:3], 0 offen
	ds_read_b32 v137, v114
	s_waitcnt vmcnt(0) lgkmcnt(0)
	v_mul_f32_e32 v136, v136, v137
	s_cbranch_execz .LBB55_150
	s_branch .LBB55_151
.LBB55_149:
                                        ; implicit-def: $vgpr136
.LBB55_150:
	ds_read_b32 v136, v114
.LBB55_151:
	s_and_saveexec_b64 s[12:13], s[4:5]
	s_cbranch_execz .LBB55_155
; %bb.152:
	v_subrev_u32_e32 v137, 40, v0
	s_movk_i32 s14, 0x180
	s_mov_b64 s[4:5], 0
.LBB55_153:                             ; =>This Inner Loop Header: Depth=1
	buffer_load_dword v138, v135, s[0:3], 0 offen
	v_mov_b32_e32 v139, s14
	ds_read_b32 v139, v139
	v_add_u32_e32 v137, -1, v137
	s_add_i32 s14, s14, 4
	v_cmp_eq_u32_e32 vcc, 0, v137
	v_add_u32_e32 v135, 4, v135
	s_or_b64 s[4:5], vcc, s[4:5]
	s_waitcnt vmcnt(0) lgkmcnt(0)
	v_fmac_f32_e32 v136, v138, v139
	s_andn2_b64 exec, exec, s[4:5]
	s_cbranch_execnz .LBB55_153
; %bb.154:
	s_or_b64 exec, exec, s[4:5]
.LBB55_155:
	s_or_b64 exec, exec, s[12:13]
	v_mov_b32_e32 v135, 0
	ds_read_b32 v135, v135 offset:156
	s_waitcnt lgkmcnt(0)
	v_mul_f32_e32 v135, v136, v135
	buffer_store_dword v135, off, s[0:3], 0 offset:156
.LBB55_156:
	s_or_b64 exec, exec, s[10:11]
	buffer_load_dword v135, off, s[0:3], 0 offset:152
	v_cmp_lt_u32_e64 s[4:5], 38, v0
	s_waitcnt vmcnt(0)
	ds_write_b32 v114, v135
	s_waitcnt lgkmcnt(0)
	; wave barrier
	s_waitcnt lgkmcnt(0)
	s_and_saveexec_b64 s[10:11], s[4:5]
	s_cbranch_execz .LBB55_166
; %bb.157:
	s_andn2_b64 vcc, exec, s[8:9]
	s_cbranch_vccnz .LBB55_159
; %bb.158:
	buffer_load_dword v135, v115, s[0:3], 0 offen
	ds_read_b32 v136, v114
	s_waitcnt vmcnt(0) lgkmcnt(0)
	v_mul_f32_e32 v135, v135, v136
	s_cbranch_execz .LBB55_160
	s_branch .LBB55_161
.LBB55_159:
                                        ; implicit-def: $vgpr135
.LBB55_160:
	ds_read_b32 v135, v114
.LBB55_161:
	s_and_saveexec_b64 s[12:13], s[6:7]
	s_cbranch_execz .LBB55_165
; %bb.162:
	v_mov_b32_e32 v136, 0
	v_add_u32_e32 v136, 0x9c, v136
	v_subrev_u32_e32 v137, 39, v0
	s_movk_i32 s14, 0x17c
	s_mov_b64 s[6:7], 0
.LBB55_163:                             ; =>This Inner Loop Header: Depth=1
	buffer_load_dword v138, v136, s[0:3], 0 offen
	v_mov_b32_e32 v139, s14
	ds_read_b32 v139, v139
	v_add_u32_e32 v137, -1, v137
	s_add_i32 s14, s14, 4
	v_cmp_eq_u32_e32 vcc, 0, v137
	v_add_u32_e32 v136, 4, v136
	s_or_b64 s[6:7], vcc, s[6:7]
	s_waitcnt vmcnt(0) lgkmcnt(0)
	v_fmac_f32_e32 v135, v138, v139
	s_andn2_b64 exec, exec, s[6:7]
	s_cbranch_execnz .LBB55_163
; %bb.164:
	s_or_b64 exec, exec, s[6:7]
.LBB55_165:
	s_or_b64 exec, exec, s[12:13]
	v_mov_b32_e32 v136, 0
	ds_read_b32 v136, v136 offset:152
	s_waitcnt lgkmcnt(0)
	v_mul_f32_e32 v135, v135, v136
	buffer_store_dword v135, off, s[0:3], 0 offset:152
.LBB55_166:
	s_or_b64 exec, exec, s[10:11]
	buffer_load_dword v135, off, s[0:3], 0 offset:148
	v_cmp_lt_u32_e64 s[6:7], 37, v0
	s_waitcnt vmcnt(0)
	ds_write_b32 v114, v135
	s_waitcnt lgkmcnt(0)
	; wave barrier
	s_waitcnt lgkmcnt(0)
	s_and_saveexec_b64 s[10:11], s[6:7]
	s_cbranch_execz .LBB55_176
; %bb.167:
	s_andn2_b64 vcc, exec, s[8:9]
	s_cbranch_vccnz .LBB55_169
; %bb.168:
	buffer_load_dword v135, v115, s[0:3], 0 offen
	ds_read_b32 v136, v114
	s_waitcnt vmcnt(0) lgkmcnt(0)
	v_mul_f32_e32 v135, v135, v136
	s_cbranch_execz .LBB55_170
	s_branch .LBB55_171
.LBB55_169:
                                        ; implicit-def: $vgpr135
.LBB55_170:
	ds_read_b32 v135, v114
.LBB55_171:
	s_and_saveexec_b64 s[12:13], s[4:5]
	s_cbranch_execz .LBB55_175
; %bb.172:
	v_subrev_u32_e32 v136, 38, v0
	s_movk_i32 s14, 0x178
	s_mov_b64 s[4:5], 0
.LBB55_173:                             ; =>This Inner Loop Header: Depth=1
	buffer_load_dword v137, v134, s[0:3], 0 offen
	v_mov_b32_e32 v138, s14
	ds_read_b32 v138, v138
	v_add_u32_e32 v136, -1, v136
	s_add_i32 s14, s14, 4
	v_cmp_eq_u32_e32 vcc, 0, v136
	v_add_u32_e32 v134, 4, v134
	s_or_b64 s[4:5], vcc, s[4:5]
	s_waitcnt vmcnt(0) lgkmcnt(0)
	v_fmac_f32_e32 v135, v137, v138
	s_andn2_b64 exec, exec, s[4:5]
	s_cbranch_execnz .LBB55_173
; %bb.174:
	s_or_b64 exec, exec, s[4:5]
.LBB55_175:
	s_or_b64 exec, exec, s[12:13]
	v_mov_b32_e32 v134, 0
	ds_read_b32 v134, v134 offset:148
	s_waitcnt lgkmcnt(0)
	v_mul_f32_e32 v134, v135, v134
	buffer_store_dword v134, off, s[0:3], 0 offset:148
.LBB55_176:
	s_or_b64 exec, exec, s[10:11]
	buffer_load_dword v134, off, s[0:3], 0 offset:144
	v_cmp_lt_u32_e64 s[4:5], 36, v0
	s_waitcnt vmcnt(0)
	ds_write_b32 v114, v134
	s_waitcnt lgkmcnt(0)
	; wave barrier
	s_waitcnt lgkmcnt(0)
	s_and_saveexec_b64 s[10:11], s[4:5]
	s_cbranch_execz .LBB55_186
; %bb.177:
	s_andn2_b64 vcc, exec, s[8:9]
	s_cbranch_vccnz .LBB55_179
; %bb.178:
	buffer_load_dword v134, v115, s[0:3], 0 offen
	ds_read_b32 v135, v114
	s_waitcnt vmcnt(0) lgkmcnt(0)
	v_mul_f32_e32 v134, v134, v135
	s_cbranch_execz .LBB55_180
	s_branch .LBB55_181
.LBB55_179:
                                        ; implicit-def: $vgpr134
.LBB55_180:
	ds_read_b32 v134, v114
.LBB55_181:
	s_and_saveexec_b64 s[12:13], s[6:7]
	s_cbranch_execz .LBB55_185
; %bb.182:
	v_mov_b32_e32 v135, 0
	v_add_u32_e32 v135, 0x94, v135
	v_subrev_u32_e32 v136, 37, v0
	s_movk_i32 s14, 0x174
	s_mov_b64 s[6:7], 0
.LBB55_183:                             ; =>This Inner Loop Header: Depth=1
	buffer_load_dword v137, v135, s[0:3], 0 offen
	v_mov_b32_e32 v138, s14
	ds_read_b32 v138, v138
	v_add_u32_e32 v136, -1, v136
	s_add_i32 s14, s14, 4
	v_cmp_eq_u32_e32 vcc, 0, v136
	v_add_u32_e32 v135, 4, v135
	s_or_b64 s[6:7], vcc, s[6:7]
	s_waitcnt vmcnt(0) lgkmcnt(0)
	v_fmac_f32_e32 v134, v137, v138
	s_andn2_b64 exec, exec, s[6:7]
	s_cbranch_execnz .LBB55_183
; %bb.184:
	s_or_b64 exec, exec, s[6:7]
.LBB55_185:
	s_or_b64 exec, exec, s[12:13]
	v_mov_b32_e32 v135, 0
	ds_read_b32 v135, v135 offset:144
	s_waitcnt lgkmcnt(0)
	v_mul_f32_e32 v134, v134, v135
	buffer_store_dword v134, off, s[0:3], 0 offset:144
.LBB55_186:
	s_or_b64 exec, exec, s[10:11]
	buffer_load_dword v134, off, s[0:3], 0 offset:140
	v_cmp_lt_u32_e64 s[6:7], 35, v0
	s_waitcnt vmcnt(0)
	ds_write_b32 v114, v134
	s_waitcnt lgkmcnt(0)
	; wave barrier
	s_waitcnt lgkmcnt(0)
	s_and_saveexec_b64 s[10:11], s[6:7]
	s_cbranch_execz .LBB55_196
; %bb.187:
	s_andn2_b64 vcc, exec, s[8:9]
	s_cbranch_vccnz .LBB55_189
; %bb.188:
	buffer_load_dword v134, v115, s[0:3], 0 offen
	ds_read_b32 v135, v114
	s_waitcnt vmcnt(0) lgkmcnt(0)
	v_mul_f32_e32 v134, v134, v135
	s_cbranch_execz .LBB55_190
	s_branch .LBB55_191
.LBB55_189:
                                        ; implicit-def: $vgpr134
.LBB55_190:
	ds_read_b32 v134, v114
.LBB55_191:
	s_and_saveexec_b64 s[12:13], s[4:5]
	s_cbranch_execz .LBB55_195
; %bb.192:
	v_subrev_u32_e32 v135, 36, v0
	s_movk_i32 s14, 0x170
	s_mov_b64 s[4:5], 0
.LBB55_193:                             ; =>This Inner Loop Header: Depth=1
	buffer_load_dword v136, v133, s[0:3], 0 offen
	v_mov_b32_e32 v137, s14
	ds_read_b32 v137, v137
	v_add_u32_e32 v135, -1, v135
	s_add_i32 s14, s14, 4
	v_cmp_eq_u32_e32 vcc, 0, v135
	v_add_u32_e32 v133, 4, v133
	s_or_b64 s[4:5], vcc, s[4:5]
	s_waitcnt vmcnt(0) lgkmcnt(0)
	v_fmac_f32_e32 v134, v136, v137
	s_andn2_b64 exec, exec, s[4:5]
	s_cbranch_execnz .LBB55_193
; %bb.194:
	s_or_b64 exec, exec, s[4:5]
.LBB55_195:
	s_or_b64 exec, exec, s[12:13]
	v_mov_b32_e32 v133, 0
	ds_read_b32 v133, v133 offset:140
	s_waitcnt lgkmcnt(0)
	v_mul_f32_e32 v133, v134, v133
	buffer_store_dword v133, off, s[0:3], 0 offset:140
.LBB55_196:
	s_or_b64 exec, exec, s[10:11]
	buffer_load_dword v133, off, s[0:3], 0 offset:136
	v_cmp_lt_u32_e64 s[4:5], 34, v0
	s_waitcnt vmcnt(0)
	ds_write_b32 v114, v133
	s_waitcnt lgkmcnt(0)
	; wave barrier
	s_waitcnt lgkmcnt(0)
	s_and_saveexec_b64 s[10:11], s[4:5]
	s_cbranch_execz .LBB55_206
; %bb.197:
	s_andn2_b64 vcc, exec, s[8:9]
	s_cbranch_vccnz .LBB55_199
; %bb.198:
	buffer_load_dword v133, v115, s[0:3], 0 offen
	ds_read_b32 v134, v114
	s_waitcnt vmcnt(0) lgkmcnt(0)
	v_mul_f32_e32 v133, v133, v134
	s_cbranch_execz .LBB55_200
	s_branch .LBB55_201
.LBB55_199:
                                        ; implicit-def: $vgpr133
.LBB55_200:
	ds_read_b32 v133, v114
.LBB55_201:
	s_and_saveexec_b64 s[12:13], s[6:7]
	s_cbranch_execz .LBB55_205
; %bb.202:
	v_mov_b32_e32 v134, 0
	v_add_u32_e32 v134, 0x8c, v134
	v_subrev_u32_e32 v135, 35, v0
	s_movk_i32 s14, 0x16c
	s_mov_b64 s[6:7], 0
.LBB55_203:                             ; =>This Inner Loop Header: Depth=1
	buffer_load_dword v136, v134, s[0:3], 0 offen
	v_mov_b32_e32 v137, s14
	ds_read_b32 v137, v137
	v_add_u32_e32 v135, -1, v135
	s_add_i32 s14, s14, 4
	v_cmp_eq_u32_e32 vcc, 0, v135
	v_add_u32_e32 v134, 4, v134
	s_or_b64 s[6:7], vcc, s[6:7]
	s_waitcnt vmcnt(0) lgkmcnt(0)
	v_fmac_f32_e32 v133, v136, v137
	s_andn2_b64 exec, exec, s[6:7]
	s_cbranch_execnz .LBB55_203
; %bb.204:
	s_or_b64 exec, exec, s[6:7]
.LBB55_205:
	s_or_b64 exec, exec, s[12:13]
	v_mov_b32_e32 v134, 0
	ds_read_b32 v134, v134 offset:136
	s_waitcnt lgkmcnt(0)
	v_mul_f32_e32 v133, v133, v134
	buffer_store_dword v133, off, s[0:3], 0 offset:136
.LBB55_206:
	s_or_b64 exec, exec, s[10:11]
	buffer_load_dword v133, off, s[0:3], 0 offset:132
	v_cmp_lt_u32_e64 s[6:7], 33, v0
	s_waitcnt vmcnt(0)
	ds_write_b32 v114, v133
	s_waitcnt lgkmcnt(0)
	; wave barrier
	s_waitcnt lgkmcnt(0)
	s_and_saveexec_b64 s[10:11], s[6:7]
	s_cbranch_execz .LBB55_216
; %bb.207:
	s_andn2_b64 vcc, exec, s[8:9]
	s_cbranch_vccnz .LBB55_209
; %bb.208:
	buffer_load_dword v133, v115, s[0:3], 0 offen
	ds_read_b32 v134, v114
	s_waitcnt vmcnt(0) lgkmcnt(0)
	v_mul_f32_e32 v133, v133, v134
	s_cbranch_execz .LBB55_210
	s_branch .LBB55_211
.LBB55_209:
                                        ; implicit-def: $vgpr133
.LBB55_210:
	ds_read_b32 v133, v114
.LBB55_211:
	s_and_saveexec_b64 s[12:13], s[4:5]
	s_cbranch_execz .LBB55_215
; %bb.212:
	v_subrev_u32_e32 v134, 34, v0
	s_movk_i32 s14, 0x168
	s_mov_b64 s[4:5], 0
.LBB55_213:                             ; =>This Inner Loop Header: Depth=1
	buffer_load_dword v135, v132, s[0:3], 0 offen
	v_mov_b32_e32 v136, s14
	ds_read_b32 v136, v136
	v_add_u32_e32 v134, -1, v134
	s_add_i32 s14, s14, 4
	v_cmp_eq_u32_e32 vcc, 0, v134
	v_add_u32_e32 v132, 4, v132
	s_or_b64 s[4:5], vcc, s[4:5]
	s_waitcnt vmcnt(0) lgkmcnt(0)
	v_fmac_f32_e32 v133, v135, v136
	s_andn2_b64 exec, exec, s[4:5]
	s_cbranch_execnz .LBB55_213
; %bb.214:
	s_or_b64 exec, exec, s[4:5]
.LBB55_215:
	s_or_b64 exec, exec, s[12:13]
	v_mov_b32_e32 v132, 0
	ds_read_b32 v132, v132 offset:132
	s_waitcnt lgkmcnt(0)
	v_mul_f32_e32 v132, v133, v132
	buffer_store_dword v132, off, s[0:3], 0 offset:132
.LBB55_216:
	s_or_b64 exec, exec, s[10:11]
	buffer_load_dword v132, off, s[0:3], 0 offset:128
	v_cmp_lt_u32_e64 s[4:5], 32, v0
	s_waitcnt vmcnt(0)
	ds_write_b32 v114, v132
	s_waitcnt lgkmcnt(0)
	; wave barrier
	s_waitcnt lgkmcnt(0)
	s_and_saveexec_b64 s[10:11], s[4:5]
	s_cbranch_execz .LBB55_226
; %bb.217:
	s_andn2_b64 vcc, exec, s[8:9]
	s_cbranch_vccnz .LBB55_219
; %bb.218:
	buffer_load_dword v132, v115, s[0:3], 0 offen
	ds_read_b32 v133, v114
	s_waitcnt vmcnt(0) lgkmcnt(0)
	v_mul_f32_e32 v132, v132, v133
	s_cbranch_execz .LBB55_220
	s_branch .LBB55_221
.LBB55_219:
                                        ; implicit-def: $vgpr132
.LBB55_220:
	ds_read_b32 v132, v114
.LBB55_221:
	s_and_saveexec_b64 s[12:13], s[6:7]
	s_cbranch_execz .LBB55_225
; %bb.222:
	v_mov_b32_e32 v133, 0
	v_add_u32_e32 v133, 0x84, v133
	v_subrev_u32_e32 v134, 33, v0
	s_movk_i32 s14, 0x164
	s_mov_b64 s[6:7], 0
.LBB55_223:                             ; =>This Inner Loop Header: Depth=1
	buffer_load_dword v135, v133, s[0:3], 0 offen
	v_mov_b32_e32 v136, s14
	ds_read_b32 v136, v136
	v_add_u32_e32 v134, -1, v134
	s_add_i32 s14, s14, 4
	v_cmp_eq_u32_e32 vcc, 0, v134
	v_add_u32_e32 v133, 4, v133
	s_or_b64 s[6:7], vcc, s[6:7]
	s_waitcnt vmcnt(0) lgkmcnt(0)
	v_fmac_f32_e32 v132, v135, v136
	s_andn2_b64 exec, exec, s[6:7]
	s_cbranch_execnz .LBB55_223
; %bb.224:
	s_or_b64 exec, exec, s[6:7]
.LBB55_225:
	s_or_b64 exec, exec, s[12:13]
	v_mov_b32_e32 v133, 0
	ds_read_b32 v133, v133 offset:128
	s_waitcnt lgkmcnt(0)
	v_mul_f32_e32 v132, v132, v133
	buffer_store_dword v132, off, s[0:3], 0 offset:128
.LBB55_226:
	s_or_b64 exec, exec, s[10:11]
	buffer_load_dword v132, off, s[0:3], 0 offset:124
	v_cmp_lt_u32_e64 s[6:7], 31, v0
	s_waitcnt vmcnt(0)
	ds_write_b32 v114, v132
	s_waitcnt lgkmcnt(0)
	; wave barrier
	s_waitcnt lgkmcnt(0)
	s_and_saveexec_b64 s[10:11], s[6:7]
	s_cbranch_execz .LBB55_236
; %bb.227:
	s_andn2_b64 vcc, exec, s[8:9]
	s_cbranch_vccnz .LBB55_229
; %bb.228:
	buffer_load_dword v132, v115, s[0:3], 0 offen
	ds_read_b32 v133, v114
	s_waitcnt vmcnt(0) lgkmcnt(0)
	v_mul_f32_e32 v132, v132, v133
	s_cbranch_execz .LBB55_230
	s_branch .LBB55_231
.LBB55_229:
                                        ; implicit-def: $vgpr132
.LBB55_230:
	ds_read_b32 v132, v114
.LBB55_231:
	s_and_saveexec_b64 s[12:13], s[4:5]
	s_cbranch_execz .LBB55_235
; %bb.232:
	v_subrev_u32_e32 v133, 32, v0
	s_movk_i32 s14, 0x160
	s_mov_b64 s[4:5], 0
.LBB55_233:                             ; =>This Inner Loop Header: Depth=1
	buffer_load_dword v134, v131, s[0:3], 0 offen
	v_mov_b32_e32 v135, s14
	ds_read_b32 v135, v135
	v_add_u32_e32 v133, -1, v133
	s_add_i32 s14, s14, 4
	v_cmp_eq_u32_e32 vcc, 0, v133
	v_add_u32_e32 v131, 4, v131
	s_or_b64 s[4:5], vcc, s[4:5]
	s_waitcnt vmcnt(0) lgkmcnt(0)
	v_fmac_f32_e32 v132, v134, v135
	s_andn2_b64 exec, exec, s[4:5]
	s_cbranch_execnz .LBB55_233
; %bb.234:
	s_or_b64 exec, exec, s[4:5]
.LBB55_235:
	s_or_b64 exec, exec, s[12:13]
	v_mov_b32_e32 v131, 0
	ds_read_b32 v131, v131 offset:124
	s_waitcnt lgkmcnt(0)
	v_mul_f32_e32 v131, v132, v131
	buffer_store_dword v131, off, s[0:3], 0 offset:124
.LBB55_236:
	s_or_b64 exec, exec, s[10:11]
	buffer_load_dword v131, off, s[0:3], 0 offset:120
	v_cmp_lt_u32_e64 s[4:5], 30, v0
	s_waitcnt vmcnt(0)
	ds_write_b32 v114, v131
	s_waitcnt lgkmcnt(0)
	; wave barrier
	s_waitcnt lgkmcnt(0)
	s_and_saveexec_b64 s[10:11], s[4:5]
	s_cbranch_execz .LBB55_246
; %bb.237:
	s_andn2_b64 vcc, exec, s[8:9]
	s_cbranch_vccnz .LBB55_239
; %bb.238:
	buffer_load_dword v131, v115, s[0:3], 0 offen
	ds_read_b32 v132, v114
	s_waitcnt vmcnt(0) lgkmcnt(0)
	v_mul_f32_e32 v131, v131, v132
	s_cbranch_execz .LBB55_240
	s_branch .LBB55_241
.LBB55_239:
                                        ; implicit-def: $vgpr131
.LBB55_240:
	ds_read_b32 v131, v114
.LBB55_241:
	s_and_saveexec_b64 s[12:13], s[6:7]
	s_cbranch_execz .LBB55_245
; %bb.242:
	v_mov_b32_e32 v132, 0
	v_add_u32_e32 v132, 0x7c, v132
	v_subrev_u32_e32 v133, 31, v0
	s_movk_i32 s14, 0x15c
	s_mov_b64 s[6:7], 0
.LBB55_243:                             ; =>This Inner Loop Header: Depth=1
	buffer_load_dword v134, v132, s[0:3], 0 offen
	v_mov_b32_e32 v135, s14
	ds_read_b32 v135, v135
	v_add_u32_e32 v133, -1, v133
	s_add_i32 s14, s14, 4
	v_cmp_eq_u32_e32 vcc, 0, v133
	v_add_u32_e32 v132, 4, v132
	s_or_b64 s[6:7], vcc, s[6:7]
	s_waitcnt vmcnt(0) lgkmcnt(0)
	v_fmac_f32_e32 v131, v134, v135
	s_andn2_b64 exec, exec, s[6:7]
	s_cbranch_execnz .LBB55_243
; %bb.244:
	s_or_b64 exec, exec, s[6:7]
.LBB55_245:
	s_or_b64 exec, exec, s[12:13]
	v_mov_b32_e32 v132, 0
	ds_read_b32 v132, v132 offset:120
	s_waitcnt lgkmcnt(0)
	v_mul_f32_e32 v131, v131, v132
	buffer_store_dword v131, off, s[0:3], 0 offset:120
.LBB55_246:
	s_or_b64 exec, exec, s[10:11]
	buffer_load_dword v131, off, s[0:3], 0 offset:116
	v_cmp_lt_u32_e64 s[6:7], 29, v0
	s_waitcnt vmcnt(0)
	ds_write_b32 v114, v131
	s_waitcnt lgkmcnt(0)
	; wave barrier
	s_waitcnt lgkmcnt(0)
	s_and_saveexec_b64 s[10:11], s[6:7]
	s_cbranch_execz .LBB55_256
; %bb.247:
	s_andn2_b64 vcc, exec, s[8:9]
	s_cbranch_vccnz .LBB55_249
; %bb.248:
	buffer_load_dword v131, v115, s[0:3], 0 offen
	ds_read_b32 v132, v114
	s_waitcnt vmcnt(0) lgkmcnt(0)
	v_mul_f32_e32 v131, v131, v132
	s_cbranch_execz .LBB55_250
	s_branch .LBB55_251
.LBB55_249:
                                        ; implicit-def: $vgpr131
.LBB55_250:
	ds_read_b32 v131, v114
.LBB55_251:
	s_and_saveexec_b64 s[12:13], s[4:5]
	s_cbranch_execz .LBB55_255
; %bb.252:
	v_subrev_u32_e32 v132, 30, v0
	s_movk_i32 s14, 0x158
	s_mov_b64 s[4:5], 0
.LBB55_253:                             ; =>This Inner Loop Header: Depth=1
	buffer_load_dword v133, v130, s[0:3], 0 offen
	v_mov_b32_e32 v134, s14
	ds_read_b32 v134, v134
	v_add_u32_e32 v132, -1, v132
	s_add_i32 s14, s14, 4
	v_cmp_eq_u32_e32 vcc, 0, v132
	v_add_u32_e32 v130, 4, v130
	s_or_b64 s[4:5], vcc, s[4:5]
	s_waitcnt vmcnt(0) lgkmcnt(0)
	v_fmac_f32_e32 v131, v133, v134
	s_andn2_b64 exec, exec, s[4:5]
	s_cbranch_execnz .LBB55_253
; %bb.254:
	s_or_b64 exec, exec, s[4:5]
.LBB55_255:
	s_or_b64 exec, exec, s[12:13]
	v_mov_b32_e32 v130, 0
	ds_read_b32 v130, v130 offset:116
	s_waitcnt lgkmcnt(0)
	v_mul_f32_e32 v130, v131, v130
	buffer_store_dword v130, off, s[0:3], 0 offset:116
.LBB55_256:
	s_or_b64 exec, exec, s[10:11]
	buffer_load_dword v130, off, s[0:3], 0 offset:112
	v_cmp_lt_u32_e64 s[4:5], 28, v0
	s_waitcnt vmcnt(0)
	ds_write_b32 v114, v130
	s_waitcnt lgkmcnt(0)
	; wave barrier
	s_waitcnt lgkmcnt(0)
	s_and_saveexec_b64 s[10:11], s[4:5]
	s_cbranch_execz .LBB55_266
; %bb.257:
	s_andn2_b64 vcc, exec, s[8:9]
	s_cbranch_vccnz .LBB55_259
; %bb.258:
	buffer_load_dword v130, v115, s[0:3], 0 offen
	ds_read_b32 v131, v114
	s_waitcnt vmcnt(0) lgkmcnt(0)
	v_mul_f32_e32 v130, v130, v131
	s_cbranch_execz .LBB55_260
	s_branch .LBB55_261
.LBB55_259:
                                        ; implicit-def: $vgpr130
.LBB55_260:
	ds_read_b32 v130, v114
.LBB55_261:
	s_and_saveexec_b64 s[12:13], s[6:7]
	s_cbranch_execz .LBB55_265
; %bb.262:
	v_mov_b32_e32 v131, 0
	v_add_u32_e32 v131, 0x74, v131
	v_subrev_u32_e32 v132, 29, v0
	s_movk_i32 s14, 0x154
	s_mov_b64 s[6:7], 0
.LBB55_263:                             ; =>This Inner Loop Header: Depth=1
	buffer_load_dword v133, v131, s[0:3], 0 offen
	v_mov_b32_e32 v134, s14
	ds_read_b32 v134, v134
	v_add_u32_e32 v132, -1, v132
	s_add_i32 s14, s14, 4
	v_cmp_eq_u32_e32 vcc, 0, v132
	v_add_u32_e32 v131, 4, v131
	s_or_b64 s[6:7], vcc, s[6:7]
	s_waitcnt vmcnt(0) lgkmcnt(0)
	v_fmac_f32_e32 v130, v133, v134
	s_andn2_b64 exec, exec, s[6:7]
	s_cbranch_execnz .LBB55_263
; %bb.264:
	s_or_b64 exec, exec, s[6:7]
.LBB55_265:
	s_or_b64 exec, exec, s[12:13]
	v_mov_b32_e32 v131, 0
	ds_read_b32 v131, v131 offset:112
	s_waitcnt lgkmcnt(0)
	v_mul_f32_e32 v130, v130, v131
	buffer_store_dword v130, off, s[0:3], 0 offset:112
.LBB55_266:
	s_or_b64 exec, exec, s[10:11]
	buffer_load_dword v130, off, s[0:3], 0 offset:108
	v_cmp_lt_u32_e64 s[6:7], 27, v0
	s_waitcnt vmcnt(0)
	ds_write_b32 v114, v130
	s_waitcnt lgkmcnt(0)
	; wave barrier
	s_waitcnt lgkmcnt(0)
	s_and_saveexec_b64 s[10:11], s[6:7]
	s_cbranch_execz .LBB55_276
; %bb.267:
	s_andn2_b64 vcc, exec, s[8:9]
	s_cbranch_vccnz .LBB55_269
; %bb.268:
	buffer_load_dword v130, v115, s[0:3], 0 offen
	ds_read_b32 v131, v114
	s_waitcnt vmcnt(0) lgkmcnt(0)
	v_mul_f32_e32 v130, v130, v131
	s_cbranch_execz .LBB55_270
	s_branch .LBB55_271
.LBB55_269:
                                        ; implicit-def: $vgpr130
.LBB55_270:
	ds_read_b32 v130, v114
.LBB55_271:
	s_and_saveexec_b64 s[12:13], s[4:5]
	s_cbranch_execz .LBB55_275
; %bb.272:
	v_subrev_u32_e32 v131, 28, v0
	s_movk_i32 s14, 0x150
	s_mov_b64 s[4:5], 0
.LBB55_273:                             ; =>This Inner Loop Header: Depth=1
	buffer_load_dword v132, v129, s[0:3], 0 offen
	v_mov_b32_e32 v133, s14
	ds_read_b32 v133, v133
	v_add_u32_e32 v131, -1, v131
	s_add_i32 s14, s14, 4
	v_cmp_eq_u32_e32 vcc, 0, v131
	v_add_u32_e32 v129, 4, v129
	s_or_b64 s[4:5], vcc, s[4:5]
	s_waitcnt vmcnt(0) lgkmcnt(0)
	v_fmac_f32_e32 v130, v132, v133
	s_andn2_b64 exec, exec, s[4:5]
	s_cbranch_execnz .LBB55_273
; %bb.274:
	s_or_b64 exec, exec, s[4:5]
.LBB55_275:
	s_or_b64 exec, exec, s[12:13]
	v_mov_b32_e32 v129, 0
	ds_read_b32 v129, v129 offset:108
	s_waitcnt lgkmcnt(0)
	v_mul_f32_e32 v129, v130, v129
	buffer_store_dword v129, off, s[0:3], 0 offset:108
.LBB55_276:
	s_or_b64 exec, exec, s[10:11]
	buffer_load_dword v129, off, s[0:3], 0 offset:104
	v_cmp_lt_u32_e64 s[4:5], 26, v0
	s_waitcnt vmcnt(0)
	ds_write_b32 v114, v129
	s_waitcnt lgkmcnt(0)
	; wave barrier
	s_waitcnt lgkmcnt(0)
	s_and_saveexec_b64 s[10:11], s[4:5]
	s_cbranch_execz .LBB55_286
; %bb.277:
	s_andn2_b64 vcc, exec, s[8:9]
	s_cbranch_vccnz .LBB55_279
; %bb.278:
	buffer_load_dword v129, v115, s[0:3], 0 offen
	ds_read_b32 v130, v114
	s_waitcnt vmcnt(0) lgkmcnt(0)
	v_mul_f32_e32 v129, v129, v130
	s_cbranch_execz .LBB55_280
	s_branch .LBB55_281
.LBB55_279:
                                        ; implicit-def: $vgpr129
.LBB55_280:
	ds_read_b32 v129, v114
.LBB55_281:
	s_and_saveexec_b64 s[12:13], s[6:7]
	s_cbranch_execz .LBB55_285
; %bb.282:
	v_mov_b32_e32 v130, 0
	v_add_u32_e32 v130, 0x6c, v130
	v_subrev_u32_e32 v131, 27, v0
	s_movk_i32 s14, 0x14c
	s_mov_b64 s[6:7], 0
.LBB55_283:                             ; =>This Inner Loop Header: Depth=1
	buffer_load_dword v132, v130, s[0:3], 0 offen
	v_mov_b32_e32 v133, s14
	ds_read_b32 v133, v133
	v_add_u32_e32 v131, -1, v131
	s_add_i32 s14, s14, 4
	v_cmp_eq_u32_e32 vcc, 0, v131
	v_add_u32_e32 v130, 4, v130
	s_or_b64 s[6:7], vcc, s[6:7]
	s_waitcnt vmcnt(0) lgkmcnt(0)
	v_fmac_f32_e32 v129, v132, v133
	s_andn2_b64 exec, exec, s[6:7]
	s_cbranch_execnz .LBB55_283
; %bb.284:
	s_or_b64 exec, exec, s[6:7]
.LBB55_285:
	s_or_b64 exec, exec, s[12:13]
	v_mov_b32_e32 v130, 0
	ds_read_b32 v130, v130 offset:104
	s_waitcnt lgkmcnt(0)
	v_mul_f32_e32 v129, v129, v130
	buffer_store_dword v129, off, s[0:3], 0 offset:104
.LBB55_286:
	s_or_b64 exec, exec, s[10:11]
	buffer_load_dword v129, off, s[0:3], 0 offset:100
	v_cmp_lt_u32_e64 s[6:7], 25, v0
	s_waitcnt vmcnt(0)
	ds_write_b32 v114, v129
	s_waitcnt lgkmcnt(0)
	; wave barrier
	s_waitcnt lgkmcnt(0)
	s_and_saveexec_b64 s[10:11], s[6:7]
	s_cbranch_execz .LBB55_296
; %bb.287:
	s_andn2_b64 vcc, exec, s[8:9]
	s_cbranch_vccnz .LBB55_289
; %bb.288:
	buffer_load_dword v129, v115, s[0:3], 0 offen
	ds_read_b32 v130, v114
	s_waitcnt vmcnt(0) lgkmcnt(0)
	v_mul_f32_e32 v129, v129, v130
	s_cbranch_execz .LBB55_290
	s_branch .LBB55_291
.LBB55_289:
                                        ; implicit-def: $vgpr129
.LBB55_290:
	ds_read_b32 v129, v114
.LBB55_291:
	s_and_saveexec_b64 s[12:13], s[4:5]
	s_cbranch_execz .LBB55_295
; %bb.292:
	v_subrev_u32_e32 v130, 26, v0
	s_movk_i32 s14, 0x148
	s_mov_b64 s[4:5], 0
.LBB55_293:                             ; =>This Inner Loop Header: Depth=1
	buffer_load_dword v131, v128, s[0:3], 0 offen
	v_mov_b32_e32 v132, s14
	ds_read_b32 v132, v132
	v_add_u32_e32 v130, -1, v130
	s_add_i32 s14, s14, 4
	v_cmp_eq_u32_e32 vcc, 0, v130
	v_add_u32_e32 v128, 4, v128
	s_or_b64 s[4:5], vcc, s[4:5]
	s_waitcnt vmcnt(0) lgkmcnt(0)
	v_fmac_f32_e32 v129, v131, v132
	s_andn2_b64 exec, exec, s[4:5]
	s_cbranch_execnz .LBB55_293
; %bb.294:
	s_or_b64 exec, exec, s[4:5]
.LBB55_295:
	s_or_b64 exec, exec, s[12:13]
	v_mov_b32_e32 v128, 0
	ds_read_b32 v128, v128 offset:100
	s_waitcnt lgkmcnt(0)
	v_mul_f32_e32 v128, v129, v128
	buffer_store_dword v128, off, s[0:3], 0 offset:100
.LBB55_296:
	s_or_b64 exec, exec, s[10:11]
	buffer_load_dword v128, off, s[0:3], 0 offset:96
	v_cmp_lt_u32_e64 s[4:5], 24, v0
	s_waitcnt vmcnt(0)
	ds_write_b32 v114, v128
	s_waitcnt lgkmcnt(0)
	; wave barrier
	s_waitcnt lgkmcnt(0)
	s_and_saveexec_b64 s[10:11], s[4:5]
	s_cbranch_execz .LBB55_306
; %bb.297:
	s_andn2_b64 vcc, exec, s[8:9]
	s_cbranch_vccnz .LBB55_299
; %bb.298:
	buffer_load_dword v128, v115, s[0:3], 0 offen
	ds_read_b32 v129, v114
	s_waitcnt vmcnt(0) lgkmcnt(0)
	v_mul_f32_e32 v128, v128, v129
	s_cbranch_execz .LBB55_300
	s_branch .LBB55_301
.LBB55_299:
                                        ; implicit-def: $vgpr128
.LBB55_300:
	ds_read_b32 v128, v114
.LBB55_301:
	s_and_saveexec_b64 s[12:13], s[6:7]
	s_cbranch_execz .LBB55_305
; %bb.302:
	v_mov_b32_e32 v129, 0
	v_add_u32_e32 v129, 0x64, v129
	v_subrev_u32_e32 v130, 25, v0
	s_movk_i32 s14, 0x144
	s_mov_b64 s[6:7], 0
.LBB55_303:                             ; =>This Inner Loop Header: Depth=1
	buffer_load_dword v131, v129, s[0:3], 0 offen
	v_mov_b32_e32 v132, s14
	ds_read_b32 v132, v132
	v_add_u32_e32 v130, -1, v130
	s_add_i32 s14, s14, 4
	v_cmp_eq_u32_e32 vcc, 0, v130
	v_add_u32_e32 v129, 4, v129
	s_or_b64 s[6:7], vcc, s[6:7]
	s_waitcnt vmcnt(0) lgkmcnt(0)
	v_fmac_f32_e32 v128, v131, v132
	s_andn2_b64 exec, exec, s[6:7]
	s_cbranch_execnz .LBB55_303
; %bb.304:
	s_or_b64 exec, exec, s[6:7]
.LBB55_305:
	s_or_b64 exec, exec, s[12:13]
	v_mov_b32_e32 v129, 0
	ds_read_b32 v129, v129 offset:96
	s_waitcnt lgkmcnt(0)
	v_mul_f32_e32 v128, v128, v129
	buffer_store_dword v128, off, s[0:3], 0 offset:96
.LBB55_306:
	s_or_b64 exec, exec, s[10:11]
	buffer_load_dword v128, off, s[0:3], 0 offset:92
	v_cmp_lt_u32_e64 s[6:7], 23, v0
	s_waitcnt vmcnt(0)
	ds_write_b32 v114, v128
	s_waitcnt lgkmcnt(0)
	; wave barrier
	s_waitcnt lgkmcnt(0)
	s_and_saveexec_b64 s[10:11], s[6:7]
	s_cbranch_execz .LBB55_316
; %bb.307:
	s_andn2_b64 vcc, exec, s[8:9]
	s_cbranch_vccnz .LBB55_309
; %bb.308:
	buffer_load_dword v128, v115, s[0:3], 0 offen
	ds_read_b32 v129, v114
	s_waitcnt vmcnt(0) lgkmcnt(0)
	v_mul_f32_e32 v128, v128, v129
	s_cbranch_execz .LBB55_310
	s_branch .LBB55_311
.LBB55_309:
                                        ; implicit-def: $vgpr128
.LBB55_310:
	ds_read_b32 v128, v114
.LBB55_311:
	s_and_saveexec_b64 s[12:13], s[4:5]
	s_cbranch_execz .LBB55_315
; %bb.312:
	v_subrev_u32_e32 v129, 24, v0
	s_movk_i32 s14, 0x140
	s_mov_b64 s[4:5], 0
.LBB55_313:                             ; =>This Inner Loop Header: Depth=1
	buffer_load_dword v130, v127, s[0:3], 0 offen
	v_mov_b32_e32 v131, s14
	ds_read_b32 v131, v131
	v_add_u32_e32 v129, -1, v129
	s_add_i32 s14, s14, 4
	v_cmp_eq_u32_e32 vcc, 0, v129
	v_add_u32_e32 v127, 4, v127
	s_or_b64 s[4:5], vcc, s[4:5]
	s_waitcnt vmcnt(0) lgkmcnt(0)
	v_fmac_f32_e32 v128, v130, v131
	s_andn2_b64 exec, exec, s[4:5]
	s_cbranch_execnz .LBB55_313
; %bb.314:
	s_or_b64 exec, exec, s[4:5]
.LBB55_315:
	s_or_b64 exec, exec, s[12:13]
	v_mov_b32_e32 v127, 0
	ds_read_b32 v127, v127 offset:92
	s_waitcnt lgkmcnt(0)
	v_mul_f32_e32 v127, v128, v127
	buffer_store_dword v127, off, s[0:3], 0 offset:92
.LBB55_316:
	s_or_b64 exec, exec, s[10:11]
	buffer_load_dword v127, off, s[0:3], 0 offset:88
	v_cmp_lt_u32_e64 s[4:5], 22, v0
	s_waitcnt vmcnt(0)
	ds_write_b32 v114, v127
	s_waitcnt lgkmcnt(0)
	; wave barrier
	s_waitcnt lgkmcnt(0)
	s_and_saveexec_b64 s[10:11], s[4:5]
	s_cbranch_execz .LBB55_326
; %bb.317:
	s_andn2_b64 vcc, exec, s[8:9]
	s_cbranch_vccnz .LBB55_319
; %bb.318:
	buffer_load_dword v127, v115, s[0:3], 0 offen
	ds_read_b32 v128, v114
	s_waitcnt vmcnt(0) lgkmcnt(0)
	v_mul_f32_e32 v127, v127, v128
	s_cbranch_execz .LBB55_320
	s_branch .LBB55_321
.LBB55_319:
                                        ; implicit-def: $vgpr127
.LBB55_320:
	ds_read_b32 v127, v114
.LBB55_321:
	s_and_saveexec_b64 s[12:13], s[6:7]
	s_cbranch_execz .LBB55_325
; %bb.322:
	v_mov_b32_e32 v128, 0
	v_add_u32_e32 v128, 0x5c, v128
	v_subrev_u32_e32 v129, 23, v0
	s_movk_i32 s14, 0x13c
	s_mov_b64 s[6:7], 0
.LBB55_323:                             ; =>This Inner Loop Header: Depth=1
	buffer_load_dword v130, v128, s[0:3], 0 offen
	v_mov_b32_e32 v131, s14
	ds_read_b32 v131, v131
	v_add_u32_e32 v129, -1, v129
	s_add_i32 s14, s14, 4
	v_cmp_eq_u32_e32 vcc, 0, v129
	v_add_u32_e32 v128, 4, v128
	s_or_b64 s[6:7], vcc, s[6:7]
	s_waitcnt vmcnt(0) lgkmcnt(0)
	v_fmac_f32_e32 v127, v130, v131
	s_andn2_b64 exec, exec, s[6:7]
	s_cbranch_execnz .LBB55_323
; %bb.324:
	s_or_b64 exec, exec, s[6:7]
.LBB55_325:
	s_or_b64 exec, exec, s[12:13]
	v_mov_b32_e32 v128, 0
	ds_read_b32 v128, v128 offset:88
	s_waitcnt lgkmcnt(0)
	v_mul_f32_e32 v127, v127, v128
	buffer_store_dword v127, off, s[0:3], 0 offset:88
.LBB55_326:
	s_or_b64 exec, exec, s[10:11]
	buffer_load_dword v127, off, s[0:3], 0 offset:84
	v_cmp_lt_u32_e64 s[6:7], 21, v0
	s_waitcnt vmcnt(0)
	ds_write_b32 v114, v127
	s_waitcnt lgkmcnt(0)
	; wave barrier
	s_waitcnt lgkmcnt(0)
	s_and_saveexec_b64 s[10:11], s[6:7]
	s_cbranch_execz .LBB55_336
; %bb.327:
	s_andn2_b64 vcc, exec, s[8:9]
	s_cbranch_vccnz .LBB55_329
; %bb.328:
	buffer_load_dword v127, v115, s[0:3], 0 offen
	ds_read_b32 v128, v114
	s_waitcnt vmcnt(0) lgkmcnt(0)
	v_mul_f32_e32 v127, v127, v128
	s_cbranch_execz .LBB55_330
	s_branch .LBB55_331
.LBB55_329:
                                        ; implicit-def: $vgpr127
.LBB55_330:
	ds_read_b32 v127, v114
.LBB55_331:
	s_and_saveexec_b64 s[12:13], s[4:5]
	s_cbranch_execz .LBB55_335
; %bb.332:
	v_subrev_u32_e32 v128, 22, v0
	s_movk_i32 s14, 0x138
	s_mov_b64 s[4:5], 0
.LBB55_333:                             ; =>This Inner Loop Header: Depth=1
	buffer_load_dword v129, v126, s[0:3], 0 offen
	v_mov_b32_e32 v130, s14
	ds_read_b32 v130, v130
	v_add_u32_e32 v128, -1, v128
	s_add_i32 s14, s14, 4
	v_cmp_eq_u32_e32 vcc, 0, v128
	v_add_u32_e32 v126, 4, v126
	s_or_b64 s[4:5], vcc, s[4:5]
	s_waitcnt vmcnt(0) lgkmcnt(0)
	v_fmac_f32_e32 v127, v129, v130
	s_andn2_b64 exec, exec, s[4:5]
	s_cbranch_execnz .LBB55_333
; %bb.334:
	s_or_b64 exec, exec, s[4:5]
.LBB55_335:
	s_or_b64 exec, exec, s[12:13]
	v_mov_b32_e32 v126, 0
	ds_read_b32 v126, v126 offset:84
	s_waitcnt lgkmcnt(0)
	v_mul_f32_e32 v126, v127, v126
	buffer_store_dword v126, off, s[0:3], 0 offset:84
.LBB55_336:
	s_or_b64 exec, exec, s[10:11]
	buffer_load_dword v126, off, s[0:3], 0 offset:80
	v_cmp_lt_u32_e64 s[4:5], 20, v0
	s_waitcnt vmcnt(0)
	ds_write_b32 v114, v126
	s_waitcnt lgkmcnt(0)
	; wave barrier
	s_waitcnt lgkmcnt(0)
	s_and_saveexec_b64 s[10:11], s[4:5]
	s_cbranch_execz .LBB55_346
; %bb.337:
	s_andn2_b64 vcc, exec, s[8:9]
	s_cbranch_vccnz .LBB55_339
; %bb.338:
	buffer_load_dword v126, v115, s[0:3], 0 offen
	ds_read_b32 v127, v114
	s_waitcnt vmcnt(0) lgkmcnt(0)
	v_mul_f32_e32 v126, v126, v127
	s_cbranch_execz .LBB55_340
	s_branch .LBB55_341
.LBB55_339:
                                        ; implicit-def: $vgpr126
.LBB55_340:
	ds_read_b32 v126, v114
.LBB55_341:
	s_and_saveexec_b64 s[12:13], s[6:7]
	s_cbranch_execz .LBB55_345
; %bb.342:
	v_mov_b32_e32 v127, 0
	v_add_u32_e32 v127, 0x54, v127
	v_subrev_u32_e32 v128, 21, v0
	s_movk_i32 s14, 0x134
	s_mov_b64 s[6:7], 0
.LBB55_343:                             ; =>This Inner Loop Header: Depth=1
	buffer_load_dword v129, v127, s[0:3], 0 offen
	v_mov_b32_e32 v130, s14
	ds_read_b32 v130, v130
	v_add_u32_e32 v128, -1, v128
	s_add_i32 s14, s14, 4
	v_cmp_eq_u32_e32 vcc, 0, v128
	v_add_u32_e32 v127, 4, v127
	s_or_b64 s[6:7], vcc, s[6:7]
	s_waitcnt vmcnt(0) lgkmcnt(0)
	v_fmac_f32_e32 v126, v129, v130
	s_andn2_b64 exec, exec, s[6:7]
	s_cbranch_execnz .LBB55_343
; %bb.344:
	s_or_b64 exec, exec, s[6:7]
.LBB55_345:
	s_or_b64 exec, exec, s[12:13]
	v_mov_b32_e32 v127, 0
	ds_read_b32 v127, v127 offset:80
	s_waitcnt lgkmcnt(0)
	v_mul_f32_e32 v126, v126, v127
	buffer_store_dword v126, off, s[0:3], 0 offset:80
.LBB55_346:
	s_or_b64 exec, exec, s[10:11]
	buffer_load_dword v126, off, s[0:3], 0 offset:76
	v_cmp_lt_u32_e64 s[6:7], 19, v0
	s_waitcnt vmcnt(0)
	ds_write_b32 v114, v126
	s_waitcnt lgkmcnt(0)
	; wave barrier
	s_waitcnt lgkmcnt(0)
	s_and_saveexec_b64 s[10:11], s[6:7]
	s_cbranch_execz .LBB55_356
; %bb.347:
	s_andn2_b64 vcc, exec, s[8:9]
	s_cbranch_vccnz .LBB55_349
; %bb.348:
	buffer_load_dword v126, v115, s[0:3], 0 offen
	ds_read_b32 v127, v114
	s_waitcnt vmcnt(0) lgkmcnt(0)
	v_mul_f32_e32 v126, v126, v127
	s_cbranch_execz .LBB55_350
	s_branch .LBB55_351
.LBB55_349:
                                        ; implicit-def: $vgpr126
.LBB55_350:
	ds_read_b32 v126, v114
.LBB55_351:
	s_and_saveexec_b64 s[12:13], s[4:5]
	s_cbranch_execz .LBB55_355
; %bb.352:
	v_subrev_u32_e32 v127, 20, v0
	s_movk_i32 s14, 0x130
	s_mov_b64 s[4:5], 0
.LBB55_353:                             ; =>This Inner Loop Header: Depth=1
	buffer_load_dword v128, v125, s[0:3], 0 offen
	v_mov_b32_e32 v129, s14
	ds_read_b32 v129, v129
	v_add_u32_e32 v127, -1, v127
	s_add_i32 s14, s14, 4
	v_cmp_eq_u32_e32 vcc, 0, v127
	v_add_u32_e32 v125, 4, v125
	s_or_b64 s[4:5], vcc, s[4:5]
	s_waitcnt vmcnt(0) lgkmcnt(0)
	v_fmac_f32_e32 v126, v128, v129
	s_andn2_b64 exec, exec, s[4:5]
	s_cbranch_execnz .LBB55_353
; %bb.354:
	s_or_b64 exec, exec, s[4:5]
.LBB55_355:
	s_or_b64 exec, exec, s[12:13]
	v_mov_b32_e32 v125, 0
	ds_read_b32 v125, v125 offset:76
	s_waitcnt lgkmcnt(0)
	v_mul_f32_e32 v125, v126, v125
	buffer_store_dword v125, off, s[0:3], 0 offset:76
.LBB55_356:
	s_or_b64 exec, exec, s[10:11]
	buffer_load_dword v125, off, s[0:3], 0 offset:72
	v_cmp_lt_u32_e64 s[4:5], 18, v0
	s_waitcnt vmcnt(0)
	ds_write_b32 v114, v125
	s_waitcnt lgkmcnt(0)
	; wave barrier
	s_waitcnt lgkmcnt(0)
	s_and_saveexec_b64 s[10:11], s[4:5]
	s_cbranch_execz .LBB55_366
; %bb.357:
	s_andn2_b64 vcc, exec, s[8:9]
	s_cbranch_vccnz .LBB55_359
; %bb.358:
	buffer_load_dword v125, v115, s[0:3], 0 offen
	ds_read_b32 v126, v114
	s_waitcnt vmcnt(0) lgkmcnt(0)
	v_mul_f32_e32 v125, v125, v126
	s_cbranch_execz .LBB55_360
	s_branch .LBB55_361
.LBB55_359:
                                        ; implicit-def: $vgpr125
.LBB55_360:
	ds_read_b32 v125, v114
.LBB55_361:
	s_and_saveexec_b64 s[12:13], s[6:7]
	s_cbranch_execz .LBB55_365
; %bb.362:
	v_mov_b32_e32 v126, 0
	v_add_u32_e32 v126, 0x4c, v126
	v_subrev_u32_e32 v127, 19, v0
	s_movk_i32 s14, 0x12c
	s_mov_b64 s[6:7], 0
.LBB55_363:                             ; =>This Inner Loop Header: Depth=1
	buffer_load_dword v128, v126, s[0:3], 0 offen
	v_mov_b32_e32 v129, s14
	ds_read_b32 v129, v129
	v_add_u32_e32 v127, -1, v127
	s_add_i32 s14, s14, 4
	v_cmp_eq_u32_e32 vcc, 0, v127
	v_add_u32_e32 v126, 4, v126
	s_or_b64 s[6:7], vcc, s[6:7]
	s_waitcnt vmcnt(0) lgkmcnt(0)
	v_fmac_f32_e32 v125, v128, v129
	s_andn2_b64 exec, exec, s[6:7]
	s_cbranch_execnz .LBB55_363
; %bb.364:
	s_or_b64 exec, exec, s[6:7]
.LBB55_365:
	s_or_b64 exec, exec, s[12:13]
	v_mov_b32_e32 v126, 0
	ds_read_b32 v126, v126 offset:72
	s_waitcnt lgkmcnt(0)
	v_mul_f32_e32 v125, v125, v126
	buffer_store_dword v125, off, s[0:3], 0 offset:72
.LBB55_366:
	s_or_b64 exec, exec, s[10:11]
	buffer_load_dword v125, off, s[0:3], 0 offset:68
	v_cmp_lt_u32_e64 s[6:7], 17, v0
	s_waitcnt vmcnt(0)
	ds_write_b32 v114, v125
	s_waitcnt lgkmcnt(0)
	; wave barrier
	s_waitcnt lgkmcnt(0)
	s_and_saveexec_b64 s[10:11], s[6:7]
	s_cbranch_execz .LBB55_376
; %bb.367:
	s_andn2_b64 vcc, exec, s[8:9]
	s_cbranch_vccnz .LBB55_369
; %bb.368:
	buffer_load_dword v125, v115, s[0:3], 0 offen
	ds_read_b32 v126, v114
	s_waitcnt vmcnt(0) lgkmcnt(0)
	v_mul_f32_e32 v125, v125, v126
	s_cbranch_execz .LBB55_370
	s_branch .LBB55_371
.LBB55_369:
                                        ; implicit-def: $vgpr125
.LBB55_370:
	ds_read_b32 v125, v114
.LBB55_371:
	s_and_saveexec_b64 s[12:13], s[4:5]
	s_cbranch_execz .LBB55_375
; %bb.372:
	v_subrev_u32_e32 v126, 18, v0
	s_movk_i32 s14, 0x128
	s_mov_b64 s[4:5], 0
.LBB55_373:                             ; =>This Inner Loop Header: Depth=1
	buffer_load_dword v127, v124, s[0:3], 0 offen
	v_mov_b32_e32 v128, s14
	ds_read_b32 v128, v128
	v_add_u32_e32 v126, -1, v126
	s_add_i32 s14, s14, 4
	v_cmp_eq_u32_e32 vcc, 0, v126
	v_add_u32_e32 v124, 4, v124
	s_or_b64 s[4:5], vcc, s[4:5]
	s_waitcnt vmcnt(0) lgkmcnt(0)
	v_fmac_f32_e32 v125, v127, v128
	s_andn2_b64 exec, exec, s[4:5]
	s_cbranch_execnz .LBB55_373
; %bb.374:
	s_or_b64 exec, exec, s[4:5]
.LBB55_375:
	s_or_b64 exec, exec, s[12:13]
	v_mov_b32_e32 v124, 0
	ds_read_b32 v124, v124 offset:68
	s_waitcnt lgkmcnt(0)
	v_mul_f32_e32 v124, v125, v124
	buffer_store_dword v124, off, s[0:3], 0 offset:68
.LBB55_376:
	s_or_b64 exec, exec, s[10:11]
	buffer_load_dword v124, off, s[0:3], 0 offset:64
	v_cmp_lt_u32_e64 s[4:5], 16, v0
	s_waitcnt vmcnt(0)
	ds_write_b32 v114, v124
	s_waitcnt lgkmcnt(0)
	; wave barrier
	s_waitcnt lgkmcnt(0)
	s_and_saveexec_b64 s[10:11], s[4:5]
	s_cbranch_execz .LBB55_386
; %bb.377:
	s_andn2_b64 vcc, exec, s[8:9]
	s_cbranch_vccnz .LBB55_379
; %bb.378:
	buffer_load_dword v124, v115, s[0:3], 0 offen
	ds_read_b32 v125, v114
	s_waitcnt vmcnt(0) lgkmcnt(0)
	v_mul_f32_e32 v124, v124, v125
	s_cbranch_execz .LBB55_380
	s_branch .LBB55_381
.LBB55_379:
                                        ; implicit-def: $vgpr124
.LBB55_380:
	ds_read_b32 v124, v114
.LBB55_381:
	s_and_saveexec_b64 s[12:13], s[6:7]
	s_cbranch_execz .LBB55_385
; %bb.382:
	v_mov_b32_e32 v125, 0
	v_add_u32_e32 v125, 0x44, v125
	v_subrev_u32_e32 v126, 17, v0
	s_movk_i32 s14, 0x124
	s_mov_b64 s[6:7], 0
.LBB55_383:                             ; =>This Inner Loop Header: Depth=1
	buffer_load_dword v127, v125, s[0:3], 0 offen
	v_mov_b32_e32 v128, s14
	ds_read_b32 v128, v128
	v_add_u32_e32 v126, -1, v126
	s_add_i32 s14, s14, 4
	v_cmp_eq_u32_e32 vcc, 0, v126
	v_add_u32_e32 v125, 4, v125
	s_or_b64 s[6:7], vcc, s[6:7]
	s_waitcnt vmcnt(0) lgkmcnt(0)
	v_fmac_f32_e32 v124, v127, v128
	s_andn2_b64 exec, exec, s[6:7]
	s_cbranch_execnz .LBB55_383
; %bb.384:
	s_or_b64 exec, exec, s[6:7]
.LBB55_385:
	s_or_b64 exec, exec, s[12:13]
	v_mov_b32_e32 v125, 0
	ds_read_b32 v125, v125 offset:64
	s_waitcnt lgkmcnt(0)
	v_mul_f32_e32 v124, v124, v125
	buffer_store_dword v124, off, s[0:3], 0 offset:64
.LBB55_386:
	s_or_b64 exec, exec, s[10:11]
	buffer_load_dword v124, off, s[0:3], 0 offset:60
	v_cmp_lt_u32_e64 s[6:7], 15, v0
	s_waitcnt vmcnt(0)
	ds_write_b32 v114, v124
	s_waitcnt lgkmcnt(0)
	; wave barrier
	s_waitcnt lgkmcnt(0)
	s_and_saveexec_b64 s[10:11], s[6:7]
	s_cbranch_execz .LBB55_396
; %bb.387:
	s_andn2_b64 vcc, exec, s[8:9]
	s_cbranch_vccnz .LBB55_389
; %bb.388:
	buffer_load_dword v124, v115, s[0:3], 0 offen
	ds_read_b32 v125, v114
	s_waitcnt vmcnt(0) lgkmcnt(0)
	v_mul_f32_e32 v124, v124, v125
	s_cbranch_execz .LBB55_390
	s_branch .LBB55_391
.LBB55_389:
                                        ; implicit-def: $vgpr124
.LBB55_390:
	ds_read_b32 v124, v114
.LBB55_391:
	s_and_saveexec_b64 s[12:13], s[4:5]
	s_cbranch_execz .LBB55_395
; %bb.392:
	v_add_u32_e32 v125, -16, v0
	s_movk_i32 s14, 0x120
	s_mov_b64 s[4:5], 0
.LBB55_393:                             ; =>This Inner Loop Header: Depth=1
	buffer_load_dword v126, v123, s[0:3], 0 offen
	v_mov_b32_e32 v127, s14
	ds_read_b32 v127, v127
	v_add_u32_e32 v125, -1, v125
	s_add_i32 s14, s14, 4
	v_cmp_eq_u32_e32 vcc, 0, v125
	v_add_u32_e32 v123, 4, v123
	s_or_b64 s[4:5], vcc, s[4:5]
	s_waitcnt vmcnt(0) lgkmcnt(0)
	v_fmac_f32_e32 v124, v126, v127
	s_andn2_b64 exec, exec, s[4:5]
	s_cbranch_execnz .LBB55_393
; %bb.394:
	s_or_b64 exec, exec, s[4:5]
.LBB55_395:
	s_or_b64 exec, exec, s[12:13]
	v_mov_b32_e32 v123, 0
	ds_read_b32 v123, v123 offset:60
	s_waitcnt lgkmcnt(0)
	v_mul_f32_e32 v123, v124, v123
	buffer_store_dword v123, off, s[0:3], 0 offset:60
.LBB55_396:
	s_or_b64 exec, exec, s[10:11]
	buffer_load_dword v123, off, s[0:3], 0 offset:56
	v_cmp_lt_u32_e64 s[4:5], 14, v0
	s_waitcnt vmcnt(0)
	ds_write_b32 v114, v123
	s_waitcnt lgkmcnt(0)
	; wave barrier
	s_waitcnt lgkmcnt(0)
	s_and_saveexec_b64 s[10:11], s[4:5]
	s_cbranch_execz .LBB55_406
; %bb.397:
	s_andn2_b64 vcc, exec, s[8:9]
	s_cbranch_vccnz .LBB55_399
; %bb.398:
	buffer_load_dword v123, v115, s[0:3], 0 offen
	ds_read_b32 v124, v114
	s_waitcnt vmcnt(0) lgkmcnt(0)
	v_mul_f32_e32 v123, v123, v124
	s_cbranch_execz .LBB55_400
	s_branch .LBB55_401
.LBB55_399:
                                        ; implicit-def: $vgpr123
.LBB55_400:
	ds_read_b32 v123, v114
.LBB55_401:
	s_and_saveexec_b64 s[12:13], s[6:7]
	s_cbranch_execz .LBB55_405
; %bb.402:
	v_mov_b32_e32 v124, 0
	v_add_u32_e32 v124, 60, v124
	v_add_u32_e32 v125, -15, v0
	s_movk_i32 s14, 0x11c
	s_mov_b64 s[6:7], 0
.LBB55_403:                             ; =>This Inner Loop Header: Depth=1
	buffer_load_dword v126, v124, s[0:3], 0 offen
	v_mov_b32_e32 v127, s14
	ds_read_b32 v127, v127
	v_add_u32_e32 v125, -1, v125
	s_add_i32 s14, s14, 4
	v_cmp_eq_u32_e32 vcc, 0, v125
	v_add_u32_e32 v124, 4, v124
	s_or_b64 s[6:7], vcc, s[6:7]
	s_waitcnt vmcnt(0) lgkmcnt(0)
	v_fmac_f32_e32 v123, v126, v127
	s_andn2_b64 exec, exec, s[6:7]
	s_cbranch_execnz .LBB55_403
; %bb.404:
	s_or_b64 exec, exec, s[6:7]
.LBB55_405:
	s_or_b64 exec, exec, s[12:13]
	v_mov_b32_e32 v124, 0
	ds_read_b32 v124, v124 offset:56
	s_waitcnt lgkmcnt(0)
	v_mul_f32_e32 v123, v123, v124
	buffer_store_dword v123, off, s[0:3], 0 offset:56
.LBB55_406:
	s_or_b64 exec, exec, s[10:11]
	buffer_load_dword v123, off, s[0:3], 0 offset:52
	v_cmp_lt_u32_e64 s[6:7], 13, v0
	s_waitcnt vmcnt(0)
	ds_write_b32 v114, v123
	s_waitcnt lgkmcnt(0)
	; wave barrier
	s_waitcnt lgkmcnt(0)
	s_and_saveexec_b64 s[10:11], s[6:7]
	s_cbranch_execz .LBB55_416
; %bb.407:
	s_andn2_b64 vcc, exec, s[8:9]
	s_cbranch_vccnz .LBB55_409
; %bb.408:
	buffer_load_dword v123, v115, s[0:3], 0 offen
	ds_read_b32 v124, v114
	s_waitcnt vmcnt(0) lgkmcnt(0)
	v_mul_f32_e32 v123, v123, v124
	s_cbranch_execz .LBB55_410
	s_branch .LBB55_411
.LBB55_409:
                                        ; implicit-def: $vgpr123
.LBB55_410:
	ds_read_b32 v123, v114
.LBB55_411:
	s_and_saveexec_b64 s[12:13], s[4:5]
	s_cbranch_execz .LBB55_415
; %bb.412:
	v_add_u32_e32 v124, -14, v0
	s_movk_i32 s14, 0x118
	s_mov_b64 s[4:5], 0
.LBB55_413:                             ; =>This Inner Loop Header: Depth=1
	buffer_load_dword v125, v122, s[0:3], 0 offen
	v_mov_b32_e32 v126, s14
	ds_read_b32 v126, v126
	v_add_u32_e32 v124, -1, v124
	s_add_i32 s14, s14, 4
	v_cmp_eq_u32_e32 vcc, 0, v124
	v_add_u32_e32 v122, 4, v122
	s_or_b64 s[4:5], vcc, s[4:5]
	s_waitcnt vmcnt(0) lgkmcnt(0)
	v_fmac_f32_e32 v123, v125, v126
	s_andn2_b64 exec, exec, s[4:5]
	s_cbranch_execnz .LBB55_413
; %bb.414:
	s_or_b64 exec, exec, s[4:5]
.LBB55_415:
	s_or_b64 exec, exec, s[12:13]
	v_mov_b32_e32 v122, 0
	ds_read_b32 v122, v122 offset:52
	s_waitcnt lgkmcnt(0)
	v_mul_f32_e32 v122, v123, v122
	buffer_store_dword v122, off, s[0:3], 0 offset:52
.LBB55_416:
	s_or_b64 exec, exec, s[10:11]
	buffer_load_dword v122, off, s[0:3], 0 offset:48
	v_cmp_lt_u32_e64 s[4:5], 12, v0
	s_waitcnt vmcnt(0)
	ds_write_b32 v114, v122
	s_waitcnt lgkmcnt(0)
	; wave barrier
	s_waitcnt lgkmcnt(0)
	s_and_saveexec_b64 s[10:11], s[4:5]
	s_cbranch_execz .LBB55_426
; %bb.417:
	s_andn2_b64 vcc, exec, s[8:9]
	s_cbranch_vccnz .LBB55_419
; %bb.418:
	buffer_load_dword v122, v115, s[0:3], 0 offen
	ds_read_b32 v123, v114
	s_waitcnt vmcnt(0) lgkmcnt(0)
	v_mul_f32_e32 v122, v122, v123
	s_cbranch_execz .LBB55_420
	s_branch .LBB55_421
.LBB55_419:
                                        ; implicit-def: $vgpr122
.LBB55_420:
	ds_read_b32 v122, v114
.LBB55_421:
	s_and_saveexec_b64 s[12:13], s[6:7]
	s_cbranch_execz .LBB55_425
; %bb.422:
	v_mov_b32_e32 v123, 0
	v_add_u32_e32 v123, 52, v123
	v_add_u32_e32 v124, -13, v0
	s_movk_i32 s14, 0x114
	s_mov_b64 s[6:7], 0
.LBB55_423:                             ; =>This Inner Loop Header: Depth=1
	buffer_load_dword v125, v123, s[0:3], 0 offen
	v_mov_b32_e32 v126, s14
	ds_read_b32 v126, v126
	v_add_u32_e32 v124, -1, v124
	s_add_i32 s14, s14, 4
	v_cmp_eq_u32_e32 vcc, 0, v124
	v_add_u32_e32 v123, 4, v123
	s_or_b64 s[6:7], vcc, s[6:7]
	s_waitcnt vmcnt(0) lgkmcnt(0)
	v_fmac_f32_e32 v122, v125, v126
	s_andn2_b64 exec, exec, s[6:7]
	s_cbranch_execnz .LBB55_423
; %bb.424:
	s_or_b64 exec, exec, s[6:7]
.LBB55_425:
	s_or_b64 exec, exec, s[12:13]
	v_mov_b32_e32 v123, 0
	ds_read_b32 v123, v123 offset:48
	s_waitcnt lgkmcnt(0)
	v_mul_f32_e32 v122, v122, v123
	buffer_store_dword v122, off, s[0:3], 0 offset:48
.LBB55_426:
	s_or_b64 exec, exec, s[10:11]
	buffer_load_dword v122, off, s[0:3], 0 offset:44
	v_cmp_lt_u32_e64 s[6:7], 11, v0
	s_waitcnt vmcnt(0)
	ds_write_b32 v114, v122
	s_waitcnt lgkmcnt(0)
	; wave barrier
	s_waitcnt lgkmcnt(0)
	s_and_saveexec_b64 s[10:11], s[6:7]
	s_cbranch_execz .LBB55_436
; %bb.427:
	s_andn2_b64 vcc, exec, s[8:9]
	s_cbranch_vccnz .LBB55_429
; %bb.428:
	buffer_load_dword v122, v115, s[0:3], 0 offen
	ds_read_b32 v123, v114
	s_waitcnt vmcnt(0) lgkmcnt(0)
	v_mul_f32_e32 v122, v122, v123
	s_cbranch_execz .LBB55_430
	s_branch .LBB55_431
.LBB55_429:
                                        ; implicit-def: $vgpr122
.LBB55_430:
	ds_read_b32 v122, v114
.LBB55_431:
	s_and_saveexec_b64 s[12:13], s[4:5]
	s_cbranch_execz .LBB55_435
; %bb.432:
	v_add_u32_e32 v123, -12, v0
	s_movk_i32 s14, 0x110
	s_mov_b64 s[4:5], 0
.LBB55_433:                             ; =>This Inner Loop Header: Depth=1
	buffer_load_dword v124, v121, s[0:3], 0 offen
	v_mov_b32_e32 v125, s14
	ds_read_b32 v125, v125
	v_add_u32_e32 v123, -1, v123
	s_add_i32 s14, s14, 4
	v_cmp_eq_u32_e32 vcc, 0, v123
	v_add_u32_e32 v121, 4, v121
	s_or_b64 s[4:5], vcc, s[4:5]
	s_waitcnt vmcnt(0) lgkmcnt(0)
	v_fmac_f32_e32 v122, v124, v125
	s_andn2_b64 exec, exec, s[4:5]
	s_cbranch_execnz .LBB55_433
; %bb.434:
	s_or_b64 exec, exec, s[4:5]
.LBB55_435:
	s_or_b64 exec, exec, s[12:13]
	v_mov_b32_e32 v121, 0
	ds_read_b32 v121, v121 offset:44
	s_waitcnt lgkmcnt(0)
	v_mul_f32_e32 v121, v122, v121
	buffer_store_dword v121, off, s[0:3], 0 offset:44
.LBB55_436:
	s_or_b64 exec, exec, s[10:11]
	buffer_load_dword v121, off, s[0:3], 0 offset:40
	v_cmp_lt_u32_e64 s[4:5], 10, v0
	s_waitcnt vmcnt(0)
	ds_write_b32 v114, v121
	s_waitcnt lgkmcnt(0)
	; wave barrier
	s_waitcnt lgkmcnt(0)
	s_and_saveexec_b64 s[10:11], s[4:5]
	s_cbranch_execz .LBB55_446
; %bb.437:
	s_andn2_b64 vcc, exec, s[8:9]
	s_cbranch_vccnz .LBB55_439
; %bb.438:
	buffer_load_dword v121, v115, s[0:3], 0 offen
	ds_read_b32 v122, v114
	s_waitcnt vmcnt(0) lgkmcnt(0)
	v_mul_f32_e32 v121, v121, v122
	s_cbranch_execz .LBB55_440
	s_branch .LBB55_441
.LBB55_439:
                                        ; implicit-def: $vgpr121
.LBB55_440:
	ds_read_b32 v121, v114
.LBB55_441:
	s_and_saveexec_b64 s[12:13], s[6:7]
	s_cbranch_execz .LBB55_445
; %bb.442:
	v_mov_b32_e32 v122, 0
	v_add_u32_e32 v122, 44, v122
	v_add_u32_e32 v123, -11, v0
	s_movk_i32 s14, 0x10c
	s_mov_b64 s[6:7], 0
.LBB55_443:                             ; =>This Inner Loop Header: Depth=1
	buffer_load_dword v124, v122, s[0:3], 0 offen
	v_mov_b32_e32 v125, s14
	ds_read_b32 v125, v125
	v_add_u32_e32 v123, -1, v123
	s_add_i32 s14, s14, 4
	v_cmp_eq_u32_e32 vcc, 0, v123
	v_add_u32_e32 v122, 4, v122
	s_or_b64 s[6:7], vcc, s[6:7]
	s_waitcnt vmcnt(0) lgkmcnt(0)
	v_fmac_f32_e32 v121, v124, v125
	s_andn2_b64 exec, exec, s[6:7]
	s_cbranch_execnz .LBB55_443
; %bb.444:
	s_or_b64 exec, exec, s[6:7]
.LBB55_445:
	s_or_b64 exec, exec, s[12:13]
	v_mov_b32_e32 v122, 0
	ds_read_b32 v122, v122 offset:40
	s_waitcnt lgkmcnt(0)
	v_mul_f32_e32 v121, v121, v122
	buffer_store_dword v121, off, s[0:3], 0 offset:40
.LBB55_446:
	s_or_b64 exec, exec, s[10:11]
	buffer_load_dword v121, off, s[0:3], 0 offset:36
	v_cmp_lt_u32_e64 s[6:7], 9, v0
	s_waitcnt vmcnt(0)
	ds_write_b32 v114, v121
	s_waitcnt lgkmcnt(0)
	; wave barrier
	s_waitcnt lgkmcnt(0)
	s_and_saveexec_b64 s[10:11], s[6:7]
	s_cbranch_execz .LBB55_456
; %bb.447:
	s_andn2_b64 vcc, exec, s[8:9]
	s_cbranch_vccnz .LBB55_449
; %bb.448:
	buffer_load_dword v121, v115, s[0:3], 0 offen
	ds_read_b32 v122, v114
	s_waitcnt vmcnt(0) lgkmcnt(0)
	v_mul_f32_e32 v121, v121, v122
	s_cbranch_execz .LBB55_450
	s_branch .LBB55_451
.LBB55_449:
                                        ; implicit-def: $vgpr121
.LBB55_450:
	ds_read_b32 v121, v114
.LBB55_451:
	s_and_saveexec_b64 s[12:13], s[4:5]
	s_cbranch_execz .LBB55_455
; %bb.452:
	v_add_u32_e32 v122, -10, v0
	s_movk_i32 s14, 0x108
	s_mov_b64 s[4:5], 0
.LBB55_453:                             ; =>This Inner Loop Header: Depth=1
	buffer_load_dword v123, v120, s[0:3], 0 offen
	v_mov_b32_e32 v124, s14
	ds_read_b32 v124, v124
	v_add_u32_e32 v122, -1, v122
	s_add_i32 s14, s14, 4
	v_cmp_eq_u32_e32 vcc, 0, v122
	v_add_u32_e32 v120, 4, v120
	s_or_b64 s[4:5], vcc, s[4:5]
	s_waitcnt vmcnt(0) lgkmcnt(0)
	v_fmac_f32_e32 v121, v123, v124
	s_andn2_b64 exec, exec, s[4:5]
	s_cbranch_execnz .LBB55_453
; %bb.454:
	s_or_b64 exec, exec, s[4:5]
.LBB55_455:
	s_or_b64 exec, exec, s[12:13]
	v_mov_b32_e32 v120, 0
	ds_read_b32 v120, v120 offset:36
	s_waitcnt lgkmcnt(0)
	v_mul_f32_e32 v120, v121, v120
	buffer_store_dword v120, off, s[0:3], 0 offset:36
.LBB55_456:
	s_or_b64 exec, exec, s[10:11]
	buffer_load_dword v120, off, s[0:3], 0 offset:32
	v_cmp_lt_u32_e64 s[4:5], 8, v0
	s_waitcnt vmcnt(0)
	ds_write_b32 v114, v120
	s_waitcnt lgkmcnt(0)
	; wave barrier
	s_waitcnt lgkmcnt(0)
	s_and_saveexec_b64 s[10:11], s[4:5]
	s_cbranch_execz .LBB55_466
; %bb.457:
	s_andn2_b64 vcc, exec, s[8:9]
	s_cbranch_vccnz .LBB55_459
; %bb.458:
	buffer_load_dword v120, v115, s[0:3], 0 offen
	ds_read_b32 v121, v114
	s_waitcnt vmcnt(0) lgkmcnt(0)
	v_mul_f32_e32 v120, v120, v121
	s_cbranch_execz .LBB55_460
	s_branch .LBB55_461
.LBB55_459:
                                        ; implicit-def: $vgpr120
.LBB55_460:
	ds_read_b32 v120, v114
.LBB55_461:
	s_and_saveexec_b64 s[12:13], s[6:7]
	s_cbranch_execz .LBB55_465
; %bb.462:
	v_mov_b32_e32 v121, 0
	v_add_u32_e32 v121, 36, v121
	v_add_u32_e32 v122, -9, v0
	s_movk_i32 s14, 0x104
	s_mov_b64 s[6:7], 0
.LBB55_463:                             ; =>This Inner Loop Header: Depth=1
	buffer_load_dword v123, v121, s[0:3], 0 offen
	v_mov_b32_e32 v124, s14
	ds_read_b32 v124, v124
	v_add_u32_e32 v122, -1, v122
	s_add_i32 s14, s14, 4
	v_cmp_eq_u32_e32 vcc, 0, v122
	v_add_u32_e32 v121, 4, v121
	s_or_b64 s[6:7], vcc, s[6:7]
	s_waitcnt vmcnt(0) lgkmcnt(0)
	v_fmac_f32_e32 v120, v123, v124
	s_andn2_b64 exec, exec, s[6:7]
	s_cbranch_execnz .LBB55_463
; %bb.464:
	s_or_b64 exec, exec, s[6:7]
.LBB55_465:
	s_or_b64 exec, exec, s[12:13]
	v_mov_b32_e32 v121, 0
	ds_read_b32 v121, v121 offset:32
	s_waitcnt lgkmcnt(0)
	v_mul_f32_e32 v120, v120, v121
	buffer_store_dword v120, off, s[0:3], 0 offset:32
.LBB55_466:
	s_or_b64 exec, exec, s[10:11]
	buffer_load_dword v120, off, s[0:3], 0 offset:28
	v_cmp_lt_u32_e64 s[6:7], 7, v0
	s_waitcnt vmcnt(0)
	ds_write_b32 v114, v120
	s_waitcnt lgkmcnt(0)
	; wave barrier
	s_waitcnt lgkmcnt(0)
	s_and_saveexec_b64 s[10:11], s[6:7]
	s_cbranch_execz .LBB55_476
; %bb.467:
	s_andn2_b64 vcc, exec, s[8:9]
	s_cbranch_vccnz .LBB55_469
; %bb.468:
	buffer_load_dword v120, v115, s[0:3], 0 offen
	ds_read_b32 v121, v114
	s_waitcnt vmcnt(0) lgkmcnt(0)
	v_mul_f32_e32 v120, v120, v121
	s_cbranch_execz .LBB55_470
	s_branch .LBB55_471
.LBB55_469:
                                        ; implicit-def: $vgpr120
.LBB55_470:
	ds_read_b32 v120, v114
.LBB55_471:
	s_and_saveexec_b64 s[12:13], s[4:5]
	s_cbranch_execz .LBB55_475
; %bb.472:
	v_add_u32_e32 v121, -8, v0
	s_movk_i32 s14, 0x100
	s_mov_b64 s[4:5], 0
.LBB55_473:                             ; =>This Inner Loop Header: Depth=1
	buffer_load_dword v122, v119, s[0:3], 0 offen
	v_mov_b32_e32 v123, s14
	ds_read_b32 v123, v123
	v_add_u32_e32 v121, -1, v121
	s_add_i32 s14, s14, 4
	v_cmp_eq_u32_e32 vcc, 0, v121
	v_add_u32_e32 v119, 4, v119
	s_or_b64 s[4:5], vcc, s[4:5]
	s_waitcnt vmcnt(0) lgkmcnt(0)
	v_fmac_f32_e32 v120, v122, v123
	s_andn2_b64 exec, exec, s[4:5]
	s_cbranch_execnz .LBB55_473
; %bb.474:
	s_or_b64 exec, exec, s[4:5]
.LBB55_475:
	s_or_b64 exec, exec, s[12:13]
	v_mov_b32_e32 v119, 0
	ds_read_b32 v119, v119 offset:28
	s_waitcnt lgkmcnt(0)
	v_mul_f32_e32 v119, v120, v119
	buffer_store_dword v119, off, s[0:3], 0 offset:28
.LBB55_476:
	s_or_b64 exec, exec, s[10:11]
	buffer_load_dword v119, off, s[0:3], 0 offset:24
	v_cmp_lt_u32_e64 s[4:5], 6, v0
	s_waitcnt vmcnt(0)
	ds_write_b32 v114, v119
	s_waitcnt lgkmcnt(0)
	; wave barrier
	s_waitcnt lgkmcnt(0)
	s_and_saveexec_b64 s[10:11], s[4:5]
	s_cbranch_execz .LBB55_486
; %bb.477:
	s_andn2_b64 vcc, exec, s[8:9]
	s_cbranch_vccnz .LBB55_479
; %bb.478:
	buffer_load_dword v119, v115, s[0:3], 0 offen
	ds_read_b32 v120, v114
	s_waitcnt vmcnt(0) lgkmcnt(0)
	v_mul_f32_e32 v119, v119, v120
	s_cbranch_execz .LBB55_480
	s_branch .LBB55_481
.LBB55_479:
                                        ; implicit-def: $vgpr119
.LBB55_480:
	ds_read_b32 v119, v114
.LBB55_481:
	s_and_saveexec_b64 s[12:13], s[6:7]
	s_cbranch_execz .LBB55_485
; %bb.482:
	v_mov_b32_e32 v120, 0
	v_add_u32_e32 v120, 28, v120
	v_add_u32_e32 v121, -7, v0
	s_movk_i32 s14, 0xfc
	s_mov_b64 s[6:7], 0
.LBB55_483:                             ; =>This Inner Loop Header: Depth=1
	buffer_load_dword v122, v120, s[0:3], 0 offen
	v_mov_b32_e32 v123, s14
	ds_read_b32 v123, v123
	v_add_u32_e32 v121, -1, v121
	s_add_i32 s14, s14, 4
	v_cmp_eq_u32_e32 vcc, 0, v121
	v_add_u32_e32 v120, 4, v120
	s_or_b64 s[6:7], vcc, s[6:7]
	s_waitcnt vmcnt(0) lgkmcnt(0)
	v_fmac_f32_e32 v119, v122, v123
	s_andn2_b64 exec, exec, s[6:7]
	s_cbranch_execnz .LBB55_483
; %bb.484:
	s_or_b64 exec, exec, s[6:7]
.LBB55_485:
	s_or_b64 exec, exec, s[12:13]
	v_mov_b32_e32 v120, 0
	ds_read_b32 v120, v120 offset:24
	s_waitcnt lgkmcnt(0)
	v_mul_f32_e32 v119, v119, v120
	buffer_store_dword v119, off, s[0:3], 0 offset:24
.LBB55_486:
	s_or_b64 exec, exec, s[10:11]
	buffer_load_dword v119, off, s[0:3], 0 offset:20
	v_cmp_lt_u32_e64 s[6:7], 5, v0
	s_waitcnt vmcnt(0)
	ds_write_b32 v114, v119
	s_waitcnt lgkmcnt(0)
	; wave barrier
	s_waitcnt lgkmcnt(0)
	s_and_saveexec_b64 s[10:11], s[6:7]
	s_cbranch_execz .LBB55_496
; %bb.487:
	s_andn2_b64 vcc, exec, s[8:9]
	s_cbranch_vccnz .LBB55_489
; %bb.488:
	buffer_load_dword v119, v115, s[0:3], 0 offen
	ds_read_b32 v120, v114
	s_waitcnt vmcnt(0) lgkmcnt(0)
	v_mul_f32_e32 v119, v119, v120
	s_cbranch_execz .LBB55_490
	s_branch .LBB55_491
.LBB55_489:
                                        ; implicit-def: $vgpr119
.LBB55_490:
	ds_read_b32 v119, v114
.LBB55_491:
	s_and_saveexec_b64 s[12:13], s[4:5]
	s_cbranch_execz .LBB55_495
; %bb.492:
	v_add_u32_e32 v120, -6, v0
	s_movk_i32 s14, 0xf8
	s_mov_b64 s[4:5], 0
.LBB55_493:                             ; =>This Inner Loop Header: Depth=1
	buffer_load_dword v121, v118, s[0:3], 0 offen
	v_mov_b32_e32 v122, s14
	ds_read_b32 v122, v122
	v_add_u32_e32 v120, -1, v120
	s_add_i32 s14, s14, 4
	v_cmp_eq_u32_e32 vcc, 0, v120
	v_add_u32_e32 v118, 4, v118
	s_or_b64 s[4:5], vcc, s[4:5]
	s_waitcnt vmcnt(0) lgkmcnt(0)
	v_fmac_f32_e32 v119, v121, v122
	s_andn2_b64 exec, exec, s[4:5]
	s_cbranch_execnz .LBB55_493
; %bb.494:
	s_or_b64 exec, exec, s[4:5]
.LBB55_495:
	s_or_b64 exec, exec, s[12:13]
	v_mov_b32_e32 v118, 0
	ds_read_b32 v118, v118 offset:20
	s_waitcnt lgkmcnt(0)
	v_mul_f32_e32 v118, v119, v118
	buffer_store_dword v118, off, s[0:3], 0 offset:20
.LBB55_496:
	s_or_b64 exec, exec, s[10:11]
	buffer_load_dword v118, off, s[0:3], 0 offset:16
	v_cmp_lt_u32_e64 s[4:5], 4, v0
	s_waitcnt vmcnt(0)
	ds_write_b32 v114, v118
	s_waitcnt lgkmcnt(0)
	; wave barrier
	s_waitcnt lgkmcnt(0)
	s_and_saveexec_b64 s[10:11], s[4:5]
	s_cbranch_execz .LBB55_506
; %bb.497:
	s_andn2_b64 vcc, exec, s[8:9]
	s_cbranch_vccnz .LBB55_499
; %bb.498:
	buffer_load_dword v118, v115, s[0:3], 0 offen
	ds_read_b32 v119, v114
	s_waitcnt vmcnt(0) lgkmcnt(0)
	v_mul_f32_e32 v118, v118, v119
	s_cbranch_execz .LBB55_500
	s_branch .LBB55_501
.LBB55_499:
                                        ; implicit-def: $vgpr118
.LBB55_500:
	ds_read_b32 v118, v114
.LBB55_501:
	s_and_saveexec_b64 s[12:13], s[6:7]
	s_cbranch_execz .LBB55_505
; %bb.502:
	v_mov_b32_e32 v119, 0
	v_add_u32_e32 v119, 20, v119
	v_add_u32_e32 v120, -5, v0
	s_movk_i32 s14, 0xf4
	s_mov_b64 s[6:7], 0
.LBB55_503:                             ; =>This Inner Loop Header: Depth=1
	buffer_load_dword v121, v119, s[0:3], 0 offen
	v_mov_b32_e32 v122, s14
	ds_read_b32 v122, v122
	v_add_u32_e32 v120, -1, v120
	s_add_i32 s14, s14, 4
	v_cmp_eq_u32_e32 vcc, 0, v120
	v_add_u32_e32 v119, 4, v119
	s_or_b64 s[6:7], vcc, s[6:7]
	s_waitcnt vmcnt(0) lgkmcnt(0)
	v_fmac_f32_e32 v118, v121, v122
	s_andn2_b64 exec, exec, s[6:7]
	s_cbranch_execnz .LBB55_503
; %bb.504:
	s_or_b64 exec, exec, s[6:7]
.LBB55_505:
	s_or_b64 exec, exec, s[12:13]
	v_mov_b32_e32 v119, 0
	ds_read_b32 v119, v119 offset:16
	s_waitcnt lgkmcnt(0)
	v_mul_f32_e32 v118, v118, v119
	buffer_store_dword v118, off, s[0:3], 0 offset:16
.LBB55_506:
	s_or_b64 exec, exec, s[10:11]
	buffer_load_dword v118, off, s[0:3], 0 offset:12
	v_cmp_lt_u32_e64 s[6:7], 3, v0
	s_waitcnt vmcnt(0)
	ds_write_b32 v114, v118
	s_waitcnt lgkmcnt(0)
	; wave barrier
	s_waitcnt lgkmcnt(0)
	s_and_saveexec_b64 s[10:11], s[6:7]
	s_cbranch_execz .LBB55_516
; %bb.507:
	s_andn2_b64 vcc, exec, s[8:9]
	s_cbranch_vccnz .LBB55_509
; %bb.508:
	buffer_load_dword v118, v115, s[0:3], 0 offen
	ds_read_b32 v119, v114
	s_waitcnt vmcnt(0) lgkmcnt(0)
	v_mul_f32_e32 v118, v118, v119
	s_cbranch_execz .LBB55_510
	s_branch .LBB55_511
.LBB55_509:
                                        ; implicit-def: $vgpr118
.LBB55_510:
	ds_read_b32 v118, v114
.LBB55_511:
	s_and_saveexec_b64 s[12:13], s[4:5]
	s_cbranch_execz .LBB55_515
; %bb.512:
	v_add_u32_e32 v119, -4, v0
	s_movk_i32 s14, 0xf0
	s_mov_b64 s[4:5], 0
.LBB55_513:                             ; =>This Inner Loop Header: Depth=1
	buffer_load_dword v120, v117, s[0:3], 0 offen
	v_mov_b32_e32 v121, s14
	ds_read_b32 v121, v121
	v_add_u32_e32 v119, -1, v119
	s_add_i32 s14, s14, 4
	v_cmp_eq_u32_e32 vcc, 0, v119
	v_add_u32_e32 v117, 4, v117
	s_or_b64 s[4:5], vcc, s[4:5]
	s_waitcnt vmcnt(0) lgkmcnt(0)
	v_fmac_f32_e32 v118, v120, v121
	s_andn2_b64 exec, exec, s[4:5]
	s_cbranch_execnz .LBB55_513
; %bb.514:
	s_or_b64 exec, exec, s[4:5]
.LBB55_515:
	s_or_b64 exec, exec, s[12:13]
	v_mov_b32_e32 v117, 0
	ds_read_b32 v117, v117 offset:12
	s_waitcnt lgkmcnt(0)
	v_mul_f32_e32 v117, v118, v117
	buffer_store_dword v117, off, s[0:3], 0 offset:12
.LBB55_516:
	s_or_b64 exec, exec, s[10:11]
	buffer_load_dword v117, off, s[0:3], 0 offset:8
	v_cmp_lt_u32_e64 s[4:5], 2, v0
	s_waitcnt vmcnt(0)
	ds_write_b32 v114, v117
	s_waitcnt lgkmcnt(0)
	; wave barrier
	s_waitcnt lgkmcnt(0)
	s_and_saveexec_b64 s[10:11], s[4:5]
	s_cbranch_execz .LBB55_526
; %bb.517:
	s_andn2_b64 vcc, exec, s[8:9]
	s_cbranch_vccnz .LBB55_519
; %bb.518:
	buffer_load_dword v117, v115, s[0:3], 0 offen
	ds_read_b32 v118, v114
	s_waitcnt vmcnt(0) lgkmcnt(0)
	v_mul_f32_e32 v117, v117, v118
	s_cbranch_execz .LBB55_520
	s_branch .LBB55_521
.LBB55_519:
                                        ; implicit-def: $vgpr117
.LBB55_520:
	ds_read_b32 v117, v114
.LBB55_521:
	s_and_saveexec_b64 s[12:13], s[6:7]
	s_cbranch_execz .LBB55_525
; %bb.522:
	v_mov_b32_e32 v118, 0
	v_or_b32_e32 v118, 12, v118
	v_add_u32_e32 v119, -3, v0
	s_movk_i32 s14, 0xec
	s_mov_b64 s[6:7], 0
.LBB55_523:                             ; =>This Inner Loop Header: Depth=1
	buffer_load_dword v120, v118, s[0:3], 0 offen
	v_mov_b32_e32 v121, s14
	ds_read_b32 v121, v121
	v_add_u32_e32 v119, -1, v119
	s_add_i32 s14, s14, 4
	v_cmp_eq_u32_e32 vcc, 0, v119
	v_add_u32_e32 v118, 4, v118
	s_or_b64 s[6:7], vcc, s[6:7]
	s_waitcnt vmcnt(0) lgkmcnt(0)
	v_fmac_f32_e32 v117, v120, v121
	s_andn2_b64 exec, exec, s[6:7]
	s_cbranch_execnz .LBB55_523
; %bb.524:
	s_or_b64 exec, exec, s[6:7]
.LBB55_525:
	s_or_b64 exec, exec, s[12:13]
	v_mov_b32_e32 v118, 0
	ds_read_b32 v118, v118 offset:8
	s_waitcnt lgkmcnt(0)
	v_mul_f32_e32 v117, v117, v118
	buffer_store_dword v117, off, s[0:3], 0 offset:8
.LBB55_526:
	s_or_b64 exec, exec, s[10:11]
	buffer_load_dword v117, off, s[0:3], 0 offset:4
	v_cmp_lt_u32_e64 s[6:7], 1, v0
	s_waitcnt vmcnt(0)
	ds_write_b32 v114, v117
	s_waitcnt lgkmcnt(0)
	; wave barrier
	s_waitcnt lgkmcnt(0)
	s_and_saveexec_b64 s[10:11], s[6:7]
	s_cbranch_execz .LBB55_536
; %bb.527:
	s_andn2_b64 vcc, exec, s[8:9]
	s_cbranch_vccnz .LBB55_529
; %bb.528:
	buffer_load_dword v117, v115, s[0:3], 0 offen
	ds_read_b32 v118, v114
	s_waitcnt vmcnt(0) lgkmcnt(0)
	v_mul_f32_e32 v117, v117, v118
	s_cbranch_execz .LBB55_530
	s_branch .LBB55_531
.LBB55_529:
                                        ; implicit-def: $vgpr117
.LBB55_530:
	ds_read_b32 v117, v114
.LBB55_531:
	s_and_saveexec_b64 s[12:13], s[4:5]
	s_cbranch_execz .LBB55_535
; %bb.532:
	v_add_u32_e32 v118, -2, v0
	s_movk_i32 s14, 0xe8
	s_mov_b64 s[4:5], 0
.LBB55_533:                             ; =>This Inner Loop Header: Depth=1
	buffer_load_dword v119, v116, s[0:3], 0 offen
	v_mov_b32_e32 v120, s14
	ds_read_b32 v120, v120
	v_add_u32_e32 v118, -1, v118
	s_add_i32 s14, s14, 4
	v_cmp_eq_u32_e32 vcc, 0, v118
	v_add_u32_e32 v116, 4, v116
	s_or_b64 s[4:5], vcc, s[4:5]
	s_waitcnt vmcnt(0) lgkmcnt(0)
	v_fmac_f32_e32 v117, v119, v120
	s_andn2_b64 exec, exec, s[4:5]
	s_cbranch_execnz .LBB55_533
; %bb.534:
	s_or_b64 exec, exec, s[4:5]
.LBB55_535:
	s_or_b64 exec, exec, s[12:13]
	v_mov_b32_e32 v116, 0
	ds_read_b32 v116, v116 offset:4
	s_waitcnt lgkmcnt(0)
	v_mul_f32_e32 v116, v117, v116
	buffer_store_dword v116, off, s[0:3], 0 offset:4
.LBB55_536:
	s_or_b64 exec, exec, s[10:11]
	buffer_load_dword v116, off, s[0:3], 0
	v_cmp_ne_u32_e32 vcc, 0, v0
	s_waitcnt vmcnt(0)
	ds_write_b32 v114, v116
	s_waitcnt lgkmcnt(0)
	; wave barrier
	s_waitcnt lgkmcnt(0)
	s_and_saveexec_b64 s[4:5], vcc
	s_cbranch_execz .LBB55_546
; %bb.537:
	s_andn2_b64 vcc, exec, s[8:9]
	s_cbranch_vccnz .LBB55_539
; %bb.538:
	buffer_load_dword v116, v115, s[0:3], 0 offen
	ds_read_b32 v117, v114
	s_waitcnt vmcnt(0) lgkmcnt(0)
	v_mul_f32_e32 v116, v116, v117
	s_cbranch_execz .LBB55_540
	s_branch .LBB55_541
.LBB55_539:
                                        ; implicit-def: $vgpr116
.LBB55_540:
	ds_read_b32 v116, v114
.LBB55_541:
	s_and_saveexec_b64 s[10:11], s[6:7]
	s_cbranch_execz .LBB55_545
; %bb.542:
	v_mov_b32_e32 v117, 0
	v_or_b32_e32 v117, 4, v117
	v_add_u32_e32 v118, -1, v0
	s_movk_i32 s12, 0xe4
	s_mov_b64 s[6:7], 0
.LBB55_543:                             ; =>This Inner Loop Header: Depth=1
	buffer_load_dword v119, v117, s[0:3], 0 offen
	v_mov_b32_e32 v120, s12
	ds_read_b32 v120, v120
	v_add_u32_e32 v118, -1, v118
	s_add_i32 s12, s12, 4
	v_cmp_eq_u32_e32 vcc, 0, v118
	v_add_u32_e32 v117, 4, v117
	s_or_b64 s[6:7], vcc, s[6:7]
	s_waitcnt vmcnt(0) lgkmcnt(0)
	v_fmac_f32_e32 v116, v119, v120
	s_andn2_b64 exec, exec, s[6:7]
	s_cbranch_execnz .LBB55_543
; %bb.544:
	s_or_b64 exec, exec, s[6:7]
.LBB55_545:
	s_or_b64 exec, exec, s[10:11]
	v_mov_b32_e32 v117, 0
	ds_read_b32 v117, v117
	s_waitcnt lgkmcnt(0)
	v_mul_f32_e32 v116, v116, v117
	buffer_store_dword v116, off, s[0:3], 0
.LBB55_546:
	s_or_b64 exec, exec, s[4:5]
	s_mov_b64 s[4:5], 0
.LBB55_547:
	s_and_b64 vcc, exec, s[4:5]
	s_cbranch_vccz .LBB55_1091
; %bb.548:
	buffer_load_dword v116, off, s[0:3], 0 offset:4
	v_cmp_eq_u32_e64 s[6:7], 0, v0
	s_waitcnt vmcnt(0)
	ds_write_b32 v114, v116
	s_waitcnt lgkmcnt(0)
	; wave barrier
	s_waitcnt lgkmcnt(0)
	s_and_saveexec_b64 s[4:5], s[6:7]
	s_cbranch_execz .LBB55_554
; %bb.549:
	s_and_b64 vcc, exec, s[8:9]
	s_cbranch_vccz .LBB55_551
; %bb.550:
	buffer_load_dword v116, v115, s[0:3], 0 offen
	ds_read_b32 v117, v114
	s_waitcnt vmcnt(0) lgkmcnt(0)
	v_mul_f32_e32 v116, v116, v117
	s_cbranch_execz .LBB55_552
	s_branch .LBB55_553
.LBB55_551:
                                        ; implicit-def: $vgpr116
.LBB55_552:
	ds_read_b32 v116, v114
.LBB55_553:
	v_mov_b32_e32 v117, 0
	ds_read_b32 v117, v117 offset:4
	s_waitcnt lgkmcnt(0)
	v_mul_f32_e32 v116, v116, v117
	buffer_store_dword v116, off, s[0:3], 0 offset:4
.LBB55_554:
	s_or_b64 exec, exec, s[4:5]
	buffer_load_dword v116, off, s[0:3], 0 offset:8
	v_cndmask_b32_e64 v117, 0, 1, s[8:9]
	v_cmp_gt_u32_e32 vcc, 2, v0
	v_cmp_ne_u32_e64 s[4:5], 1, v117
	s_waitcnt vmcnt(0)
	ds_write_b32 v114, v116
	s_waitcnt lgkmcnt(0)
	; wave barrier
	s_waitcnt lgkmcnt(0)
	s_and_saveexec_b64 s[8:9], vcc
	s_cbranch_execz .LBB55_562
; %bb.555:
	s_and_b64 vcc, exec, s[4:5]
	s_cbranch_vccnz .LBB55_557
; %bb.556:
	buffer_load_dword v116, v115, s[0:3], 0 offen
	ds_read_b32 v117, v114
	s_waitcnt vmcnt(0) lgkmcnt(0)
	v_mul_f32_e32 v116, v116, v117
	s_cbranch_execz .LBB55_558
	s_branch .LBB55_559
.LBB55_557:
                                        ; implicit-def: $vgpr116
.LBB55_558:
	ds_read_b32 v116, v114
.LBB55_559:
	s_and_saveexec_b64 s[10:11], s[6:7]
	s_cbranch_execz .LBB55_561
; %bb.560:
	buffer_load_dword v117, v115, s[0:3], 0 offen offset:4
	ds_read_b32 v118, v114 offset:4
	s_waitcnt vmcnt(0) lgkmcnt(0)
	v_fmac_f32_e32 v116, v117, v118
.LBB55_561:
	s_or_b64 exec, exec, s[10:11]
	v_mov_b32_e32 v117, 0
	ds_read_b32 v117, v117 offset:8
	s_waitcnt lgkmcnt(0)
	v_mul_f32_e32 v116, v116, v117
	buffer_store_dword v116, off, s[0:3], 0 offset:8
.LBB55_562:
	s_or_b64 exec, exec, s[8:9]
	buffer_load_dword v116, off, s[0:3], 0 offset:12
	v_cmp_gt_u32_e32 vcc, 3, v0
	s_waitcnt vmcnt(0)
	ds_write_b32 v114, v116
	s_waitcnt lgkmcnt(0)
	; wave barrier
	s_waitcnt lgkmcnt(0)
	s_and_saveexec_b64 s[8:9], vcc
	s_cbranch_execz .LBB55_570
; %bb.563:
	s_and_b64 vcc, exec, s[4:5]
	s_cbranch_vccnz .LBB55_565
; %bb.564:
	buffer_load_dword v116, v115, s[0:3], 0 offen
	ds_read_b32 v117, v114
	s_waitcnt vmcnt(0) lgkmcnt(0)
	v_mul_f32_e32 v116, v116, v117
	s_cbranch_execz .LBB55_566
	s_branch .LBB55_567
.LBB55_565:
                                        ; implicit-def: $vgpr116
.LBB55_566:
	ds_read_b32 v116, v114
.LBB55_567:
	v_cmp_ne_u32_e32 vcc, 2, v0
	s_and_saveexec_b64 s[10:11], vcc
	s_cbranch_execz .LBB55_569
; %bb.568:
	buffer_load_dword v117, v115, s[0:3], 0 offen offset:4
	buffer_load_dword v118, off, s[0:3], 0 offset:8
	v_mov_b32_e32 v119, 0
	ds_read_b32 v120, v114 offset:4
	ds_read_b32 v119, v119 offset:232
	s_waitcnt vmcnt(1) lgkmcnt(1)
	v_fmac_f32_e32 v116, v117, v120
	s_waitcnt vmcnt(0) lgkmcnt(0)
	v_fma_f32 v117, v118, v119, v116
	v_cndmask_b32_e64 v116, v116, v117, s[6:7]
.LBB55_569:
	s_or_b64 exec, exec, s[10:11]
	v_mov_b32_e32 v117, 0
	ds_read_b32 v117, v117 offset:12
	s_waitcnt lgkmcnt(0)
	v_mul_f32_e32 v116, v116, v117
	buffer_store_dword v116, off, s[0:3], 0 offset:12
.LBB55_570:
	s_or_b64 exec, exec, s[8:9]
	buffer_load_dword v116, off, s[0:3], 0 offset:16
	v_cmp_gt_u32_e32 vcc, 4, v0
	s_waitcnt vmcnt(0)
	ds_write_b32 v114, v116
	s_waitcnt lgkmcnt(0)
	; wave barrier
	s_waitcnt lgkmcnt(0)
	s_and_saveexec_b64 s[6:7], vcc
	s_cbranch_execz .LBB55_580
; %bb.571:
	s_and_b64 vcc, exec, s[4:5]
	s_cbranch_vccnz .LBB55_573
; %bb.572:
	buffer_load_dword v116, v115, s[0:3], 0 offen
	ds_read_b32 v117, v114
	s_waitcnt vmcnt(0) lgkmcnt(0)
	v_mul_f32_e32 v116, v116, v117
	s_cbranch_execz .LBB55_574
	s_branch .LBB55_575
.LBB55_573:
                                        ; implicit-def: $vgpr116
.LBB55_574:
	ds_read_b32 v116, v114
.LBB55_575:
	v_cmp_ne_u32_e32 vcc, 3, v0
	s_and_saveexec_b64 s[8:9], vcc
	s_cbranch_execz .LBB55_579
; %bb.576:
	v_mov_b32_e32 v118, 0
	v_add_u32_e32 v117, 0xe4, v1
	v_add3_u32 v118, v1, v118, 4
	s_mov_b64 s[10:11], 0
	v_mov_b32_e32 v119, v0
.LBB55_577:                             ; =>This Inner Loop Header: Depth=1
	buffer_load_dword v120, v118, s[0:3], 0 offen
	ds_read_b32 v121, v117
	v_add_u32_e32 v119, 1, v119
	v_cmp_lt_u32_e32 vcc, 2, v119
	v_add_u32_e32 v117, 4, v117
	v_add_u32_e32 v118, 4, v118
	s_or_b64 s[10:11], vcc, s[10:11]
	s_waitcnt vmcnt(0) lgkmcnt(0)
	v_fmac_f32_e32 v116, v120, v121
	s_andn2_b64 exec, exec, s[10:11]
	s_cbranch_execnz .LBB55_577
; %bb.578:
	s_or_b64 exec, exec, s[10:11]
.LBB55_579:
	s_or_b64 exec, exec, s[8:9]
	v_mov_b32_e32 v117, 0
	ds_read_b32 v117, v117 offset:16
	s_waitcnt lgkmcnt(0)
	v_mul_f32_e32 v116, v116, v117
	buffer_store_dword v116, off, s[0:3], 0 offset:16
.LBB55_580:
	s_or_b64 exec, exec, s[6:7]
	buffer_load_dword v116, off, s[0:3], 0 offset:20
	v_cmp_gt_u32_e32 vcc, 5, v0
	s_waitcnt vmcnt(0)
	ds_write_b32 v114, v116
	s_waitcnt lgkmcnt(0)
	; wave barrier
	s_waitcnt lgkmcnt(0)
	s_and_saveexec_b64 s[6:7], vcc
	s_cbranch_execz .LBB55_590
; %bb.581:
	s_and_b64 vcc, exec, s[4:5]
	s_cbranch_vccnz .LBB55_583
; %bb.582:
	buffer_load_dword v116, v115, s[0:3], 0 offen
	ds_read_b32 v117, v114
	s_waitcnt vmcnt(0) lgkmcnt(0)
	v_mul_f32_e32 v116, v116, v117
	s_cbranch_execz .LBB55_584
	s_branch .LBB55_585
.LBB55_583:
                                        ; implicit-def: $vgpr116
.LBB55_584:
	ds_read_b32 v116, v114
.LBB55_585:
	v_cmp_ne_u32_e32 vcc, 4, v0
	s_and_saveexec_b64 s[8:9], vcc
	s_cbranch_execz .LBB55_589
; %bb.586:
	v_mov_b32_e32 v118, 0
	v_add_u32_e32 v117, 0xe4, v1
	v_add3_u32 v118, v1, v118, 4
	s_mov_b64 s[10:11], 0
	v_mov_b32_e32 v119, v0
.LBB55_587:                             ; =>This Inner Loop Header: Depth=1
	buffer_load_dword v120, v118, s[0:3], 0 offen
	ds_read_b32 v121, v117
	v_add_u32_e32 v119, 1, v119
	v_cmp_lt_u32_e32 vcc, 3, v119
	v_add_u32_e32 v117, 4, v117
	v_add_u32_e32 v118, 4, v118
	s_or_b64 s[10:11], vcc, s[10:11]
	s_waitcnt vmcnt(0) lgkmcnt(0)
	v_fmac_f32_e32 v116, v120, v121
	s_andn2_b64 exec, exec, s[10:11]
	s_cbranch_execnz .LBB55_587
; %bb.588:
	s_or_b64 exec, exec, s[10:11]
.LBB55_589:
	s_or_b64 exec, exec, s[8:9]
	v_mov_b32_e32 v117, 0
	ds_read_b32 v117, v117 offset:20
	s_waitcnt lgkmcnt(0)
	v_mul_f32_e32 v116, v116, v117
	buffer_store_dword v116, off, s[0:3], 0 offset:20
.LBB55_590:
	;; [unrolled: 56-line block ×43, first 2 shown]
	s_or_b64 exec, exec, s[6:7]
	buffer_load_dword v116, off, s[0:3], 0 offset:188
	v_cmp_gt_u32_e32 vcc, 47, v0
	s_waitcnt vmcnt(0)
	ds_write_b32 v114, v116
	s_waitcnt lgkmcnt(0)
	; wave barrier
	s_waitcnt lgkmcnt(0)
	s_and_saveexec_b64 s[6:7], vcc
	s_cbranch_execz .LBB55_1010
; %bb.1001:
	s_and_b64 vcc, exec, s[4:5]
	s_cbranch_vccnz .LBB55_1003
; %bb.1002:
	buffer_load_dword v116, v115, s[0:3], 0 offen
	ds_read_b32 v117, v114
	s_waitcnt vmcnt(0) lgkmcnt(0)
	v_mul_f32_e32 v116, v116, v117
	s_cbranch_execz .LBB55_1004
	s_branch .LBB55_1005
.LBB55_1003:
                                        ; implicit-def: $vgpr116
.LBB55_1004:
	ds_read_b32 v116, v114
.LBB55_1005:
	v_cmp_ne_u32_e32 vcc, 46, v0
	s_and_saveexec_b64 s[8:9], vcc
	s_cbranch_execz .LBB55_1009
; %bb.1006:
	v_mov_b32_e32 v118, 0
	v_add_u32_e32 v117, 0xe4, v1
	v_add3_u32 v118, v1, v118, 4
	s_mov_b64 s[10:11], 0
	v_mov_b32_e32 v119, v0
.LBB55_1007:                            ; =>This Inner Loop Header: Depth=1
	buffer_load_dword v120, v118, s[0:3], 0 offen
	ds_read_b32 v121, v117
	v_add_u32_e32 v119, 1, v119
	v_cmp_lt_u32_e32 vcc, 45, v119
	v_add_u32_e32 v117, 4, v117
	v_add_u32_e32 v118, 4, v118
	s_or_b64 s[10:11], vcc, s[10:11]
	s_waitcnt vmcnt(0) lgkmcnt(0)
	v_fmac_f32_e32 v116, v120, v121
	s_andn2_b64 exec, exec, s[10:11]
	s_cbranch_execnz .LBB55_1007
; %bb.1008:
	s_or_b64 exec, exec, s[10:11]
.LBB55_1009:
	s_or_b64 exec, exec, s[8:9]
	v_mov_b32_e32 v117, 0
	ds_read_b32 v117, v117 offset:188
	s_waitcnt lgkmcnt(0)
	v_mul_f32_e32 v116, v116, v117
	buffer_store_dword v116, off, s[0:3], 0 offset:188
.LBB55_1010:
	s_or_b64 exec, exec, s[6:7]
	buffer_load_dword v116, off, s[0:3], 0 offset:192
	v_cmp_gt_u32_e32 vcc, 48, v0
	s_waitcnt vmcnt(0)
	ds_write_b32 v114, v116
	s_waitcnt lgkmcnt(0)
	; wave barrier
	s_waitcnt lgkmcnt(0)
	s_and_saveexec_b64 s[6:7], vcc
	s_cbranch_execz .LBB55_1020
; %bb.1011:
	s_and_b64 vcc, exec, s[4:5]
	s_cbranch_vccnz .LBB55_1013
; %bb.1012:
	buffer_load_dword v116, v115, s[0:3], 0 offen
	ds_read_b32 v117, v114
	s_waitcnt vmcnt(0) lgkmcnt(0)
	v_mul_f32_e32 v116, v116, v117
	s_cbranch_execz .LBB55_1014
	s_branch .LBB55_1015
.LBB55_1013:
                                        ; implicit-def: $vgpr116
.LBB55_1014:
	ds_read_b32 v116, v114
.LBB55_1015:
	v_cmp_ne_u32_e32 vcc, 47, v0
	s_and_saveexec_b64 s[8:9], vcc
	s_cbranch_execz .LBB55_1019
; %bb.1016:
	v_mov_b32_e32 v118, 0
	v_add_u32_e32 v117, 0xe4, v1
	v_add3_u32 v118, v1, v118, 4
	s_mov_b64 s[10:11], 0
	v_mov_b32_e32 v119, v0
.LBB55_1017:                            ; =>This Inner Loop Header: Depth=1
	buffer_load_dword v120, v118, s[0:3], 0 offen
	ds_read_b32 v121, v117
	v_add_u32_e32 v119, 1, v119
	v_cmp_lt_u32_e32 vcc, 46, v119
	v_add_u32_e32 v117, 4, v117
	v_add_u32_e32 v118, 4, v118
	s_or_b64 s[10:11], vcc, s[10:11]
	s_waitcnt vmcnt(0) lgkmcnt(0)
	v_fmac_f32_e32 v116, v120, v121
	s_andn2_b64 exec, exec, s[10:11]
	s_cbranch_execnz .LBB55_1017
; %bb.1018:
	s_or_b64 exec, exec, s[10:11]
.LBB55_1019:
	s_or_b64 exec, exec, s[8:9]
	v_mov_b32_e32 v117, 0
	ds_read_b32 v117, v117 offset:192
	s_waitcnt lgkmcnt(0)
	v_mul_f32_e32 v116, v116, v117
	buffer_store_dword v116, off, s[0:3], 0 offset:192
.LBB55_1020:
	;; [unrolled: 56-line block ×7, first 2 shown]
	s_or_b64 exec, exec, s[6:7]
	buffer_load_dword v116, off, s[0:3], 0 offset:216
	v_cmp_gt_u32_e64 s[6:7], 54, v0
	s_waitcnt vmcnt(0)
	ds_write_b32 v114, v116
	s_waitcnt lgkmcnt(0)
	; wave barrier
	s_waitcnt lgkmcnt(0)
	s_and_saveexec_b64 s[8:9], s[6:7]
	s_cbranch_execz .LBB55_1080
; %bb.1071:
	s_and_b64 vcc, exec, s[4:5]
	s_cbranch_vccnz .LBB55_1073
; %bb.1072:
	buffer_load_dword v116, v115, s[0:3], 0 offen
	ds_read_b32 v117, v114
	s_waitcnt vmcnt(0) lgkmcnt(0)
	v_mul_f32_e32 v116, v116, v117
	s_cbranch_execz .LBB55_1074
	s_branch .LBB55_1075
.LBB55_1073:
                                        ; implicit-def: $vgpr116
.LBB55_1074:
	ds_read_b32 v116, v114
.LBB55_1075:
	v_cmp_ne_u32_e32 vcc, 53, v0
	s_and_saveexec_b64 s[10:11], vcc
	s_cbranch_execz .LBB55_1079
; %bb.1076:
	v_mov_b32_e32 v118, 0
	v_add_u32_e32 v117, 0xe4, v1
	v_add3_u32 v118, v1, v118, 4
	s_mov_b64 s[12:13], 0
	v_mov_b32_e32 v119, v0
.LBB55_1077:                            ; =>This Inner Loop Header: Depth=1
	buffer_load_dword v120, v118, s[0:3], 0 offen
	ds_read_b32 v121, v117
	v_add_u32_e32 v119, 1, v119
	v_cmp_lt_u32_e32 vcc, 52, v119
	v_add_u32_e32 v117, 4, v117
	v_add_u32_e32 v118, 4, v118
	s_or_b64 s[12:13], vcc, s[12:13]
	s_waitcnt vmcnt(0) lgkmcnt(0)
	v_fmac_f32_e32 v116, v120, v121
	s_andn2_b64 exec, exec, s[12:13]
	s_cbranch_execnz .LBB55_1077
; %bb.1078:
	s_or_b64 exec, exec, s[12:13]
.LBB55_1079:
	s_or_b64 exec, exec, s[10:11]
	v_mov_b32_e32 v117, 0
	ds_read_b32 v117, v117 offset:216
	s_waitcnt lgkmcnt(0)
	v_mul_f32_e32 v116, v116, v117
	buffer_store_dword v116, off, s[0:3], 0 offset:216
.LBB55_1080:
	s_or_b64 exec, exec, s[8:9]
	buffer_load_dword v116, off, s[0:3], 0 offset:220
	v_cmp_ne_u32_e32 vcc, 55, v0
	s_waitcnt vmcnt(0)
	ds_write_b32 v114, v116
	s_waitcnt lgkmcnt(0)
	; wave barrier
	s_waitcnt lgkmcnt(0)
	s_and_saveexec_b64 s[8:9], vcc
	s_cbranch_execz .LBB55_1090
; %bb.1081:
	s_and_b64 vcc, exec, s[4:5]
	s_cbranch_vccnz .LBB55_1083
; %bb.1082:
	buffer_load_dword v115, v115, s[0:3], 0 offen
	ds_read_b32 v116, v114
	s_waitcnt vmcnt(0) lgkmcnt(0)
	v_mul_f32_e32 v115, v115, v116
	s_cbranch_execz .LBB55_1084
	s_branch .LBB55_1085
.LBB55_1083:
                                        ; implicit-def: $vgpr115
.LBB55_1084:
	ds_read_b32 v115, v114
.LBB55_1085:
	s_and_saveexec_b64 s[4:5], s[6:7]
	s_cbranch_execz .LBB55_1089
; %bb.1086:
	v_mov_b32_e32 v116, 0
	v_add_u32_e32 v114, 0xe4, v1
	v_add3_u32 v1, v1, v116, 4
	s_mov_b64 s[6:7], 0
.LBB55_1087:                            ; =>This Inner Loop Header: Depth=1
	buffer_load_dword v116, v1, s[0:3], 0 offen
	ds_read_b32 v117, v114
	v_add_u32_e32 v0, 1, v0
	v_cmp_lt_u32_e32 vcc, 53, v0
	v_add_u32_e32 v114, 4, v114
	v_add_u32_e32 v1, 4, v1
	s_or_b64 s[6:7], vcc, s[6:7]
	s_waitcnt vmcnt(0) lgkmcnt(0)
	v_fmac_f32_e32 v115, v116, v117
	s_andn2_b64 exec, exec, s[6:7]
	s_cbranch_execnz .LBB55_1087
; %bb.1088:
	s_or_b64 exec, exec, s[6:7]
.LBB55_1089:
	s_or_b64 exec, exec, s[4:5]
	v_mov_b32_e32 v0, 0
	ds_read_b32 v0, v0 offset:220
	s_waitcnt lgkmcnt(0)
	v_mul_f32_e32 v0, v115, v0
	buffer_store_dword v0, off, s[0:3], 0 offset:220
.LBB55_1090:
	s_or_b64 exec, exec, s[8:9]
.LBB55_1091:
	buffer_load_dword v0, off, s[0:3], 0
	buffer_load_dword v1, off, s[0:3], 0 offset:4
	buffer_load_dword v114, off, s[0:3], 0 offset:8
	;; [unrolled: 1-line block ×47, first 2 shown]
	s_waitcnt vmcnt(47)
	global_store_dword v[108:109], v0, off
	s_waitcnt vmcnt(47)
	global_store_dword v[112:113], v1, off
	buffer_load_dword v0, off, s[0:3], 0 offset:192
	s_nop 0
	buffer_load_dword v1, off, s[0:3], 0 offset:196
	buffer_load_dword v108, off, s[0:3], 0 offset:200
	buffer_load_dword v109, off, s[0:3], 0 offset:204
	buffer_load_dword v112, off, s[0:3], 0 offset:208
	buffer_load_dword v113, off, s[0:3], 0 offset:212
	buffer_load_dword v160, off, s[0:3], 0 offset:216
	buffer_load_dword v161, off, s[0:3], 0 offset:220
	s_waitcnt vmcnt(55)
	global_store_dword v[2:3], v114, off
	s_waitcnt vmcnt(55)
	global_store_dword v[4:5], v115, off
	;; [unrolled: 2-line block ×54, first 2 shown]
.LBB55_1092:
	s_endpgm
	.section	.rodata,"a",@progbits
	.p2align	6, 0x0
	.amdhsa_kernel _ZN9rocsolver6v33100L18trti2_kernel_smallILi56EfPfEEv13rocblas_fill_17rocblas_diagonal_T1_iil
		.amdhsa_group_segment_fixed_size 448
		.amdhsa_private_segment_fixed_size 240
		.amdhsa_kernarg_size 32
		.amdhsa_user_sgpr_count 8
		.amdhsa_user_sgpr_private_segment_buffer 1
		.amdhsa_user_sgpr_dispatch_ptr 0
		.amdhsa_user_sgpr_queue_ptr 0
		.amdhsa_user_sgpr_kernarg_segment_ptr 1
		.amdhsa_user_sgpr_dispatch_id 0
		.amdhsa_user_sgpr_flat_scratch_init 1
		.amdhsa_user_sgpr_kernarg_preload_length 0
		.amdhsa_user_sgpr_kernarg_preload_offset 0
		.amdhsa_user_sgpr_private_segment_size 0
		.amdhsa_uses_dynamic_stack 0
		.amdhsa_system_sgpr_private_segment_wavefront_offset 1
		.amdhsa_system_sgpr_workgroup_id_x 1
		.amdhsa_system_sgpr_workgroup_id_y 0
		.amdhsa_system_sgpr_workgroup_id_z 0
		.amdhsa_system_sgpr_workgroup_info 0
		.amdhsa_system_vgpr_workitem_id 0
		.amdhsa_next_free_vgpr 164
		.amdhsa_next_free_sgpr 20
		.amdhsa_accum_offset 164
		.amdhsa_reserve_vcc 1
		.amdhsa_reserve_flat_scratch 0
		.amdhsa_float_round_mode_32 0
		.amdhsa_float_round_mode_16_64 0
		.amdhsa_float_denorm_mode_32 3
		.amdhsa_float_denorm_mode_16_64 3
		.amdhsa_dx10_clamp 1
		.amdhsa_ieee_mode 1
		.amdhsa_fp16_overflow 0
		.amdhsa_tg_split 0
		.amdhsa_exception_fp_ieee_invalid_op 0
		.amdhsa_exception_fp_denorm_src 0
		.amdhsa_exception_fp_ieee_div_zero 0
		.amdhsa_exception_fp_ieee_overflow 0
		.amdhsa_exception_fp_ieee_underflow 0
		.amdhsa_exception_fp_ieee_inexact 0
		.amdhsa_exception_int_div_zero 0
	.end_amdhsa_kernel
	.section	.text._ZN9rocsolver6v33100L18trti2_kernel_smallILi56EfPfEEv13rocblas_fill_17rocblas_diagonal_T1_iil,"axG",@progbits,_ZN9rocsolver6v33100L18trti2_kernel_smallILi56EfPfEEv13rocblas_fill_17rocblas_diagonal_T1_iil,comdat
.Lfunc_end55:
	.size	_ZN9rocsolver6v33100L18trti2_kernel_smallILi56EfPfEEv13rocblas_fill_17rocblas_diagonal_T1_iil, .Lfunc_end55-_ZN9rocsolver6v33100L18trti2_kernel_smallILi56EfPfEEv13rocblas_fill_17rocblas_diagonal_T1_iil
                                        ; -- End function
	.section	.AMDGPU.csdata,"",@progbits
; Kernel info:
; codeLenInByte = 27468
; NumSgprs: 24
; NumVgprs: 164
; NumAgprs: 0
; TotalNumVgprs: 164
; ScratchSize: 240
; MemoryBound: 0
; FloatMode: 240
; IeeeMode: 1
; LDSByteSize: 448 bytes/workgroup (compile time only)
; SGPRBlocks: 2
; VGPRBlocks: 20
; NumSGPRsForWavesPerEU: 24
; NumVGPRsForWavesPerEU: 164
; AccumOffset: 164
; Occupancy: 3
; WaveLimiterHint : 0
; COMPUTE_PGM_RSRC2:SCRATCH_EN: 1
; COMPUTE_PGM_RSRC2:USER_SGPR: 8
; COMPUTE_PGM_RSRC2:TRAP_HANDLER: 0
; COMPUTE_PGM_RSRC2:TGID_X_EN: 1
; COMPUTE_PGM_RSRC2:TGID_Y_EN: 0
; COMPUTE_PGM_RSRC2:TGID_Z_EN: 0
; COMPUTE_PGM_RSRC2:TIDIG_COMP_CNT: 0
; COMPUTE_PGM_RSRC3_GFX90A:ACCUM_OFFSET: 40
; COMPUTE_PGM_RSRC3_GFX90A:TG_SPLIT: 0
	.section	.text._ZN9rocsolver6v33100L18trti2_kernel_smallILi57EfPfEEv13rocblas_fill_17rocblas_diagonal_T1_iil,"axG",@progbits,_ZN9rocsolver6v33100L18trti2_kernel_smallILi57EfPfEEv13rocblas_fill_17rocblas_diagonal_T1_iil,comdat
	.globl	_ZN9rocsolver6v33100L18trti2_kernel_smallILi57EfPfEEv13rocblas_fill_17rocblas_diagonal_T1_iil ; -- Begin function _ZN9rocsolver6v33100L18trti2_kernel_smallILi57EfPfEEv13rocblas_fill_17rocblas_diagonal_T1_iil
	.p2align	8
	.type	_ZN9rocsolver6v33100L18trti2_kernel_smallILi57EfPfEEv13rocblas_fill_17rocblas_diagonal_T1_iil,@function
_ZN9rocsolver6v33100L18trti2_kernel_smallILi57EfPfEEv13rocblas_fill_17rocblas_diagonal_T1_iil: ; @_ZN9rocsolver6v33100L18trti2_kernel_smallILi57EfPfEEv13rocblas_fill_17rocblas_diagonal_T1_iil
; %bb.0:
	s_add_u32 s0, s0, s9
	s_addc_u32 s1, s1, 0
	v_cmp_gt_u32_e32 vcc, 57, v0
	s_and_saveexec_b64 s[6:7], vcc
	s_cbranch_execz .LBB56_1112
; %bb.1:
	s_load_dwordx8 s[12:19], s[4:5], 0x0
	s_ashr_i32 s6, s8, 31
	s_waitcnt lgkmcnt(0)
	s_mul_i32 s7, s8, s19
	s_mul_hi_u32 s9, s8, s18
	s_add_i32 s7, s9, s7
	s_mul_i32 s6, s6, s18
	s_add_i32 s7, s7, s6
	s_mul_i32 s6, s8, s18
	s_ashr_i32 s5, s16, 31
	s_lshl_b64 s[6:7], s[6:7], 2
	s_mov_b32 s4, s16
	s_add_u32 s6, s14, s6
	s_addc_u32 s7, s15, s7
	s_lshl_b64 s[4:5], s[4:5], 2
	s_add_u32 s4, s6, s4
	s_addc_u32 s5, s7, s5
	s_add_i32 s6, s17, s17
	v_add_u32_e32 v4, s6, v0
	v_ashrrev_i32_e32 v5, 31, v4
	v_lshlrev_b64 v[2:3], 2, v[4:5]
	v_add_u32_e32 v6, s17, v4
	v_mov_b32_e32 v1, s5
	v_add_co_u32_e32 v2, vcc, s4, v2
	v_ashrrev_i32_e32 v7, 31, v6
	v_addc_co_u32_e32 v3, vcc, v1, v3, vcc
	v_lshlrev_b64 v[4:5], 2, v[6:7]
	v_add_u32_e32 v8, s17, v6
	v_add_co_u32_e32 v4, vcc, s4, v4
	v_ashrrev_i32_e32 v9, 31, v8
	v_addc_co_u32_e32 v5, vcc, v1, v5, vcc
	v_lshlrev_b64 v[6:7], 2, v[8:9]
	v_add_u32_e32 v10, s17, v8
	;; [unrolled: 5-line block ×43, first 2 shown]
	v_add_co_u32_e32 v88, vcc, s4, v88
	v_ashrrev_i32_e32 v93, 31, v92
	v_addc_co_u32_e32 v89, vcc, v1, v89, vcc
	v_lshlrev_b64 v[90:91], 2, v[92:93]
	v_add_co_u32_e32 v90, vcc, s4, v90
	v_add_u32_e32 v94, s17, v92
	v_addc_co_u32_e32 v91, vcc, v1, v91, vcc
	v_ashrrev_i32_e32 v95, 31, v94
	v_lshlrev_b32_e32 v1, 2, v0
	v_lshlrev_b64 v[92:93], 2, v[94:95]
	v_mov_b32_e32 v95, s5
	v_add_co_u32_e32 v110, vcc, s4, v1
	s_ashr_i32 s7, s17, 31
	s_mov_b32 s6, s17
	v_addc_co_u32_e32 v111, vcc, 0, v95, vcc
	s_lshl_b64 s[6:7], s[6:7], 2
	v_mov_b32_e32 v95, s7
	v_add_co_u32_e32 v114, vcc, s6, v110
	v_addc_co_u32_e32 v115, vcc, v111, v95, vcc
	global_load_dword v116, v1, s[4:5]
	global_load_dword v117, v[114:115], off
	global_load_dword v118, v[6:7], off
	;; [unrolled: 1-line block ×8, first 2 shown]
	v_mov_b32_e32 v96, s5
	v_add_co_u32_e32 v92, vcc, s4, v92
	v_addc_co_u32_e32 v93, vcc, v96, v93, vcc
	v_add_u32_e32 v96, s17, v94
	v_ashrrev_i32_e32 v97, 31, v96
	v_lshlrev_b64 v[94:95], 2, v[96:97]
	v_mov_b32_e32 v98, s5
	v_add_co_u32_e32 v94, vcc, s4, v94
	v_addc_co_u32_e32 v95, vcc, v98, v95, vcc
	v_add_u32_e32 v98, s17, v96
	v_ashrrev_i32_e32 v99, 31, v98
	v_lshlrev_b64 v[96:97], 2, v[98:99]
	;; [unrolled: 6-line block ×8, first 2 shown]
	v_add_u32_e32 v112, s17, v112
	v_mov_b32_e32 v125, s5
	v_add_co_u32_e32 v108, vcc, s4, v108
	v_ashrrev_i32_e32 v113, 31, v112
	v_addc_co_u32_e32 v109, vcc, v125, v109, vcc
	v_lshlrev_b64 v[112:113], 2, v[112:113]
	v_add_co_u32_e32 v112, vcc, s4, v112
	s_waitcnt vmcnt(8)
	buffer_store_dword v116, off, s[0:3], 0
	s_waitcnt vmcnt(8)
	buffer_store_dword v117, off, s[0:3], 0 offset:4
	s_waitcnt vmcnt(3)
	buffer_store_dword v123, off, s[0:3], 0 offset:12
	;; [unrolled: 2-line block ×3, first 2 shown]
	buffer_store_dword v118, off, s[0:3], 0 offset:16
	buffer_store_dword v119, off, s[0:3], 0 offset:20
	v_addc_co_u32_e32 v113, vcc, v125, v113, vcc
	global_load_dword v116, v[16:17], off
	global_load_dword v117, v[22:23], off
	;; [unrolled: 1-line block ×40, first 2 shown]
	s_nop 0
	buffer_store_dword v120, off, s[0:3], 0 offset:24
	buffer_store_dword v121, off, s[0:3], 0 offset:28
	global_load_dword v120, v[96:97], off
	s_nop 0
	global_load_dword v121, v[112:113], off
	global_load_dword v159, v[106:107], off
	;; [unrolled: 1-line block ×6, first 2 shown]
	s_cmpk_lg_i32 s13, 0x84
	buffer_store_dword v122, off, s[0:3], 0 offset:32
	global_load_dword v122, v[108:109], off
	s_waitcnt vmcnt(50)
	buffer_store_dword v116, off, s[0:3], 0 offset:36
	s_waitcnt vmcnt(45)
	buffer_store_dword v125, off, s[0:3], 0 offset:44
	;; [unrolled: 2-line block ×3, first 2 shown]
	buffer_store_dword v117, off, s[0:3], 0 offset:48
	buffer_store_dword v118, off, s[0:3], 0 offset:52
	buffer_store_dword v119, off, s[0:3], 0 offset:56
	buffer_store_dword v123, off, s[0:3], 0 offset:60
	buffer_store_dword v124, off, s[0:3], 0 offset:64
	s_waitcnt vmcnt(50)
	buffer_store_dword v127, off, s[0:3], 0 offset:68
	s_waitcnt vmcnt(50)
	buffer_store_dword v128, off, s[0:3], 0 offset:72
	;; [unrolled: 2-line block ×5, first 2 shown]
	buffer_store_dword v131, off, s[0:3], 0 offset:92
	buffer_store_dword v132, off, s[0:3], 0 offset:88
	s_waitcnt vmcnt(49)
	buffer_store_dword v135, off, s[0:3], 0 offset:100
	buffer_store_dword v130, off, s[0:3], 0 offset:96
	s_waitcnt vmcnt(45)
	buffer_store_dword v141, off, s[0:3], 0 offset:108
	s_waitcnt vmcnt(45)
	buffer_store_dword v142, off, s[0:3], 0 offset:104
	buffer_store_dword v139, off, s[0:3], 0 offset:116
	buffer_store_dword v140, off, s[0:3], 0 offset:112
	buffer_store_dword v137, off, s[0:3], 0 offset:124
	buffer_store_dword v138, off, s[0:3], 0 offset:120
	s_waitcnt vmcnt(49)
	buffer_store_dword v143, off, s[0:3], 0 offset:132
	buffer_store_dword v136, off, s[0:3], 0 offset:128
	s_waitcnt vmcnt(45)
	buffer_store_dword v149, off, s[0:3], 0 offset:140
	s_waitcnt vmcnt(45)
	buffer_store_dword v150, off, s[0:3], 0 offset:136
	buffer_store_dword v147, off, s[0:3], 0 offset:148
	buffer_store_dword v148, off, s[0:3], 0 offset:144
	buffer_store_dword v145, off, s[0:3], 0 offset:156
	buffer_store_dword v146, off, s[0:3], 0 offset:152
	s_waitcnt vmcnt(49)
	buffer_store_dword v151, off, s[0:3], 0 offset:164
	buffer_store_dword v144, off, s[0:3], 0 offset:160
	s_waitcnt vmcnt(45)
	buffer_store_dword v157, off, s[0:3], 0 offset:172
	s_waitcnt vmcnt(45)
	buffer_store_dword v158, off, s[0:3], 0 offset:168
	buffer_store_dword v155, off, s[0:3], 0 offset:180
	buffer_store_dword v156, off, s[0:3], 0 offset:176
	buffer_store_dword v153, off, s[0:3], 0 offset:188
	buffer_store_dword v154, off, s[0:3], 0 offset:184
	s_waitcnt vmcnt(47)
	buffer_store_dword v120, off, s[0:3], 0 offset:196
	buffer_store_dword v152, off, s[0:3], 0 offset:192
	s_waitcnt vmcnt(45)
	buffer_store_dword v161, off, s[0:3], 0 offset:204
	s_waitcnt vmcnt(45)
	;; [unrolled: 2-line block ×3, first 2 shown]
	buffer_store_dword v163, off, s[0:3], 0 offset:212
	buffer_store_dword v160, off, s[0:3], 0 offset:208
	s_waitcnt vmcnt(45)
	buffer_store_dword v122, off, s[0:3], 0 offset:220
	buffer_store_dword v159, off, s[0:3], 0 offset:216
	;; [unrolled: 1-line block ×3, first 2 shown]
	s_cselect_b64 s[10:11], -1, 0
	s_cmpk_eq_i32 s13, 0x84
	v_mov_b32_e32 v144, 0
	v_mov_b32_e32 v116, -1.0
	s_cbranch_scc1 .LBB56_3
; %bb.2:
	v_lshl_add_u32 v116, v0, 2, v144
	buffer_load_dword v117, v116, s[0:3], 0 offen
	s_waitcnt vmcnt(0)
	v_div_scale_f32 v118, s[4:5], v117, v117, 1.0
	v_rcp_f32_e32 v119, v118
	v_div_scale_f32 v120, vcc, 1.0, v117, 1.0
	v_fma_f32 v121, -v118, v119, 1.0
	v_fmac_f32_e32 v119, v121, v119
	v_mul_f32_e32 v121, v120, v119
	v_fma_f32 v122, -v118, v121, v120
	v_fmac_f32_e32 v121, v122, v119
	v_fma_f32 v118, -v118, v121, v120
	v_div_fmas_f32 v118, v118, v119, v121
	v_div_fixup_f32 v117, v118, v117, 1.0
	buffer_store_dword v117, v116, s[0:3], 0 offen
	v_xor_b32_e32 v116, 0x80000000, v117
.LBB56_3:
	ds_write_b32 v1, v116
	s_cmpk_eq_i32 s12, 0x79
	v_add_u32_e32 v116, 0xf0, v1
	v_add_u32_e32 v117, 0, v1
	s_mov_b64 s[4:5], -1
	s_cbranch_scc1 .LBB56_557
; %bb.4:
	buffer_load_dword v118, off, s[0:3], 0 offset:220
	v_cmp_eq_u32_e64 s[4:5], 56, v0
	s_waitcnt vmcnt(0)
	ds_write_b32 v116, v118
	s_waitcnt lgkmcnt(0)
	; wave barrier
	s_waitcnt lgkmcnt(0)
	s_and_saveexec_b64 s[6:7], s[4:5]
	s_cbranch_execz .LBB56_10
; %bb.5:
	s_and_b64 vcc, exec, s[10:11]
	s_cbranch_vccz .LBB56_7
; %bb.6:
	buffer_load_dword v118, v117, s[0:3], 0 offen
	ds_read_b32 v119, v116
	s_waitcnt vmcnt(0) lgkmcnt(0)
	v_mul_f32_e32 v118, v118, v119
	s_cbranch_execz .LBB56_8
	s_branch .LBB56_9
.LBB56_7:
                                        ; implicit-def: $vgpr118
.LBB56_8:
	ds_read_b32 v118, v116
.LBB56_9:
	v_mov_b32_e32 v119, 0
	ds_read_b32 v119, v119 offset:220
	s_waitcnt lgkmcnt(0)
	v_mul_f32_e32 v118, v118, v119
	buffer_store_dword v118, off, s[0:3], 0 offset:220
.LBB56_10:
	s_or_b64 exec, exec, s[6:7]
	buffer_load_dword v145, off, s[0:3], 0 offset:216
	v_or_b32_e32 v118, 8, v144
	v_add_u32_e32 v119, 16, v144
	v_add_u32_e32 v120, 24, v144
	;; [unrolled: 1-line block ×26, first 2 shown]
	v_cmp_lt_u32_e64 s[8:9], 54, v0
	s_waitcnt vmcnt(0)
	ds_write_b32 v116, v145
	s_waitcnt lgkmcnt(0)
	; wave barrier
	s_waitcnt lgkmcnt(0)
	s_and_saveexec_b64 s[6:7], s[8:9]
	s_cbranch_execz .LBB56_16
; %bb.11:
	s_andn2_b64 vcc, exec, s[10:11]
	s_cbranch_vccnz .LBB56_13
; %bb.12:
	buffer_load_dword v145, v117, s[0:3], 0 offen
	ds_read_b32 v146, v116
	s_waitcnt vmcnt(0) lgkmcnt(0)
	v_mul_f32_e32 v145, v145, v146
	s_cbranch_execz .LBB56_14
	s_branch .LBB56_15
.LBB56_13:
                                        ; implicit-def: $vgpr145
.LBB56_14:
	ds_read_b32 v145, v116
.LBB56_15:
	buffer_load_dword v148, off, s[0:3], 0 offset:220
	v_mov_b32_e32 v146, 0
	ds_read2_b32 v[146:147], v146 offset0:54 offset1:115
	s_waitcnt vmcnt(0) lgkmcnt(0)
	v_fma_f32 v147, v148, v147, v145
	v_cndmask_b32_e64 v145, v145, v147, s[4:5]
	v_mul_f32_e32 v145, v145, v146
	buffer_store_dword v145, off, s[0:3], 0 offset:216
.LBB56_16:
	s_or_b64 exec, exec, s[6:7]
	buffer_load_dword v145, off, s[0:3], 0 offset:212
	v_cmp_lt_u32_e64 s[6:7], 53, v0
	s_waitcnt vmcnt(0)
	ds_write_b32 v116, v145
	s_waitcnt lgkmcnt(0)
	; wave barrier
	s_waitcnt lgkmcnt(0)
	s_and_saveexec_b64 s[4:5], s[6:7]
	s_cbranch_execz .LBB56_26
; %bb.17:
	s_andn2_b64 vcc, exec, s[10:11]
	s_cbranch_vccnz .LBB56_19
; %bb.18:
	buffer_load_dword v145, v117, s[0:3], 0 offen
	ds_read_b32 v146, v116
	s_waitcnt vmcnt(0) lgkmcnt(0)
	v_mul_f32_e32 v145, v145, v146
	s_cbranch_execz .LBB56_20
	s_branch .LBB56_21
.LBB56_19:
                                        ; implicit-def: $vgpr145
.LBB56_20:
	ds_read_b32 v145, v116
.LBB56_21:
	s_and_saveexec_b64 s[12:13], s[8:9]
	s_cbranch_execz .LBB56_25
; %bb.22:
	v_subrev_u32_e32 v146, 54, v0
	s_movk_i32 s14, 0x1c8
	s_mov_b64 s[8:9], 0
.LBB56_23:                              ; =>This Inner Loop Header: Depth=1
	buffer_load_dword v147, v144, s[0:3], 0 offen
	v_mov_b32_e32 v148, s14
	ds_read_b32 v148, v148
	v_add_u32_e32 v146, -1, v146
	s_add_i32 s14, s14, 4
	v_cmp_eq_u32_e32 vcc, 0, v146
	v_add_u32_e32 v144, 4, v144
	s_or_b64 s[8:9], vcc, s[8:9]
	s_waitcnt vmcnt(0) lgkmcnt(0)
	v_fmac_f32_e32 v145, v147, v148
	s_andn2_b64 exec, exec, s[8:9]
	s_cbranch_execnz .LBB56_23
; %bb.24:
	s_or_b64 exec, exec, s[8:9]
.LBB56_25:
	s_or_b64 exec, exec, s[12:13]
	v_mov_b32_e32 v144, 0
	ds_read_b32 v144, v144 offset:212
	s_waitcnt lgkmcnt(0)
	v_mul_f32_e32 v144, v145, v144
	buffer_store_dword v144, off, s[0:3], 0 offset:212
.LBB56_26:
	s_or_b64 exec, exec, s[4:5]
	buffer_load_dword v144, off, s[0:3], 0 offset:208
	v_cmp_lt_u32_e64 s[4:5], 52, v0
	s_waitcnt vmcnt(0)
	ds_write_b32 v116, v144
	s_waitcnt lgkmcnt(0)
	; wave barrier
	s_waitcnt lgkmcnt(0)
	s_and_saveexec_b64 s[8:9], s[4:5]
	s_cbranch_execz .LBB56_36
; %bb.27:
	s_andn2_b64 vcc, exec, s[10:11]
	s_cbranch_vccnz .LBB56_29
; %bb.28:
	buffer_load_dword v144, v117, s[0:3], 0 offen
	ds_read_b32 v145, v116
	s_waitcnt vmcnt(0) lgkmcnt(0)
	v_mul_f32_e32 v144, v144, v145
	s_cbranch_execz .LBB56_30
	s_branch .LBB56_31
.LBB56_29:
                                        ; implicit-def: $vgpr144
.LBB56_30:
	ds_read_b32 v144, v116
.LBB56_31:
	s_and_saveexec_b64 s[12:13], s[6:7]
	s_cbranch_execz .LBB56_35
; %bb.32:
	v_mov_b32_e32 v145, 0
	v_add_u32_e32 v145, 0xd4, v145
	v_subrev_u32_e32 v146, 53, v0
	s_movk_i32 s14, 0x1c4
	s_mov_b64 s[6:7], 0
.LBB56_33:                              ; =>This Inner Loop Header: Depth=1
	buffer_load_dword v147, v145, s[0:3], 0 offen
	v_mov_b32_e32 v148, s14
	ds_read_b32 v148, v148
	v_add_u32_e32 v146, -1, v146
	s_add_i32 s14, s14, 4
	v_cmp_eq_u32_e32 vcc, 0, v146
	v_add_u32_e32 v145, 4, v145
	s_or_b64 s[6:7], vcc, s[6:7]
	s_waitcnt vmcnt(0) lgkmcnt(0)
	v_fmac_f32_e32 v144, v147, v148
	s_andn2_b64 exec, exec, s[6:7]
	s_cbranch_execnz .LBB56_33
; %bb.34:
	s_or_b64 exec, exec, s[6:7]
.LBB56_35:
	s_or_b64 exec, exec, s[12:13]
	v_mov_b32_e32 v145, 0
	ds_read_b32 v145, v145 offset:208
	s_waitcnt lgkmcnt(0)
	v_mul_f32_e32 v144, v144, v145
	buffer_store_dword v144, off, s[0:3], 0 offset:208
.LBB56_36:
	s_or_b64 exec, exec, s[8:9]
	buffer_load_dword v144, off, s[0:3], 0 offset:204
	v_cmp_lt_u32_e64 s[6:7], 51, v0
	s_waitcnt vmcnt(0)
	ds_write_b32 v116, v144
	s_waitcnt lgkmcnt(0)
	; wave barrier
	s_waitcnt lgkmcnt(0)
	s_and_saveexec_b64 s[8:9], s[6:7]
	s_cbranch_execz .LBB56_46
; %bb.37:
	s_andn2_b64 vcc, exec, s[10:11]
	s_cbranch_vccnz .LBB56_39
; %bb.38:
	buffer_load_dword v144, v117, s[0:3], 0 offen
	ds_read_b32 v145, v116
	s_waitcnt vmcnt(0) lgkmcnt(0)
	v_mul_f32_e32 v144, v144, v145
	s_cbranch_execz .LBB56_40
	s_branch .LBB56_41
.LBB56_39:
                                        ; implicit-def: $vgpr144
.LBB56_40:
	ds_read_b32 v144, v116
.LBB56_41:
	s_and_saveexec_b64 s[12:13], s[4:5]
	s_cbranch_execz .LBB56_45
; %bb.42:
	v_subrev_u32_e32 v145, 52, v0
	s_movk_i32 s14, 0x1c0
	s_mov_b64 s[4:5], 0
.LBB56_43:                              ; =>This Inner Loop Header: Depth=1
	buffer_load_dword v146, v143, s[0:3], 0 offen
	v_mov_b32_e32 v147, s14
	ds_read_b32 v147, v147
	v_add_u32_e32 v145, -1, v145
	s_add_i32 s14, s14, 4
	v_cmp_eq_u32_e32 vcc, 0, v145
	v_add_u32_e32 v143, 4, v143
	s_or_b64 s[4:5], vcc, s[4:5]
	s_waitcnt vmcnt(0) lgkmcnt(0)
	v_fmac_f32_e32 v144, v146, v147
	s_andn2_b64 exec, exec, s[4:5]
	s_cbranch_execnz .LBB56_43
; %bb.44:
	s_or_b64 exec, exec, s[4:5]
.LBB56_45:
	s_or_b64 exec, exec, s[12:13]
	v_mov_b32_e32 v143, 0
	ds_read_b32 v143, v143 offset:204
	s_waitcnt lgkmcnt(0)
	v_mul_f32_e32 v143, v144, v143
	buffer_store_dword v143, off, s[0:3], 0 offset:204
.LBB56_46:
	s_or_b64 exec, exec, s[8:9]
	buffer_load_dword v143, off, s[0:3], 0 offset:200
	v_cmp_lt_u32_e64 s[4:5], 50, v0
	s_waitcnt vmcnt(0)
	ds_write_b32 v116, v143
	s_waitcnt lgkmcnt(0)
	; wave barrier
	s_waitcnt lgkmcnt(0)
	s_and_saveexec_b64 s[8:9], s[4:5]
	s_cbranch_execz .LBB56_56
; %bb.47:
	s_andn2_b64 vcc, exec, s[10:11]
	s_cbranch_vccnz .LBB56_49
; %bb.48:
	buffer_load_dword v143, v117, s[0:3], 0 offen
	ds_read_b32 v144, v116
	s_waitcnt vmcnt(0) lgkmcnt(0)
	v_mul_f32_e32 v143, v143, v144
	s_cbranch_execz .LBB56_50
	s_branch .LBB56_51
.LBB56_49:
                                        ; implicit-def: $vgpr143
.LBB56_50:
	ds_read_b32 v143, v116
.LBB56_51:
	s_and_saveexec_b64 s[12:13], s[6:7]
	s_cbranch_execz .LBB56_55
; %bb.52:
	v_mov_b32_e32 v144, 0
	v_add_u32_e32 v144, 0xcc, v144
	v_subrev_u32_e32 v145, 51, v0
	s_movk_i32 s14, 0x1bc
	s_mov_b64 s[6:7], 0
.LBB56_53:                              ; =>This Inner Loop Header: Depth=1
	buffer_load_dword v146, v144, s[0:3], 0 offen
	v_mov_b32_e32 v147, s14
	ds_read_b32 v147, v147
	v_add_u32_e32 v145, -1, v145
	s_add_i32 s14, s14, 4
	v_cmp_eq_u32_e32 vcc, 0, v145
	v_add_u32_e32 v144, 4, v144
	s_or_b64 s[6:7], vcc, s[6:7]
	s_waitcnt vmcnt(0) lgkmcnt(0)
	v_fmac_f32_e32 v143, v146, v147
	s_andn2_b64 exec, exec, s[6:7]
	s_cbranch_execnz .LBB56_53
; %bb.54:
	s_or_b64 exec, exec, s[6:7]
.LBB56_55:
	s_or_b64 exec, exec, s[12:13]
	v_mov_b32_e32 v144, 0
	ds_read_b32 v144, v144 offset:200
	s_waitcnt lgkmcnt(0)
	v_mul_f32_e32 v143, v143, v144
	buffer_store_dword v143, off, s[0:3], 0 offset:200
.LBB56_56:
	s_or_b64 exec, exec, s[8:9]
	buffer_load_dword v143, off, s[0:3], 0 offset:196
	v_cmp_lt_u32_e64 s[6:7], 49, v0
	s_waitcnt vmcnt(0)
	ds_write_b32 v116, v143
	s_waitcnt lgkmcnt(0)
	; wave barrier
	s_waitcnt lgkmcnt(0)
	s_and_saveexec_b64 s[8:9], s[6:7]
	s_cbranch_execz .LBB56_66
; %bb.57:
	s_andn2_b64 vcc, exec, s[10:11]
	s_cbranch_vccnz .LBB56_59
; %bb.58:
	buffer_load_dword v143, v117, s[0:3], 0 offen
	ds_read_b32 v144, v116
	s_waitcnt vmcnt(0) lgkmcnt(0)
	v_mul_f32_e32 v143, v143, v144
	s_cbranch_execz .LBB56_60
	s_branch .LBB56_61
.LBB56_59:
                                        ; implicit-def: $vgpr143
.LBB56_60:
	ds_read_b32 v143, v116
.LBB56_61:
	s_and_saveexec_b64 s[12:13], s[4:5]
	s_cbranch_execz .LBB56_65
; %bb.62:
	v_subrev_u32_e32 v144, 50, v0
	s_movk_i32 s14, 0x1b8
	s_mov_b64 s[4:5], 0
.LBB56_63:                              ; =>This Inner Loop Header: Depth=1
	buffer_load_dword v145, v142, s[0:3], 0 offen
	v_mov_b32_e32 v146, s14
	ds_read_b32 v146, v146
	v_add_u32_e32 v144, -1, v144
	s_add_i32 s14, s14, 4
	v_cmp_eq_u32_e32 vcc, 0, v144
	v_add_u32_e32 v142, 4, v142
	s_or_b64 s[4:5], vcc, s[4:5]
	s_waitcnt vmcnt(0) lgkmcnt(0)
	v_fmac_f32_e32 v143, v145, v146
	s_andn2_b64 exec, exec, s[4:5]
	s_cbranch_execnz .LBB56_63
; %bb.64:
	s_or_b64 exec, exec, s[4:5]
.LBB56_65:
	s_or_b64 exec, exec, s[12:13]
	v_mov_b32_e32 v142, 0
	ds_read_b32 v142, v142 offset:196
	s_waitcnt lgkmcnt(0)
	v_mul_f32_e32 v142, v143, v142
	buffer_store_dword v142, off, s[0:3], 0 offset:196
.LBB56_66:
	s_or_b64 exec, exec, s[8:9]
	buffer_load_dword v142, off, s[0:3], 0 offset:192
	v_cmp_lt_u32_e64 s[4:5], 48, v0
	s_waitcnt vmcnt(0)
	ds_write_b32 v116, v142
	s_waitcnt lgkmcnt(0)
	; wave barrier
	s_waitcnt lgkmcnt(0)
	s_and_saveexec_b64 s[8:9], s[4:5]
	s_cbranch_execz .LBB56_76
; %bb.67:
	s_andn2_b64 vcc, exec, s[10:11]
	s_cbranch_vccnz .LBB56_69
; %bb.68:
	buffer_load_dword v142, v117, s[0:3], 0 offen
	ds_read_b32 v143, v116
	s_waitcnt vmcnt(0) lgkmcnt(0)
	v_mul_f32_e32 v142, v142, v143
	s_cbranch_execz .LBB56_70
	s_branch .LBB56_71
.LBB56_69:
                                        ; implicit-def: $vgpr142
.LBB56_70:
	ds_read_b32 v142, v116
.LBB56_71:
	s_and_saveexec_b64 s[12:13], s[6:7]
	s_cbranch_execz .LBB56_75
; %bb.72:
	v_mov_b32_e32 v143, 0
	v_add_u32_e32 v143, 0xc4, v143
	v_subrev_u32_e32 v144, 49, v0
	s_movk_i32 s14, 0x1b4
	s_mov_b64 s[6:7], 0
.LBB56_73:                              ; =>This Inner Loop Header: Depth=1
	buffer_load_dword v145, v143, s[0:3], 0 offen
	v_mov_b32_e32 v146, s14
	ds_read_b32 v146, v146
	v_add_u32_e32 v144, -1, v144
	s_add_i32 s14, s14, 4
	v_cmp_eq_u32_e32 vcc, 0, v144
	v_add_u32_e32 v143, 4, v143
	s_or_b64 s[6:7], vcc, s[6:7]
	s_waitcnt vmcnt(0) lgkmcnt(0)
	v_fmac_f32_e32 v142, v145, v146
	s_andn2_b64 exec, exec, s[6:7]
	s_cbranch_execnz .LBB56_73
; %bb.74:
	s_or_b64 exec, exec, s[6:7]
.LBB56_75:
	s_or_b64 exec, exec, s[12:13]
	v_mov_b32_e32 v143, 0
	ds_read_b32 v143, v143 offset:192
	s_waitcnt lgkmcnt(0)
	v_mul_f32_e32 v142, v142, v143
	buffer_store_dword v142, off, s[0:3], 0 offset:192
.LBB56_76:
	s_or_b64 exec, exec, s[8:9]
	buffer_load_dword v142, off, s[0:3], 0 offset:188
	v_cmp_lt_u32_e64 s[6:7], 47, v0
	s_waitcnt vmcnt(0)
	ds_write_b32 v116, v142
	s_waitcnt lgkmcnt(0)
	; wave barrier
	s_waitcnt lgkmcnt(0)
	s_and_saveexec_b64 s[8:9], s[6:7]
	s_cbranch_execz .LBB56_86
; %bb.77:
	s_andn2_b64 vcc, exec, s[10:11]
	s_cbranch_vccnz .LBB56_79
; %bb.78:
	buffer_load_dword v142, v117, s[0:3], 0 offen
	ds_read_b32 v143, v116
	s_waitcnt vmcnt(0) lgkmcnt(0)
	v_mul_f32_e32 v142, v142, v143
	s_cbranch_execz .LBB56_80
	s_branch .LBB56_81
.LBB56_79:
                                        ; implicit-def: $vgpr142
.LBB56_80:
	ds_read_b32 v142, v116
.LBB56_81:
	s_and_saveexec_b64 s[12:13], s[4:5]
	s_cbranch_execz .LBB56_85
; %bb.82:
	v_subrev_u32_e32 v143, 48, v0
	s_movk_i32 s14, 0x1b0
	s_mov_b64 s[4:5], 0
.LBB56_83:                              ; =>This Inner Loop Header: Depth=1
	buffer_load_dword v144, v141, s[0:3], 0 offen
	v_mov_b32_e32 v145, s14
	ds_read_b32 v145, v145
	v_add_u32_e32 v143, -1, v143
	s_add_i32 s14, s14, 4
	v_cmp_eq_u32_e32 vcc, 0, v143
	v_add_u32_e32 v141, 4, v141
	s_or_b64 s[4:5], vcc, s[4:5]
	s_waitcnt vmcnt(0) lgkmcnt(0)
	v_fmac_f32_e32 v142, v144, v145
	s_andn2_b64 exec, exec, s[4:5]
	s_cbranch_execnz .LBB56_83
; %bb.84:
	s_or_b64 exec, exec, s[4:5]
.LBB56_85:
	s_or_b64 exec, exec, s[12:13]
	v_mov_b32_e32 v141, 0
	ds_read_b32 v141, v141 offset:188
	s_waitcnt lgkmcnt(0)
	v_mul_f32_e32 v141, v142, v141
	buffer_store_dword v141, off, s[0:3], 0 offset:188
.LBB56_86:
	s_or_b64 exec, exec, s[8:9]
	buffer_load_dword v141, off, s[0:3], 0 offset:184
	v_cmp_lt_u32_e64 s[4:5], 46, v0
	s_waitcnt vmcnt(0)
	ds_write_b32 v116, v141
	s_waitcnt lgkmcnt(0)
	; wave barrier
	s_waitcnt lgkmcnt(0)
	s_and_saveexec_b64 s[8:9], s[4:5]
	s_cbranch_execz .LBB56_96
; %bb.87:
	s_andn2_b64 vcc, exec, s[10:11]
	s_cbranch_vccnz .LBB56_89
; %bb.88:
	buffer_load_dword v141, v117, s[0:3], 0 offen
	ds_read_b32 v142, v116
	s_waitcnt vmcnt(0) lgkmcnt(0)
	v_mul_f32_e32 v141, v141, v142
	s_cbranch_execz .LBB56_90
	s_branch .LBB56_91
.LBB56_89:
                                        ; implicit-def: $vgpr141
.LBB56_90:
	ds_read_b32 v141, v116
.LBB56_91:
	s_and_saveexec_b64 s[12:13], s[6:7]
	s_cbranch_execz .LBB56_95
; %bb.92:
	v_mov_b32_e32 v142, 0
	v_add_u32_e32 v142, 0xbc, v142
	v_subrev_u32_e32 v143, 47, v0
	s_movk_i32 s14, 0x1ac
	s_mov_b64 s[6:7], 0
.LBB56_93:                              ; =>This Inner Loop Header: Depth=1
	buffer_load_dword v144, v142, s[0:3], 0 offen
	v_mov_b32_e32 v145, s14
	ds_read_b32 v145, v145
	v_add_u32_e32 v143, -1, v143
	s_add_i32 s14, s14, 4
	v_cmp_eq_u32_e32 vcc, 0, v143
	v_add_u32_e32 v142, 4, v142
	s_or_b64 s[6:7], vcc, s[6:7]
	s_waitcnt vmcnt(0) lgkmcnt(0)
	v_fmac_f32_e32 v141, v144, v145
	s_andn2_b64 exec, exec, s[6:7]
	s_cbranch_execnz .LBB56_93
; %bb.94:
	s_or_b64 exec, exec, s[6:7]
.LBB56_95:
	s_or_b64 exec, exec, s[12:13]
	v_mov_b32_e32 v142, 0
	ds_read_b32 v142, v142 offset:184
	s_waitcnt lgkmcnt(0)
	v_mul_f32_e32 v141, v141, v142
	buffer_store_dword v141, off, s[0:3], 0 offset:184
.LBB56_96:
	s_or_b64 exec, exec, s[8:9]
	buffer_load_dword v141, off, s[0:3], 0 offset:180
	v_cmp_lt_u32_e64 s[6:7], 45, v0
	s_waitcnt vmcnt(0)
	ds_write_b32 v116, v141
	s_waitcnt lgkmcnt(0)
	; wave barrier
	s_waitcnt lgkmcnt(0)
	s_and_saveexec_b64 s[8:9], s[6:7]
	s_cbranch_execz .LBB56_106
; %bb.97:
	s_andn2_b64 vcc, exec, s[10:11]
	s_cbranch_vccnz .LBB56_99
; %bb.98:
	buffer_load_dword v141, v117, s[0:3], 0 offen
	ds_read_b32 v142, v116
	s_waitcnt vmcnt(0) lgkmcnt(0)
	v_mul_f32_e32 v141, v141, v142
	s_cbranch_execz .LBB56_100
	s_branch .LBB56_101
.LBB56_99:
                                        ; implicit-def: $vgpr141
.LBB56_100:
	ds_read_b32 v141, v116
.LBB56_101:
	s_and_saveexec_b64 s[12:13], s[4:5]
	s_cbranch_execz .LBB56_105
; %bb.102:
	v_subrev_u32_e32 v142, 46, v0
	s_movk_i32 s14, 0x1a8
	s_mov_b64 s[4:5], 0
.LBB56_103:                             ; =>This Inner Loop Header: Depth=1
	buffer_load_dword v143, v140, s[0:3], 0 offen
	v_mov_b32_e32 v144, s14
	ds_read_b32 v144, v144
	v_add_u32_e32 v142, -1, v142
	s_add_i32 s14, s14, 4
	v_cmp_eq_u32_e32 vcc, 0, v142
	v_add_u32_e32 v140, 4, v140
	s_or_b64 s[4:5], vcc, s[4:5]
	s_waitcnt vmcnt(0) lgkmcnt(0)
	v_fmac_f32_e32 v141, v143, v144
	s_andn2_b64 exec, exec, s[4:5]
	s_cbranch_execnz .LBB56_103
; %bb.104:
	s_or_b64 exec, exec, s[4:5]
.LBB56_105:
	s_or_b64 exec, exec, s[12:13]
	v_mov_b32_e32 v140, 0
	ds_read_b32 v140, v140 offset:180
	s_waitcnt lgkmcnt(0)
	v_mul_f32_e32 v140, v141, v140
	buffer_store_dword v140, off, s[0:3], 0 offset:180
.LBB56_106:
	s_or_b64 exec, exec, s[8:9]
	buffer_load_dword v140, off, s[0:3], 0 offset:176
	v_cmp_lt_u32_e64 s[4:5], 44, v0
	s_waitcnt vmcnt(0)
	ds_write_b32 v116, v140
	s_waitcnt lgkmcnt(0)
	; wave barrier
	s_waitcnt lgkmcnt(0)
	s_and_saveexec_b64 s[8:9], s[4:5]
	s_cbranch_execz .LBB56_116
; %bb.107:
	s_andn2_b64 vcc, exec, s[10:11]
	s_cbranch_vccnz .LBB56_109
; %bb.108:
	buffer_load_dword v140, v117, s[0:3], 0 offen
	ds_read_b32 v141, v116
	s_waitcnt vmcnt(0) lgkmcnt(0)
	v_mul_f32_e32 v140, v140, v141
	s_cbranch_execz .LBB56_110
	s_branch .LBB56_111
.LBB56_109:
                                        ; implicit-def: $vgpr140
.LBB56_110:
	ds_read_b32 v140, v116
.LBB56_111:
	s_and_saveexec_b64 s[12:13], s[6:7]
	s_cbranch_execz .LBB56_115
; %bb.112:
	v_mov_b32_e32 v141, 0
	v_add_u32_e32 v141, 0xb4, v141
	v_subrev_u32_e32 v142, 45, v0
	s_movk_i32 s14, 0x1a4
	s_mov_b64 s[6:7], 0
.LBB56_113:                             ; =>This Inner Loop Header: Depth=1
	buffer_load_dword v143, v141, s[0:3], 0 offen
	v_mov_b32_e32 v144, s14
	ds_read_b32 v144, v144
	v_add_u32_e32 v142, -1, v142
	s_add_i32 s14, s14, 4
	v_cmp_eq_u32_e32 vcc, 0, v142
	v_add_u32_e32 v141, 4, v141
	s_or_b64 s[6:7], vcc, s[6:7]
	s_waitcnt vmcnt(0) lgkmcnt(0)
	v_fmac_f32_e32 v140, v143, v144
	s_andn2_b64 exec, exec, s[6:7]
	s_cbranch_execnz .LBB56_113
; %bb.114:
	s_or_b64 exec, exec, s[6:7]
.LBB56_115:
	s_or_b64 exec, exec, s[12:13]
	v_mov_b32_e32 v141, 0
	ds_read_b32 v141, v141 offset:176
	s_waitcnt lgkmcnt(0)
	v_mul_f32_e32 v140, v140, v141
	buffer_store_dword v140, off, s[0:3], 0 offset:176
.LBB56_116:
	s_or_b64 exec, exec, s[8:9]
	buffer_load_dword v140, off, s[0:3], 0 offset:172
	v_cmp_lt_u32_e64 s[6:7], 43, v0
	s_waitcnt vmcnt(0)
	ds_write_b32 v116, v140
	s_waitcnt lgkmcnt(0)
	; wave barrier
	s_waitcnt lgkmcnt(0)
	s_and_saveexec_b64 s[8:9], s[6:7]
	s_cbranch_execz .LBB56_126
; %bb.117:
	s_andn2_b64 vcc, exec, s[10:11]
	s_cbranch_vccnz .LBB56_119
; %bb.118:
	buffer_load_dword v140, v117, s[0:3], 0 offen
	ds_read_b32 v141, v116
	s_waitcnt vmcnt(0) lgkmcnt(0)
	v_mul_f32_e32 v140, v140, v141
	s_cbranch_execz .LBB56_120
	s_branch .LBB56_121
.LBB56_119:
                                        ; implicit-def: $vgpr140
.LBB56_120:
	ds_read_b32 v140, v116
.LBB56_121:
	s_and_saveexec_b64 s[12:13], s[4:5]
	s_cbranch_execz .LBB56_125
; %bb.122:
	v_subrev_u32_e32 v141, 44, v0
	s_movk_i32 s14, 0x1a0
	s_mov_b64 s[4:5], 0
.LBB56_123:                             ; =>This Inner Loop Header: Depth=1
	buffer_load_dword v142, v139, s[0:3], 0 offen
	v_mov_b32_e32 v143, s14
	ds_read_b32 v143, v143
	v_add_u32_e32 v141, -1, v141
	s_add_i32 s14, s14, 4
	v_cmp_eq_u32_e32 vcc, 0, v141
	v_add_u32_e32 v139, 4, v139
	s_or_b64 s[4:5], vcc, s[4:5]
	s_waitcnt vmcnt(0) lgkmcnt(0)
	v_fmac_f32_e32 v140, v142, v143
	s_andn2_b64 exec, exec, s[4:5]
	s_cbranch_execnz .LBB56_123
; %bb.124:
	s_or_b64 exec, exec, s[4:5]
.LBB56_125:
	s_or_b64 exec, exec, s[12:13]
	v_mov_b32_e32 v139, 0
	ds_read_b32 v139, v139 offset:172
	s_waitcnt lgkmcnt(0)
	v_mul_f32_e32 v139, v140, v139
	buffer_store_dword v139, off, s[0:3], 0 offset:172
.LBB56_126:
	s_or_b64 exec, exec, s[8:9]
	buffer_load_dword v139, off, s[0:3], 0 offset:168
	v_cmp_lt_u32_e64 s[4:5], 42, v0
	s_waitcnt vmcnt(0)
	ds_write_b32 v116, v139
	s_waitcnt lgkmcnt(0)
	; wave barrier
	s_waitcnt lgkmcnt(0)
	s_and_saveexec_b64 s[8:9], s[4:5]
	s_cbranch_execz .LBB56_136
; %bb.127:
	s_andn2_b64 vcc, exec, s[10:11]
	s_cbranch_vccnz .LBB56_129
; %bb.128:
	buffer_load_dword v139, v117, s[0:3], 0 offen
	ds_read_b32 v140, v116
	s_waitcnt vmcnt(0) lgkmcnt(0)
	v_mul_f32_e32 v139, v139, v140
	s_cbranch_execz .LBB56_130
	s_branch .LBB56_131
.LBB56_129:
                                        ; implicit-def: $vgpr139
.LBB56_130:
	ds_read_b32 v139, v116
.LBB56_131:
	s_and_saveexec_b64 s[12:13], s[6:7]
	s_cbranch_execz .LBB56_135
; %bb.132:
	v_mov_b32_e32 v140, 0
	v_add_u32_e32 v140, 0xac, v140
	v_subrev_u32_e32 v141, 43, v0
	s_movk_i32 s14, 0x19c
	s_mov_b64 s[6:7], 0
.LBB56_133:                             ; =>This Inner Loop Header: Depth=1
	buffer_load_dword v142, v140, s[0:3], 0 offen
	v_mov_b32_e32 v143, s14
	ds_read_b32 v143, v143
	v_add_u32_e32 v141, -1, v141
	s_add_i32 s14, s14, 4
	v_cmp_eq_u32_e32 vcc, 0, v141
	v_add_u32_e32 v140, 4, v140
	s_or_b64 s[6:7], vcc, s[6:7]
	s_waitcnt vmcnt(0) lgkmcnt(0)
	v_fmac_f32_e32 v139, v142, v143
	s_andn2_b64 exec, exec, s[6:7]
	s_cbranch_execnz .LBB56_133
; %bb.134:
	s_or_b64 exec, exec, s[6:7]
.LBB56_135:
	s_or_b64 exec, exec, s[12:13]
	v_mov_b32_e32 v140, 0
	ds_read_b32 v140, v140 offset:168
	s_waitcnt lgkmcnt(0)
	v_mul_f32_e32 v139, v139, v140
	buffer_store_dword v139, off, s[0:3], 0 offset:168
.LBB56_136:
	s_or_b64 exec, exec, s[8:9]
	buffer_load_dword v139, off, s[0:3], 0 offset:164
	v_cmp_lt_u32_e64 s[6:7], 41, v0
	s_waitcnt vmcnt(0)
	ds_write_b32 v116, v139
	s_waitcnt lgkmcnt(0)
	; wave barrier
	s_waitcnt lgkmcnt(0)
	s_and_saveexec_b64 s[8:9], s[6:7]
	s_cbranch_execz .LBB56_146
; %bb.137:
	s_andn2_b64 vcc, exec, s[10:11]
	s_cbranch_vccnz .LBB56_139
; %bb.138:
	buffer_load_dword v139, v117, s[0:3], 0 offen
	ds_read_b32 v140, v116
	s_waitcnt vmcnt(0) lgkmcnt(0)
	v_mul_f32_e32 v139, v139, v140
	s_cbranch_execz .LBB56_140
	s_branch .LBB56_141
.LBB56_139:
                                        ; implicit-def: $vgpr139
.LBB56_140:
	ds_read_b32 v139, v116
.LBB56_141:
	s_and_saveexec_b64 s[12:13], s[4:5]
	s_cbranch_execz .LBB56_145
; %bb.142:
	v_subrev_u32_e32 v140, 42, v0
	s_movk_i32 s14, 0x198
	s_mov_b64 s[4:5], 0
.LBB56_143:                             ; =>This Inner Loop Header: Depth=1
	buffer_load_dword v141, v138, s[0:3], 0 offen
	v_mov_b32_e32 v142, s14
	ds_read_b32 v142, v142
	v_add_u32_e32 v140, -1, v140
	s_add_i32 s14, s14, 4
	v_cmp_eq_u32_e32 vcc, 0, v140
	v_add_u32_e32 v138, 4, v138
	s_or_b64 s[4:5], vcc, s[4:5]
	s_waitcnt vmcnt(0) lgkmcnt(0)
	v_fmac_f32_e32 v139, v141, v142
	s_andn2_b64 exec, exec, s[4:5]
	s_cbranch_execnz .LBB56_143
; %bb.144:
	s_or_b64 exec, exec, s[4:5]
.LBB56_145:
	s_or_b64 exec, exec, s[12:13]
	v_mov_b32_e32 v138, 0
	ds_read_b32 v138, v138 offset:164
	s_waitcnt lgkmcnt(0)
	v_mul_f32_e32 v138, v139, v138
	buffer_store_dword v138, off, s[0:3], 0 offset:164
.LBB56_146:
	s_or_b64 exec, exec, s[8:9]
	buffer_load_dword v138, off, s[0:3], 0 offset:160
	v_cmp_lt_u32_e64 s[4:5], 40, v0
	s_waitcnt vmcnt(0)
	ds_write_b32 v116, v138
	s_waitcnt lgkmcnt(0)
	; wave barrier
	s_waitcnt lgkmcnt(0)
	s_and_saveexec_b64 s[8:9], s[4:5]
	s_cbranch_execz .LBB56_156
; %bb.147:
	s_andn2_b64 vcc, exec, s[10:11]
	s_cbranch_vccnz .LBB56_149
; %bb.148:
	buffer_load_dword v138, v117, s[0:3], 0 offen
	ds_read_b32 v139, v116
	s_waitcnt vmcnt(0) lgkmcnt(0)
	v_mul_f32_e32 v138, v138, v139
	s_cbranch_execz .LBB56_150
	s_branch .LBB56_151
.LBB56_149:
                                        ; implicit-def: $vgpr138
.LBB56_150:
	ds_read_b32 v138, v116
.LBB56_151:
	s_and_saveexec_b64 s[12:13], s[6:7]
	s_cbranch_execz .LBB56_155
; %bb.152:
	v_mov_b32_e32 v139, 0
	v_add_u32_e32 v139, 0xa4, v139
	v_subrev_u32_e32 v140, 41, v0
	s_movk_i32 s14, 0x194
	s_mov_b64 s[6:7], 0
.LBB56_153:                             ; =>This Inner Loop Header: Depth=1
	buffer_load_dword v141, v139, s[0:3], 0 offen
	v_mov_b32_e32 v142, s14
	ds_read_b32 v142, v142
	v_add_u32_e32 v140, -1, v140
	s_add_i32 s14, s14, 4
	v_cmp_eq_u32_e32 vcc, 0, v140
	v_add_u32_e32 v139, 4, v139
	s_or_b64 s[6:7], vcc, s[6:7]
	s_waitcnt vmcnt(0) lgkmcnt(0)
	v_fmac_f32_e32 v138, v141, v142
	s_andn2_b64 exec, exec, s[6:7]
	s_cbranch_execnz .LBB56_153
; %bb.154:
	s_or_b64 exec, exec, s[6:7]
.LBB56_155:
	s_or_b64 exec, exec, s[12:13]
	v_mov_b32_e32 v139, 0
	ds_read_b32 v139, v139 offset:160
	s_waitcnt lgkmcnt(0)
	v_mul_f32_e32 v138, v138, v139
	buffer_store_dword v138, off, s[0:3], 0 offset:160
.LBB56_156:
	s_or_b64 exec, exec, s[8:9]
	buffer_load_dword v138, off, s[0:3], 0 offset:156
	v_cmp_lt_u32_e64 s[6:7], 39, v0
	s_waitcnt vmcnt(0)
	ds_write_b32 v116, v138
	s_waitcnt lgkmcnt(0)
	; wave barrier
	s_waitcnt lgkmcnt(0)
	s_and_saveexec_b64 s[8:9], s[6:7]
	s_cbranch_execz .LBB56_166
; %bb.157:
	s_andn2_b64 vcc, exec, s[10:11]
	s_cbranch_vccnz .LBB56_159
; %bb.158:
	buffer_load_dword v138, v117, s[0:3], 0 offen
	ds_read_b32 v139, v116
	s_waitcnt vmcnt(0) lgkmcnt(0)
	v_mul_f32_e32 v138, v138, v139
	s_cbranch_execz .LBB56_160
	s_branch .LBB56_161
.LBB56_159:
                                        ; implicit-def: $vgpr138
.LBB56_160:
	ds_read_b32 v138, v116
.LBB56_161:
	s_and_saveexec_b64 s[12:13], s[4:5]
	s_cbranch_execz .LBB56_165
; %bb.162:
	v_subrev_u32_e32 v139, 40, v0
	s_movk_i32 s14, 0x190
	s_mov_b64 s[4:5], 0
.LBB56_163:                             ; =>This Inner Loop Header: Depth=1
	buffer_load_dword v140, v137, s[0:3], 0 offen
	v_mov_b32_e32 v141, s14
	ds_read_b32 v141, v141
	v_add_u32_e32 v139, -1, v139
	s_add_i32 s14, s14, 4
	v_cmp_eq_u32_e32 vcc, 0, v139
	v_add_u32_e32 v137, 4, v137
	s_or_b64 s[4:5], vcc, s[4:5]
	s_waitcnt vmcnt(0) lgkmcnt(0)
	v_fmac_f32_e32 v138, v140, v141
	s_andn2_b64 exec, exec, s[4:5]
	s_cbranch_execnz .LBB56_163
; %bb.164:
	s_or_b64 exec, exec, s[4:5]
.LBB56_165:
	s_or_b64 exec, exec, s[12:13]
	v_mov_b32_e32 v137, 0
	ds_read_b32 v137, v137 offset:156
	s_waitcnt lgkmcnt(0)
	v_mul_f32_e32 v137, v138, v137
	buffer_store_dword v137, off, s[0:3], 0 offset:156
.LBB56_166:
	s_or_b64 exec, exec, s[8:9]
	buffer_load_dword v137, off, s[0:3], 0 offset:152
	v_cmp_lt_u32_e64 s[4:5], 38, v0
	s_waitcnt vmcnt(0)
	ds_write_b32 v116, v137
	s_waitcnt lgkmcnt(0)
	; wave barrier
	s_waitcnt lgkmcnt(0)
	s_and_saveexec_b64 s[8:9], s[4:5]
	s_cbranch_execz .LBB56_176
; %bb.167:
	s_andn2_b64 vcc, exec, s[10:11]
	s_cbranch_vccnz .LBB56_169
; %bb.168:
	buffer_load_dword v137, v117, s[0:3], 0 offen
	ds_read_b32 v138, v116
	s_waitcnt vmcnt(0) lgkmcnt(0)
	v_mul_f32_e32 v137, v137, v138
	s_cbranch_execz .LBB56_170
	s_branch .LBB56_171
.LBB56_169:
                                        ; implicit-def: $vgpr137
.LBB56_170:
	ds_read_b32 v137, v116
.LBB56_171:
	s_and_saveexec_b64 s[12:13], s[6:7]
	s_cbranch_execz .LBB56_175
; %bb.172:
	v_mov_b32_e32 v138, 0
	v_add_u32_e32 v138, 0x9c, v138
	v_subrev_u32_e32 v139, 39, v0
	s_movk_i32 s14, 0x18c
	s_mov_b64 s[6:7], 0
.LBB56_173:                             ; =>This Inner Loop Header: Depth=1
	buffer_load_dword v140, v138, s[0:3], 0 offen
	v_mov_b32_e32 v141, s14
	ds_read_b32 v141, v141
	v_add_u32_e32 v139, -1, v139
	s_add_i32 s14, s14, 4
	v_cmp_eq_u32_e32 vcc, 0, v139
	v_add_u32_e32 v138, 4, v138
	s_or_b64 s[6:7], vcc, s[6:7]
	s_waitcnt vmcnt(0) lgkmcnt(0)
	v_fmac_f32_e32 v137, v140, v141
	s_andn2_b64 exec, exec, s[6:7]
	s_cbranch_execnz .LBB56_173
; %bb.174:
	s_or_b64 exec, exec, s[6:7]
.LBB56_175:
	s_or_b64 exec, exec, s[12:13]
	v_mov_b32_e32 v138, 0
	ds_read_b32 v138, v138 offset:152
	s_waitcnt lgkmcnt(0)
	v_mul_f32_e32 v137, v137, v138
	buffer_store_dword v137, off, s[0:3], 0 offset:152
.LBB56_176:
	s_or_b64 exec, exec, s[8:9]
	buffer_load_dword v137, off, s[0:3], 0 offset:148
	v_cmp_lt_u32_e64 s[6:7], 37, v0
	s_waitcnt vmcnt(0)
	ds_write_b32 v116, v137
	s_waitcnt lgkmcnt(0)
	; wave barrier
	s_waitcnt lgkmcnt(0)
	s_and_saveexec_b64 s[8:9], s[6:7]
	s_cbranch_execz .LBB56_186
; %bb.177:
	s_andn2_b64 vcc, exec, s[10:11]
	s_cbranch_vccnz .LBB56_179
; %bb.178:
	buffer_load_dword v137, v117, s[0:3], 0 offen
	ds_read_b32 v138, v116
	s_waitcnt vmcnt(0) lgkmcnt(0)
	v_mul_f32_e32 v137, v137, v138
	s_cbranch_execz .LBB56_180
	s_branch .LBB56_181
.LBB56_179:
                                        ; implicit-def: $vgpr137
.LBB56_180:
	ds_read_b32 v137, v116
.LBB56_181:
	s_and_saveexec_b64 s[12:13], s[4:5]
	s_cbranch_execz .LBB56_185
; %bb.182:
	v_subrev_u32_e32 v138, 38, v0
	s_movk_i32 s14, 0x188
	s_mov_b64 s[4:5], 0
.LBB56_183:                             ; =>This Inner Loop Header: Depth=1
	buffer_load_dword v139, v136, s[0:3], 0 offen
	v_mov_b32_e32 v140, s14
	ds_read_b32 v140, v140
	v_add_u32_e32 v138, -1, v138
	s_add_i32 s14, s14, 4
	v_cmp_eq_u32_e32 vcc, 0, v138
	v_add_u32_e32 v136, 4, v136
	s_or_b64 s[4:5], vcc, s[4:5]
	s_waitcnt vmcnt(0) lgkmcnt(0)
	v_fmac_f32_e32 v137, v139, v140
	s_andn2_b64 exec, exec, s[4:5]
	s_cbranch_execnz .LBB56_183
; %bb.184:
	s_or_b64 exec, exec, s[4:5]
.LBB56_185:
	s_or_b64 exec, exec, s[12:13]
	v_mov_b32_e32 v136, 0
	ds_read_b32 v136, v136 offset:148
	s_waitcnt lgkmcnt(0)
	v_mul_f32_e32 v136, v137, v136
	buffer_store_dword v136, off, s[0:3], 0 offset:148
.LBB56_186:
	s_or_b64 exec, exec, s[8:9]
	buffer_load_dword v136, off, s[0:3], 0 offset:144
	v_cmp_lt_u32_e64 s[4:5], 36, v0
	s_waitcnt vmcnt(0)
	ds_write_b32 v116, v136
	s_waitcnt lgkmcnt(0)
	; wave barrier
	s_waitcnt lgkmcnt(0)
	s_and_saveexec_b64 s[8:9], s[4:5]
	s_cbranch_execz .LBB56_196
; %bb.187:
	s_andn2_b64 vcc, exec, s[10:11]
	s_cbranch_vccnz .LBB56_189
; %bb.188:
	buffer_load_dword v136, v117, s[0:3], 0 offen
	ds_read_b32 v137, v116
	s_waitcnt vmcnt(0) lgkmcnt(0)
	v_mul_f32_e32 v136, v136, v137
	s_cbranch_execz .LBB56_190
	s_branch .LBB56_191
.LBB56_189:
                                        ; implicit-def: $vgpr136
.LBB56_190:
	ds_read_b32 v136, v116
.LBB56_191:
	s_and_saveexec_b64 s[12:13], s[6:7]
	s_cbranch_execz .LBB56_195
; %bb.192:
	v_mov_b32_e32 v137, 0
	v_add_u32_e32 v137, 0x94, v137
	v_subrev_u32_e32 v138, 37, v0
	s_movk_i32 s14, 0x184
	s_mov_b64 s[6:7], 0
.LBB56_193:                             ; =>This Inner Loop Header: Depth=1
	buffer_load_dword v139, v137, s[0:3], 0 offen
	v_mov_b32_e32 v140, s14
	ds_read_b32 v140, v140
	v_add_u32_e32 v138, -1, v138
	s_add_i32 s14, s14, 4
	v_cmp_eq_u32_e32 vcc, 0, v138
	v_add_u32_e32 v137, 4, v137
	s_or_b64 s[6:7], vcc, s[6:7]
	s_waitcnt vmcnt(0) lgkmcnt(0)
	v_fmac_f32_e32 v136, v139, v140
	s_andn2_b64 exec, exec, s[6:7]
	s_cbranch_execnz .LBB56_193
; %bb.194:
	s_or_b64 exec, exec, s[6:7]
.LBB56_195:
	s_or_b64 exec, exec, s[12:13]
	v_mov_b32_e32 v137, 0
	ds_read_b32 v137, v137 offset:144
	s_waitcnt lgkmcnt(0)
	v_mul_f32_e32 v136, v136, v137
	buffer_store_dword v136, off, s[0:3], 0 offset:144
.LBB56_196:
	s_or_b64 exec, exec, s[8:9]
	buffer_load_dword v136, off, s[0:3], 0 offset:140
	v_cmp_lt_u32_e64 s[6:7], 35, v0
	s_waitcnt vmcnt(0)
	ds_write_b32 v116, v136
	s_waitcnt lgkmcnt(0)
	; wave barrier
	s_waitcnt lgkmcnt(0)
	s_and_saveexec_b64 s[8:9], s[6:7]
	s_cbranch_execz .LBB56_206
; %bb.197:
	s_andn2_b64 vcc, exec, s[10:11]
	s_cbranch_vccnz .LBB56_199
; %bb.198:
	buffer_load_dword v136, v117, s[0:3], 0 offen
	ds_read_b32 v137, v116
	s_waitcnt vmcnt(0) lgkmcnt(0)
	v_mul_f32_e32 v136, v136, v137
	s_cbranch_execz .LBB56_200
	s_branch .LBB56_201
.LBB56_199:
                                        ; implicit-def: $vgpr136
.LBB56_200:
	ds_read_b32 v136, v116
.LBB56_201:
	s_and_saveexec_b64 s[12:13], s[4:5]
	s_cbranch_execz .LBB56_205
; %bb.202:
	v_subrev_u32_e32 v137, 36, v0
	s_movk_i32 s14, 0x180
	s_mov_b64 s[4:5], 0
.LBB56_203:                             ; =>This Inner Loop Header: Depth=1
	buffer_load_dword v138, v135, s[0:3], 0 offen
	v_mov_b32_e32 v139, s14
	ds_read_b32 v139, v139
	v_add_u32_e32 v137, -1, v137
	s_add_i32 s14, s14, 4
	v_cmp_eq_u32_e32 vcc, 0, v137
	v_add_u32_e32 v135, 4, v135
	s_or_b64 s[4:5], vcc, s[4:5]
	s_waitcnt vmcnt(0) lgkmcnt(0)
	v_fmac_f32_e32 v136, v138, v139
	s_andn2_b64 exec, exec, s[4:5]
	s_cbranch_execnz .LBB56_203
; %bb.204:
	s_or_b64 exec, exec, s[4:5]
.LBB56_205:
	s_or_b64 exec, exec, s[12:13]
	v_mov_b32_e32 v135, 0
	ds_read_b32 v135, v135 offset:140
	s_waitcnt lgkmcnt(0)
	v_mul_f32_e32 v135, v136, v135
	buffer_store_dword v135, off, s[0:3], 0 offset:140
.LBB56_206:
	s_or_b64 exec, exec, s[8:9]
	buffer_load_dword v135, off, s[0:3], 0 offset:136
	v_cmp_lt_u32_e64 s[4:5], 34, v0
	s_waitcnt vmcnt(0)
	ds_write_b32 v116, v135
	s_waitcnt lgkmcnt(0)
	; wave barrier
	s_waitcnt lgkmcnt(0)
	s_and_saveexec_b64 s[8:9], s[4:5]
	s_cbranch_execz .LBB56_216
; %bb.207:
	s_andn2_b64 vcc, exec, s[10:11]
	s_cbranch_vccnz .LBB56_209
; %bb.208:
	buffer_load_dword v135, v117, s[0:3], 0 offen
	ds_read_b32 v136, v116
	s_waitcnt vmcnt(0) lgkmcnt(0)
	v_mul_f32_e32 v135, v135, v136
	s_cbranch_execz .LBB56_210
	s_branch .LBB56_211
.LBB56_209:
                                        ; implicit-def: $vgpr135
.LBB56_210:
	ds_read_b32 v135, v116
.LBB56_211:
	s_and_saveexec_b64 s[12:13], s[6:7]
	s_cbranch_execz .LBB56_215
; %bb.212:
	v_mov_b32_e32 v136, 0
	v_add_u32_e32 v136, 0x8c, v136
	v_subrev_u32_e32 v137, 35, v0
	s_movk_i32 s14, 0x17c
	s_mov_b64 s[6:7], 0
.LBB56_213:                             ; =>This Inner Loop Header: Depth=1
	buffer_load_dword v138, v136, s[0:3], 0 offen
	v_mov_b32_e32 v139, s14
	ds_read_b32 v139, v139
	v_add_u32_e32 v137, -1, v137
	s_add_i32 s14, s14, 4
	v_cmp_eq_u32_e32 vcc, 0, v137
	v_add_u32_e32 v136, 4, v136
	s_or_b64 s[6:7], vcc, s[6:7]
	s_waitcnt vmcnt(0) lgkmcnt(0)
	v_fmac_f32_e32 v135, v138, v139
	s_andn2_b64 exec, exec, s[6:7]
	s_cbranch_execnz .LBB56_213
; %bb.214:
	s_or_b64 exec, exec, s[6:7]
.LBB56_215:
	s_or_b64 exec, exec, s[12:13]
	v_mov_b32_e32 v136, 0
	ds_read_b32 v136, v136 offset:136
	s_waitcnt lgkmcnt(0)
	v_mul_f32_e32 v135, v135, v136
	buffer_store_dword v135, off, s[0:3], 0 offset:136
.LBB56_216:
	s_or_b64 exec, exec, s[8:9]
	buffer_load_dword v135, off, s[0:3], 0 offset:132
	v_cmp_lt_u32_e64 s[6:7], 33, v0
	s_waitcnt vmcnt(0)
	ds_write_b32 v116, v135
	s_waitcnt lgkmcnt(0)
	; wave barrier
	s_waitcnt lgkmcnt(0)
	s_and_saveexec_b64 s[8:9], s[6:7]
	s_cbranch_execz .LBB56_226
; %bb.217:
	s_andn2_b64 vcc, exec, s[10:11]
	s_cbranch_vccnz .LBB56_219
; %bb.218:
	buffer_load_dword v135, v117, s[0:3], 0 offen
	ds_read_b32 v136, v116
	s_waitcnt vmcnt(0) lgkmcnt(0)
	v_mul_f32_e32 v135, v135, v136
	s_cbranch_execz .LBB56_220
	s_branch .LBB56_221
.LBB56_219:
                                        ; implicit-def: $vgpr135
.LBB56_220:
	ds_read_b32 v135, v116
.LBB56_221:
	s_and_saveexec_b64 s[12:13], s[4:5]
	s_cbranch_execz .LBB56_225
; %bb.222:
	v_subrev_u32_e32 v136, 34, v0
	s_movk_i32 s14, 0x178
	s_mov_b64 s[4:5], 0
.LBB56_223:                             ; =>This Inner Loop Header: Depth=1
	buffer_load_dword v137, v134, s[0:3], 0 offen
	v_mov_b32_e32 v138, s14
	ds_read_b32 v138, v138
	v_add_u32_e32 v136, -1, v136
	s_add_i32 s14, s14, 4
	v_cmp_eq_u32_e32 vcc, 0, v136
	v_add_u32_e32 v134, 4, v134
	s_or_b64 s[4:5], vcc, s[4:5]
	s_waitcnt vmcnt(0) lgkmcnt(0)
	v_fmac_f32_e32 v135, v137, v138
	s_andn2_b64 exec, exec, s[4:5]
	s_cbranch_execnz .LBB56_223
; %bb.224:
	s_or_b64 exec, exec, s[4:5]
.LBB56_225:
	s_or_b64 exec, exec, s[12:13]
	v_mov_b32_e32 v134, 0
	ds_read_b32 v134, v134 offset:132
	s_waitcnt lgkmcnt(0)
	v_mul_f32_e32 v134, v135, v134
	buffer_store_dword v134, off, s[0:3], 0 offset:132
.LBB56_226:
	s_or_b64 exec, exec, s[8:9]
	buffer_load_dword v134, off, s[0:3], 0 offset:128
	v_cmp_lt_u32_e64 s[4:5], 32, v0
	s_waitcnt vmcnt(0)
	ds_write_b32 v116, v134
	s_waitcnt lgkmcnt(0)
	; wave barrier
	s_waitcnt lgkmcnt(0)
	s_and_saveexec_b64 s[8:9], s[4:5]
	s_cbranch_execz .LBB56_236
; %bb.227:
	s_andn2_b64 vcc, exec, s[10:11]
	s_cbranch_vccnz .LBB56_229
; %bb.228:
	buffer_load_dword v134, v117, s[0:3], 0 offen
	ds_read_b32 v135, v116
	s_waitcnt vmcnt(0) lgkmcnt(0)
	v_mul_f32_e32 v134, v134, v135
	s_cbranch_execz .LBB56_230
	s_branch .LBB56_231
.LBB56_229:
                                        ; implicit-def: $vgpr134
.LBB56_230:
	ds_read_b32 v134, v116
.LBB56_231:
	s_and_saveexec_b64 s[12:13], s[6:7]
	s_cbranch_execz .LBB56_235
; %bb.232:
	v_mov_b32_e32 v135, 0
	v_add_u32_e32 v135, 0x84, v135
	v_subrev_u32_e32 v136, 33, v0
	s_movk_i32 s14, 0x174
	s_mov_b64 s[6:7], 0
.LBB56_233:                             ; =>This Inner Loop Header: Depth=1
	buffer_load_dword v137, v135, s[0:3], 0 offen
	v_mov_b32_e32 v138, s14
	ds_read_b32 v138, v138
	v_add_u32_e32 v136, -1, v136
	s_add_i32 s14, s14, 4
	v_cmp_eq_u32_e32 vcc, 0, v136
	v_add_u32_e32 v135, 4, v135
	s_or_b64 s[6:7], vcc, s[6:7]
	s_waitcnt vmcnt(0) lgkmcnt(0)
	v_fmac_f32_e32 v134, v137, v138
	s_andn2_b64 exec, exec, s[6:7]
	s_cbranch_execnz .LBB56_233
; %bb.234:
	s_or_b64 exec, exec, s[6:7]
.LBB56_235:
	s_or_b64 exec, exec, s[12:13]
	v_mov_b32_e32 v135, 0
	ds_read_b32 v135, v135 offset:128
	s_waitcnt lgkmcnt(0)
	v_mul_f32_e32 v134, v134, v135
	buffer_store_dword v134, off, s[0:3], 0 offset:128
.LBB56_236:
	s_or_b64 exec, exec, s[8:9]
	buffer_load_dword v134, off, s[0:3], 0 offset:124
	v_cmp_lt_u32_e64 s[6:7], 31, v0
	s_waitcnt vmcnt(0)
	ds_write_b32 v116, v134
	s_waitcnt lgkmcnt(0)
	; wave barrier
	s_waitcnt lgkmcnt(0)
	s_and_saveexec_b64 s[8:9], s[6:7]
	s_cbranch_execz .LBB56_246
; %bb.237:
	s_andn2_b64 vcc, exec, s[10:11]
	s_cbranch_vccnz .LBB56_239
; %bb.238:
	buffer_load_dword v134, v117, s[0:3], 0 offen
	ds_read_b32 v135, v116
	s_waitcnt vmcnt(0) lgkmcnt(0)
	v_mul_f32_e32 v134, v134, v135
	s_cbranch_execz .LBB56_240
	s_branch .LBB56_241
.LBB56_239:
                                        ; implicit-def: $vgpr134
.LBB56_240:
	ds_read_b32 v134, v116
.LBB56_241:
	s_and_saveexec_b64 s[12:13], s[4:5]
	s_cbranch_execz .LBB56_245
; %bb.242:
	v_subrev_u32_e32 v135, 32, v0
	s_movk_i32 s14, 0x170
	s_mov_b64 s[4:5], 0
.LBB56_243:                             ; =>This Inner Loop Header: Depth=1
	buffer_load_dword v136, v133, s[0:3], 0 offen
	v_mov_b32_e32 v137, s14
	ds_read_b32 v137, v137
	v_add_u32_e32 v135, -1, v135
	s_add_i32 s14, s14, 4
	v_cmp_eq_u32_e32 vcc, 0, v135
	v_add_u32_e32 v133, 4, v133
	s_or_b64 s[4:5], vcc, s[4:5]
	s_waitcnt vmcnt(0) lgkmcnt(0)
	v_fmac_f32_e32 v134, v136, v137
	s_andn2_b64 exec, exec, s[4:5]
	s_cbranch_execnz .LBB56_243
; %bb.244:
	s_or_b64 exec, exec, s[4:5]
.LBB56_245:
	s_or_b64 exec, exec, s[12:13]
	v_mov_b32_e32 v133, 0
	ds_read_b32 v133, v133 offset:124
	s_waitcnt lgkmcnt(0)
	v_mul_f32_e32 v133, v134, v133
	buffer_store_dword v133, off, s[0:3], 0 offset:124
.LBB56_246:
	s_or_b64 exec, exec, s[8:9]
	buffer_load_dword v133, off, s[0:3], 0 offset:120
	v_cmp_lt_u32_e64 s[4:5], 30, v0
	s_waitcnt vmcnt(0)
	ds_write_b32 v116, v133
	s_waitcnt lgkmcnt(0)
	; wave barrier
	s_waitcnt lgkmcnt(0)
	s_and_saveexec_b64 s[8:9], s[4:5]
	s_cbranch_execz .LBB56_256
; %bb.247:
	s_andn2_b64 vcc, exec, s[10:11]
	s_cbranch_vccnz .LBB56_249
; %bb.248:
	buffer_load_dword v133, v117, s[0:3], 0 offen
	ds_read_b32 v134, v116
	s_waitcnt vmcnt(0) lgkmcnt(0)
	v_mul_f32_e32 v133, v133, v134
	s_cbranch_execz .LBB56_250
	s_branch .LBB56_251
.LBB56_249:
                                        ; implicit-def: $vgpr133
.LBB56_250:
	ds_read_b32 v133, v116
.LBB56_251:
	s_and_saveexec_b64 s[12:13], s[6:7]
	s_cbranch_execz .LBB56_255
; %bb.252:
	v_mov_b32_e32 v134, 0
	v_add_u32_e32 v134, 0x7c, v134
	v_subrev_u32_e32 v135, 31, v0
	s_movk_i32 s14, 0x16c
	s_mov_b64 s[6:7], 0
.LBB56_253:                             ; =>This Inner Loop Header: Depth=1
	buffer_load_dword v136, v134, s[0:3], 0 offen
	v_mov_b32_e32 v137, s14
	ds_read_b32 v137, v137
	v_add_u32_e32 v135, -1, v135
	s_add_i32 s14, s14, 4
	v_cmp_eq_u32_e32 vcc, 0, v135
	v_add_u32_e32 v134, 4, v134
	s_or_b64 s[6:7], vcc, s[6:7]
	s_waitcnt vmcnt(0) lgkmcnt(0)
	v_fmac_f32_e32 v133, v136, v137
	s_andn2_b64 exec, exec, s[6:7]
	s_cbranch_execnz .LBB56_253
; %bb.254:
	s_or_b64 exec, exec, s[6:7]
.LBB56_255:
	s_or_b64 exec, exec, s[12:13]
	v_mov_b32_e32 v134, 0
	ds_read_b32 v134, v134 offset:120
	s_waitcnt lgkmcnt(0)
	v_mul_f32_e32 v133, v133, v134
	buffer_store_dword v133, off, s[0:3], 0 offset:120
.LBB56_256:
	s_or_b64 exec, exec, s[8:9]
	buffer_load_dword v133, off, s[0:3], 0 offset:116
	v_cmp_lt_u32_e64 s[6:7], 29, v0
	s_waitcnt vmcnt(0)
	ds_write_b32 v116, v133
	s_waitcnt lgkmcnt(0)
	; wave barrier
	s_waitcnt lgkmcnt(0)
	s_and_saveexec_b64 s[8:9], s[6:7]
	s_cbranch_execz .LBB56_266
; %bb.257:
	s_andn2_b64 vcc, exec, s[10:11]
	s_cbranch_vccnz .LBB56_259
; %bb.258:
	buffer_load_dword v133, v117, s[0:3], 0 offen
	ds_read_b32 v134, v116
	s_waitcnt vmcnt(0) lgkmcnt(0)
	v_mul_f32_e32 v133, v133, v134
	s_cbranch_execz .LBB56_260
	s_branch .LBB56_261
.LBB56_259:
                                        ; implicit-def: $vgpr133
.LBB56_260:
	ds_read_b32 v133, v116
.LBB56_261:
	s_and_saveexec_b64 s[12:13], s[4:5]
	s_cbranch_execz .LBB56_265
; %bb.262:
	v_subrev_u32_e32 v134, 30, v0
	s_movk_i32 s14, 0x168
	s_mov_b64 s[4:5], 0
.LBB56_263:                             ; =>This Inner Loop Header: Depth=1
	buffer_load_dword v135, v132, s[0:3], 0 offen
	v_mov_b32_e32 v136, s14
	ds_read_b32 v136, v136
	v_add_u32_e32 v134, -1, v134
	s_add_i32 s14, s14, 4
	v_cmp_eq_u32_e32 vcc, 0, v134
	v_add_u32_e32 v132, 4, v132
	s_or_b64 s[4:5], vcc, s[4:5]
	s_waitcnt vmcnt(0) lgkmcnt(0)
	v_fmac_f32_e32 v133, v135, v136
	s_andn2_b64 exec, exec, s[4:5]
	s_cbranch_execnz .LBB56_263
; %bb.264:
	s_or_b64 exec, exec, s[4:5]
.LBB56_265:
	s_or_b64 exec, exec, s[12:13]
	v_mov_b32_e32 v132, 0
	ds_read_b32 v132, v132 offset:116
	s_waitcnt lgkmcnt(0)
	v_mul_f32_e32 v132, v133, v132
	buffer_store_dword v132, off, s[0:3], 0 offset:116
.LBB56_266:
	s_or_b64 exec, exec, s[8:9]
	buffer_load_dword v132, off, s[0:3], 0 offset:112
	v_cmp_lt_u32_e64 s[4:5], 28, v0
	s_waitcnt vmcnt(0)
	ds_write_b32 v116, v132
	s_waitcnt lgkmcnt(0)
	; wave barrier
	s_waitcnt lgkmcnt(0)
	s_and_saveexec_b64 s[8:9], s[4:5]
	s_cbranch_execz .LBB56_276
; %bb.267:
	s_andn2_b64 vcc, exec, s[10:11]
	s_cbranch_vccnz .LBB56_269
; %bb.268:
	buffer_load_dword v132, v117, s[0:3], 0 offen
	ds_read_b32 v133, v116
	s_waitcnt vmcnt(0) lgkmcnt(0)
	v_mul_f32_e32 v132, v132, v133
	s_cbranch_execz .LBB56_270
	s_branch .LBB56_271
.LBB56_269:
                                        ; implicit-def: $vgpr132
.LBB56_270:
	ds_read_b32 v132, v116
.LBB56_271:
	s_and_saveexec_b64 s[12:13], s[6:7]
	s_cbranch_execz .LBB56_275
; %bb.272:
	v_mov_b32_e32 v133, 0
	v_add_u32_e32 v133, 0x74, v133
	v_subrev_u32_e32 v134, 29, v0
	s_movk_i32 s14, 0x164
	s_mov_b64 s[6:7], 0
.LBB56_273:                             ; =>This Inner Loop Header: Depth=1
	buffer_load_dword v135, v133, s[0:3], 0 offen
	v_mov_b32_e32 v136, s14
	ds_read_b32 v136, v136
	v_add_u32_e32 v134, -1, v134
	s_add_i32 s14, s14, 4
	v_cmp_eq_u32_e32 vcc, 0, v134
	v_add_u32_e32 v133, 4, v133
	s_or_b64 s[6:7], vcc, s[6:7]
	s_waitcnt vmcnt(0) lgkmcnt(0)
	v_fmac_f32_e32 v132, v135, v136
	s_andn2_b64 exec, exec, s[6:7]
	s_cbranch_execnz .LBB56_273
; %bb.274:
	s_or_b64 exec, exec, s[6:7]
.LBB56_275:
	s_or_b64 exec, exec, s[12:13]
	v_mov_b32_e32 v133, 0
	ds_read_b32 v133, v133 offset:112
	s_waitcnt lgkmcnt(0)
	v_mul_f32_e32 v132, v132, v133
	buffer_store_dword v132, off, s[0:3], 0 offset:112
.LBB56_276:
	s_or_b64 exec, exec, s[8:9]
	buffer_load_dword v132, off, s[0:3], 0 offset:108
	v_cmp_lt_u32_e64 s[6:7], 27, v0
	s_waitcnt vmcnt(0)
	ds_write_b32 v116, v132
	s_waitcnt lgkmcnt(0)
	; wave barrier
	s_waitcnt lgkmcnt(0)
	s_and_saveexec_b64 s[8:9], s[6:7]
	s_cbranch_execz .LBB56_286
; %bb.277:
	s_andn2_b64 vcc, exec, s[10:11]
	s_cbranch_vccnz .LBB56_279
; %bb.278:
	buffer_load_dword v132, v117, s[0:3], 0 offen
	ds_read_b32 v133, v116
	s_waitcnt vmcnt(0) lgkmcnt(0)
	v_mul_f32_e32 v132, v132, v133
	s_cbranch_execz .LBB56_280
	s_branch .LBB56_281
.LBB56_279:
                                        ; implicit-def: $vgpr132
.LBB56_280:
	ds_read_b32 v132, v116
.LBB56_281:
	s_and_saveexec_b64 s[12:13], s[4:5]
	s_cbranch_execz .LBB56_285
; %bb.282:
	v_subrev_u32_e32 v133, 28, v0
	s_movk_i32 s14, 0x160
	s_mov_b64 s[4:5], 0
.LBB56_283:                             ; =>This Inner Loop Header: Depth=1
	buffer_load_dword v134, v131, s[0:3], 0 offen
	v_mov_b32_e32 v135, s14
	ds_read_b32 v135, v135
	v_add_u32_e32 v133, -1, v133
	s_add_i32 s14, s14, 4
	v_cmp_eq_u32_e32 vcc, 0, v133
	v_add_u32_e32 v131, 4, v131
	s_or_b64 s[4:5], vcc, s[4:5]
	s_waitcnt vmcnt(0) lgkmcnt(0)
	v_fmac_f32_e32 v132, v134, v135
	s_andn2_b64 exec, exec, s[4:5]
	s_cbranch_execnz .LBB56_283
; %bb.284:
	s_or_b64 exec, exec, s[4:5]
.LBB56_285:
	s_or_b64 exec, exec, s[12:13]
	v_mov_b32_e32 v131, 0
	ds_read_b32 v131, v131 offset:108
	s_waitcnt lgkmcnt(0)
	v_mul_f32_e32 v131, v132, v131
	buffer_store_dword v131, off, s[0:3], 0 offset:108
.LBB56_286:
	s_or_b64 exec, exec, s[8:9]
	buffer_load_dword v131, off, s[0:3], 0 offset:104
	v_cmp_lt_u32_e64 s[4:5], 26, v0
	s_waitcnt vmcnt(0)
	ds_write_b32 v116, v131
	s_waitcnt lgkmcnt(0)
	; wave barrier
	s_waitcnt lgkmcnt(0)
	s_and_saveexec_b64 s[8:9], s[4:5]
	s_cbranch_execz .LBB56_296
; %bb.287:
	s_andn2_b64 vcc, exec, s[10:11]
	s_cbranch_vccnz .LBB56_289
; %bb.288:
	buffer_load_dword v131, v117, s[0:3], 0 offen
	ds_read_b32 v132, v116
	s_waitcnt vmcnt(0) lgkmcnt(0)
	v_mul_f32_e32 v131, v131, v132
	s_cbranch_execz .LBB56_290
	s_branch .LBB56_291
.LBB56_289:
                                        ; implicit-def: $vgpr131
.LBB56_290:
	ds_read_b32 v131, v116
.LBB56_291:
	s_and_saveexec_b64 s[12:13], s[6:7]
	s_cbranch_execz .LBB56_295
; %bb.292:
	v_mov_b32_e32 v132, 0
	v_add_u32_e32 v132, 0x6c, v132
	v_subrev_u32_e32 v133, 27, v0
	s_movk_i32 s14, 0x15c
	s_mov_b64 s[6:7], 0
.LBB56_293:                             ; =>This Inner Loop Header: Depth=1
	buffer_load_dword v134, v132, s[0:3], 0 offen
	v_mov_b32_e32 v135, s14
	ds_read_b32 v135, v135
	v_add_u32_e32 v133, -1, v133
	s_add_i32 s14, s14, 4
	v_cmp_eq_u32_e32 vcc, 0, v133
	v_add_u32_e32 v132, 4, v132
	s_or_b64 s[6:7], vcc, s[6:7]
	s_waitcnt vmcnt(0) lgkmcnt(0)
	v_fmac_f32_e32 v131, v134, v135
	s_andn2_b64 exec, exec, s[6:7]
	s_cbranch_execnz .LBB56_293
; %bb.294:
	s_or_b64 exec, exec, s[6:7]
.LBB56_295:
	s_or_b64 exec, exec, s[12:13]
	v_mov_b32_e32 v132, 0
	ds_read_b32 v132, v132 offset:104
	s_waitcnt lgkmcnt(0)
	v_mul_f32_e32 v131, v131, v132
	buffer_store_dword v131, off, s[0:3], 0 offset:104
.LBB56_296:
	s_or_b64 exec, exec, s[8:9]
	buffer_load_dword v131, off, s[0:3], 0 offset:100
	v_cmp_lt_u32_e64 s[6:7], 25, v0
	s_waitcnt vmcnt(0)
	ds_write_b32 v116, v131
	s_waitcnt lgkmcnt(0)
	; wave barrier
	s_waitcnt lgkmcnt(0)
	s_and_saveexec_b64 s[8:9], s[6:7]
	s_cbranch_execz .LBB56_306
; %bb.297:
	s_andn2_b64 vcc, exec, s[10:11]
	s_cbranch_vccnz .LBB56_299
; %bb.298:
	buffer_load_dword v131, v117, s[0:3], 0 offen
	ds_read_b32 v132, v116
	s_waitcnt vmcnt(0) lgkmcnt(0)
	v_mul_f32_e32 v131, v131, v132
	s_cbranch_execz .LBB56_300
	s_branch .LBB56_301
.LBB56_299:
                                        ; implicit-def: $vgpr131
.LBB56_300:
	ds_read_b32 v131, v116
.LBB56_301:
	s_and_saveexec_b64 s[12:13], s[4:5]
	s_cbranch_execz .LBB56_305
; %bb.302:
	v_subrev_u32_e32 v132, 26, v0
	s_movk_i32 s14, 0x158
	s_mov_b64 s[4:5], 0
.LBB56_303:                             ; =>This Inner Loop Header: Depth=1
	buffer_load_dword v133, v130, s[0:3], 0 offen
	v_mov_b32_e32 v134, s14
	ds_read_b32 v134, v134
	v_add_u32_e32 v132, -1, v132
	s_add_i32 s14, s14, 4
	v_cmp_eq_u32_e32 vcc, 0, v132
	v_add_u32_e32 v130, 4, v130
	s_or_b64 s[4:5], vcc, s[4:5]
	s_waitcnt vmcnt(0) lgkmcnt(0)
	v_fmac_f32_e32 v131, v133, v134
	s_andn2_b64 exec, exec, s[4:5]
	s_cbranch_execnz .LBB56_303
; %bb.304:
	s_or_b64 exec, exec, s[4:5]
.LBB56_305:
	s_or_b64 exec, exec, s[12:13]
	v_mov_b32_e32 v130, 0
	ds_read_b32 v130, v130 offset:100
	s_waitcnt lgkmcnt(0)
	v_mul_f32_e32 v130, v131, v130
	buffer_store_dword v130, off, s[0:3], 0 offset:100
.LBB56_306:
	s_or_b64 exec, exec, s[8:9]
	buffer_load_dword v130, off, s[0:3], 0 offset:96
	v_cmp_lt_u32_e64 s[4:5], 24, v0
	s_waitcnt vmcnt(0)
	ds_write_b32 v116, v130
	s_waitcnt lgkmcnt(0)
	; wave barrier
	s_waitcnt lgkmcnt(0)
	s_and_saveexec_b64 s[8:9], s[4:5]
	s_cbranch_execz .LBB56_316
; %bb.307:
	s_andn2_b64 vcc, exec, s[10:11]
	s_cbranch_vccnz .LBB56_309
; %bb.308:
	buffer_load_dword v130, v117, s[0:3], 0 offen
	ds_read_b32 v131, v116
	s_waitcnt vmcnt(0) lgkmcnt(0)
	v_mul_f32_e32 v130, v130, v131
	s_cbranch_execz .LBB56_310
	s_branch .LBB56_311
.LBB56_309:
                                        ; implicit-def: $vgpr130
.LBB56_310:
	ds_read_b32 v130, v116
.LBB56_311:
	s_and_saveexec_b64 s[12:13], s[6:7]
	s_cbranch_execz .LBB56_315
; %bb.312:
	v_mov_b32_e32 v131, 0
	v_add_u32_e32 v131, 0x64, v131
	v_subrev_u32_e32 v132, 25, v0
	s_movk_i32 s14, 0x154
	s_mov_b64 s[6:7], 0
.LBB56_313:                             ; =>This Inner Loop Header: Depth=1
	buffer_load_dword v133, v131, s[0:3], 0 offen
	v_mov_b32_e32 v134, s14
	ds_read_b32 v134, v134
	v_add_u32_e32 v132, -1, v132
	s_add_i32 s14, s14, 4
	v_cmp_eq_u32_e32 vcc, 0, v132
	v_add_u32_e32 v131, 4, v131
	s_or_b64 s[6:7], vcc, s[6:7]
	s_waitcnt vmcnt(0) lgkmcnt(0)
	v_fmac_f32_e32 v130, v133, v134
	s_andn2_b64 exec, exec, s[6:7]
	s_cbranch_execnz .LBB56_313
; %bb.314:
	s_or_b64 exec, exec, s[6:7]
.LBB56_315:
	s_or_b64 exec, exec, s[12:13]
	v_mov_b32_e32 v131, 0
	ds_read_b32 v131, v131 offset:96
	s_waitcnt lgkmcnt(0)
	v_mul_f32_e32 v130, v130, v131
	buffer_store_dword v130, off, s[0:3], 0 offset:96
.LBB56_316:
	s_or_b64 exec, exec, s[8:9]
	buffer_load_dword v130, off, s[0:3], 0 offset:92
	v_cmp_lt_u32_e64 s[6:7], 23, v0
	s_waitcnt vmcnt(0)
	ds_write_b32 v116, v130
	s_waitcnt lgkmcnt(0)
	; wave barrier
	s_waitcnt lgkmcnt(0)
	s_and_saveexec_b64 s[8:9], s[6:7]
	s_cbranch_execz .LBB56_326
; %bb.317:
	s_andn2_b64 vcc, exec, s[10:11]
	s_cbranch_vccnz .LBB56_319
; %bb.318:
	buffer_load_dword v130, v117, s[0:3], 0 offen
	ds_read_b32 v131, v116
	s_waitcnt vmcnt(0) lgkmcnt(0)
	v_mul_f32_e32 v130, v130, v131
	s_cbranch_execz .LBB56_320
	s_branch .LBB56_321
.LBB56_319:
                                        ; implicit-def: $vgpr130
.LBB56_320:
	ds_read_b32 v130, v116
.LBB56_321:
	s_and_saveexec_b64 s[12:13], s[4:5]
	s_cbranch_execz .LBB56_325
; %bb.322:
	v_subrev_u32_e32 v131, 24, v0
	s_movk_i32 s14, 0x150
	s_mov_b64 s[4:5], 0
.LBB56_323:                             ; =>This Inner Loop Header: Depth=1
	buffer_load_dword v132, v129, s[0:3], 0 offen
	v_mov_b32_e32 v133, s14
	ds_read_b32 v133, v133
	v_add_u32_e32 v131, -1, v131
	s_add_i32 s14, s14, 4
	v_cmp_eq_u32_e32 vcc, 0, v131
	v_add_u32_e32 v129, 4, v129
	s_or_b64 s[4:5], vcc, s[4:5]
	s_waitcnt vmcnt(0) lgkmcnt(0)
	v_fmac_f32_e32 v130, v132, v133
	s_andn2_b64 exec, exec, s[4:5]
	s_cbranch_execnz .LBB56_323
; %bb.324:
	s_or_b64 exec, exec, s[4:5]
.LBB56_325:
	s_or_b64 exec, exec, s[12:13]
	v_mov_b32_e32 v129, 0
	ds_read_b32 v129, v129 offset:92
	s_waitcnt lgkmcnt(0)
	v_mul_f32_e32 v129, v130, v129
	buffer_store_dword v129, off, s[0:3], 0 offset:92
.LBB56_326:
	s_or_b64 exec, exec, s[8:9]
	buffer_load_dword v129, off, s[0:3], 0 offset:88
	v_cmp_lt_u32_e64 s[4:5], 22, v0
	s_waitcnt vmcnt(0)
	ds_write_b32 v116, v129
	s_waitcnt lgkmcnt(0)
	; wave barrier
	s_waitcnt lgkmcnt(0)
	s_and_saveexec_b64 s[8:9], s[4:5]
	s_cbranch_execz .LBB56_336
; %bb.327:
	s_andn2_b64 vcc, exec, s[10:11]
	s_cbranch_vccnz .LBB56_329
; %bb.328:
	buffer_load_dword v129, v117, s[0:3], 0 offen
	ds_read_b32 v130, v116
	s_waitcnt vmcnt(0) lgkmcnt(0)
	v_mul_f32_e32 v129, v129, v130
	s_cbranch_execz .LBB56_330
	s_branch .LBB56_331
.LBB56_329:
                                        ; implicit-def: $vgpr129
.LBB56_330:
	ds_read_b32 v129, v116
.LBB56_331:
	s_and_saveexec_b64 s[12:13], s[6:7]
	s_cbranch_execz .LBB56_335
; %bb.332:
	v_mov_b32_e32 v130, 0
	v_add_u32_e32 v130, 0x5c, v130
	v_subrev_u32_e32 v131, 23, v0
	s_movk_i32 s14, 0x14c
	s_mov_b64 s[6:7], 0
.LBB56_333:                             ; =>This Inner Loop Header: Depth=1
	buffer_load_dword v132, v130, s[0:3], 0 offen
	v_mov_b32_e32 v133, s14
	ds_read_b32 v133, v133
	v_add_u32_e32 v131, -1, v131
	s_add_i32 s14, s14, 4
	v_cmp_eq_u32_e32 vcc, 0, v131
	v_add_u32_e32 v130, 4, v130
	s_or_b64 s[6:7], vcc, s[6:7]
	s_waitcnt vmcnt(0) lgkmcnt(0)
	v_fmac_f32_e32 v129, v132, v133
	s_andn2_b64 exec, exec, s[6:7]
	s_cbranch_execnz .LBB56_333
; %bb.334:
	s_or_b64 exec, exec, s[6:7]
.LBB56_335:
	s_or_b64 exec, exec, s[12:13]
	v_mov_b32_e32 v130, 0
	ds_read_b32 v130, v130 offset:88
	s_waitcnt lgkmcnt(0)
	v_mul_f32_e32 v129, v129, v130
	buffer_store_dword v129, off, s[0:3], 0 offset:88
.LBB56_336:
	s_or_b64 exec, exec, s[8:9]
	buffer_load_dword v129, off, s[0:3], 0 offset:84
	v_cmp_lt_u32_e64 s[6:7], 21, v0
	s_waitcnt vmcnt(0)
	ds_write_b32 v116, v129
	s_waitcnt lgkmcnt(0)
	; wave barrier
	s_waitcnt lgkmcnt(0)
	s_and_saveexec_b64 s[8:9], s[6:7]
	s_cbranch_execz .LBB56_346
; %bb.337:
	s_andn2_b64 vcc, exec, s[10:11]
	s_cbranch_vccnz .LBB56_339
; %bb.338:
	buffer_load_dword v129, v117, s[0:3], 0 offen
	ds_read_b32 v130, v116
	s_waitcnt vmcnt(0) lgkmcnt(0)
	v_mul_f32_e32 v129, v129, v130
	s_cbranch_execz .LBB56_340
	s_branch .LBB56_341
.LBB56_339:
                                        ; implicit-def: $vgpr129
.LBB56_340:
	ds_read_b32 v129, v116
.LBB56_341:
	s_and_saveexec_b64 s[12:13], s[4:5]
	s_cbranch_execz .LBB56_345
; %bb.342:
	v_subrev_u32_e32 v130, 22, v0
	s_movk_i32 s14, 0x148
	s_mov_b64 s[4:5], 0
.LBB56_343:                             ; =>This Inner Loop Header: Depth=1
	buffer_load_dword v131, v128, s[0:3], 0 offen
	v_mov_b32_e32 v132, s14
	ds_read_b32 v132, v132
	v_add_u32_e32 v130, -1, v130
	s_add_i32 s14, s14, 4
	v_cmp_eq_u32_e32 vcc, 0, v130
	v_add_u32_e32 v128, 4, v128
	s_or_b64 s[4:5], vcc, s[4:5]
	s_waitcnt vmcnt(0) lgkmcnt(0)
	v_fmac_f32_e32 v129, v131, v132
	s_andn2_b64 exec, exec, s[4:5]
	s_cbranch_execnz .LBB56_343
; %bb.344:
	s_or_b64 exec, exec, s[4:5]
.LBB56_345:
	s_or_b64 exec, exec, s[12:13]
	v_mov_b32_e32 v128, 0
	ds_read_b32 v128, v128 offset:84
	s_waitcnt lgkmcnt(0)
	v_mul_f32_e32 v128, v129, v128
	buffer_store_dword v128, off, s[0:3], 0 offset:84
.LBB56_346:
	s_or_b64 exec, exec, s[8:9]
	buffer_load_dword v128, off, s[0:3], 0 offset:80
	v_cmp_lt_u32_e64 s[4:5], 20, v0
	s_waitcnt vmcnt(0)
	ds_write_b32 v116, v128
	s_waitcnt lgkmcnt(0)
	; wave barrier
	s_waitcnt lgkmcnt(0)
	s_and_saveexec_b64 s[8:9], s[4:5]
	s_cbranch_execz .LBB56_356
; %bb.347:
	s_andn2_b64 vcc, exec, s[10:11]
	s_cbranch_vccnz .LBB56_349
; %bb.348:
	buffer_load_dword v128, v117, s[0:3], 0 offen
	ds_read_b32 v129, v116
	s_waitcnt vmcnt(0) lgkmcnt(0)
	v_mul_f32_e32 v128, v128, v129
	s_cbranch_execz .LBB56_350
	s_branch .LBB56_351
.LBB56_349:
                                        ; implicit-def: $vgpr128
.LBB56_350:
	ds_read_b32 v128, v116
.LBB56_351:
	s_and_saveexec_b64 s[12:13], s[6:7]
	s_cbranch_execz .LBB56_355
; %bb.352:
	v_mov_b32_e32 v129, 0
	v_add_u32_e32 v129, 0x54, v129
	v_subrev_u32_e32 v130, 21, v0
	s_movk_i32 s14, 0x144
	s_mov_b64 s[6:7], 0
.LBB56_353:                             ; =>This Inner Loop Header: Depth=1
	buffer_load_dword v131, v129, s[0:3], 0 offen
	v_mov_b32_e32 v132, s14
	ds_read_b32 v132, v132
	v_add_u32_e32 v130, -1, v130
	s_add_i32 s14, s14, 4
	v_cmp_eq_u32_e32 vcc, 0, v130
	v_add_u32_e32 v129, 4, v129
	s_or_b64 s[6:7], vcc, s[6:7]
	s_waitcnt vmcnt(0) lgkmcnt(0)
	v_fmac_f32_e32 v128, v131, v132
	s_andn2_b64 exec, exec, s[6:7]
	s_cbranch_execnz .LBB56_353
; %bb.354:
	s_or_b64 exec, exec, s[6:7]
.LBB56_355:
	s_or_b64 exec, exec, s[12:13]
	v_mov_b32_e32 v129, 0
	ds_read_b32 v129, v129 offset:80
	s_waitcnt lgkmcnt(0)
	v_mul_f32_e32 v128, v128, v129
	buffer_store_dword v128, off, s[0:3], 0 offset:80
.LBB56_356:
	s_or_b64 exec, exec, s[8:9]
	buffer_load_dword v128, off, s[0:3], 0 offset:76
	v_cmp_lt_u32_e64 s[6:7], 19, v0
	s_waitcnt vmcnt(0)
	ds_write_b32 v116, v128
	s_waitcnt lgkmcnt(0)
	; wave barrier
	s_waitcnt lgkmcnt(0)
	s_and_saveexec_b64 s[8:9], s[6:7]
	s_cbranch_execz .LBB56_366
; %bb.357:
	s_andn2_b64 vcc, exec, s[10:11]
	s_cbranch_vccnz .LBB56_359
; %bb.358:
	buffer_load_dword v128, v117, s[0:3], 0 offen
	ds_read_b32 v129, v116
	s_waitcnt vmcnt(0) lgkmcnt(0)
	v_mul_f32_e32 v128, v128, v129
	s_cbranch_execz .LBB56_360
	s_branch .LBB56_361
.LBB56_359:
                                        ; implicit-def: $vgpr128
.LBB56_360:
	ds_read_b32 v128, v116
.LBB56_361:
	s_and_saveexec_b64 s[12:13], s[4:5]
	s_cbranch_execz .LBB56_365
; %bb.362:
	v_subrev_u32_e32 v129, 20, v0
	s_movk_i32 s14, 0x140
	s_mov_b64 s[4:5], 0
.LBB56_363:                             ; =>This Inner Loop Header: Depth=1
	buffer_load_dword v130, v127, s[0:3], 0 offen
	v_mov_b32_e32 v131, s14
	ds_read_b32 v131, v131
	v_add_u32_e32 v129, -1, v129
	s_add_i32 s14, s14, 4
	v_cmp_eq_u32_e32 vcc, 0, v129
	v_add_u32_e32 v127, 4, v127
	s_or_b64 s[4:5], vcc, s[4:5]
	s_waitcnt vmcnt(0) lgkmcnt(0)
	v_fmac_f32_e32 v128, v130, v131
	s_andn2_b64 exec, exec, s[4:5]
	s_cbranch_execnz .LBB56_363
; %bb.364:
	s_or_b64 exec, exec, s[4:5]
.LBB56_365:
	s_or_b64 exec, exec, s[12:13]
	v_mov_b32_e32 v127, 0
	ds_read_b32 v127, v127 offset:76
	s_waitcnt lgkmcnt(0)
	v_mul_f32_e32 v127, v128, v127
	buffer_store_dword v127, off, s[0:3], 0 offset:76
.LBB56_366:
	s_or_b64 exec, exec, s[8:9]
	buffer_load_dword v127, off, s[0:3], 0 offset:72
	v_cmp_lt_u32_e64 s[4:5], 18, v0
	s_waitcnt vmcnt(0)
	ds_write_b32 v116, v127
	s_waitcnt lgkmcnt(0)
	; wave barrier
	s_waitcnt lgkmcnt(0)
	s_and_saveexec_b64 s[8:9], s[4:5]
	s_cbranch_execz .LBB56_376
; %bb.367:
	s_andn2_b64 vcc, exec, s[10:11]
	s_cbranch_vccnz .LBB56_369
; %bb.368:
	buffer_load_dword v127, v117, s[0:3], 0 offen
	ds_read_b32 v128, v116
	s_waitcnt vmcnt(0) lgkmcnt(0)
	v_mul_f32_e32 v127, v127, v128
	s_cbranch_execz .LBB56_370
	s_branch .LBB56_371
.LBB56_369:
                                        ; implicit-def: $vgpr127
.LBB56_370:
	ds_read_b32 v127, v116
.LBB56_371:
	s_and_saveexec_b64 s[12:13], s[6:7]
	s_cbranch_execz .LBB56_375
; %bb.372:
	v_mov_b32_e32 v128, 0
	v_add_u32_e32 v128, 0x4c, v128
	v_subrev_u32_e32 v129, 19, v0
	s_movk_i32 s14, 0x13c
	s_mov_b64 s[6:7], 0
.LBB56_373:                             ; =>This Inner Loop Header: Depth=1
	buffer_load_dword v130, v128, s[0:3], 0 offen
	v_mov_b32_e32 v131, s14
	ds_read_b32 v131, v131
	v_add_u32_e32 v129, -1, v129
	s_add_i32 s14, s14, 4
	v_cmp_eq_u32_e32 vcc, 0, v129
	v_add_u32_e32 v128, 4, v128
	s_or_b64 s[6:7], vcc, s[6:7]
	s_waitcnt vmcnt(0) lgkmcnt(0)
	v_fmac_f32_e32 v127, v130, v131
	s_andn2_b64 exec, exec, s[6:7]
	s_cbranch_execnz .LBB56_373
; %bb.374:
	s_or_b64 exec, exec, s[6:7]
.LBB56_375:
	s_or_b64 exec, exec, s[12:13]
	v_mov_b32_e32 v128, 0
	ds_read_b32 v128, v128 offset:72
	s_waitcnt lgkmcnt(0)
	v_mul_f32_e32 v127, v127, v128
	buffer_store_dword v127, off, s[0:3], 0 offset:72
.LBB56_376:
	s_or_b64 exec, exec, s[8:9]
	buffer_load_dword v127, off, s[0:3], 0 offset:68
	v_cmp_lt_u32_e64 s[6:7], 17, v0
	s_waitcnt vmcnt(0)
	ds_write_b32 v116, v127
	s_waitcnt lgkmcnt(0)
	; wave barrier
	s_waitcnt lgkmcnt(0)
	s_and_saveexec_b64 s[8:9], s[6:7]
	s_cbranch_execz .LBB56_386
; %bb.377:
	s_andn2_b64 vcc, exec, s[10:11]
	s_cbranch_vccnz .LBB56_379
; %bb.378:
	buffer_load_dword v127, v117, s[0:3], 0 offen
	ds_read_b32 v128, v116
	s_waitcnt vmcnt(0) lgkmcnt(0)
	v_mul_f32_e32 v127, v127, v128
	s_cbranch_execz .LBB56_380
	s_branch .LBB56_381
.LBB56_379:
                                        ; implicit-def: $vgpr127
.LBB56_380:
	ds_read_b32 v127, v116
.LBB56_381:
	s_and_saveexec_b64 s[12:13], s[4:5]
	s_cbranch_execz .LBB56_385
; %bb.382:
	v_subrev_u32_e32 v128, 18, v0
	s_movk_i32 s14, 0x138
	s_mov_b64 s[4:5], 0
.LBB56_383:                             ; =>This Inner Loop Header: Depth=1
	buffer_load_dword v129, v126, s[0:3], 0 offen
	v_mov_b32_e32 v130, s14
	ds_read_b32 v130, v130
	v_add_u32_e32 v128, -1, v128
	s_add_i32 s14, s14, 4
	v_cmp_eq_u32_e32 vcc, 0, v128
	v_add_u32_e32 v126, 4, v126
	s_or_b64 s[4:5], vcc, s[4:5]
	s_waitcnt vmcnt(0) lgkmcnt(0)
	v_fmac_f32_e32 v127, v129, v130
	s_andn2_b64 exec, exec, s[4:5]
	s_cbranch_execnz .LBB56_383
; %bb.384:
	s_or_b64 exec, exec, s[4:5]
.LBB56_385:
	s_or_b64 exec, exec, s[12:13]
	v_mov_b32_e32 v126, 0
	ds_read_b32 v126, v126 offset:68
	s_waitcnt lgkmcnt(0)
	v_mul_f32_e32 v126, v127, v126
	buffer_store_dword v126, off, s[0:3], 0 offset:68
.LBB56_386:
	s_or_b64 exec, exec, s[8:9]
	buffer_load_dword v126, off, s[0:3], 0 offset:64
	v_cmp_lt_u32_e64 s[4:5], 16, v0
	s_waitcnt vmcnt(0)
	ds_write_b32 v116, v126
	s_waitcnt lgkmcnt(0)
	; wave barrier
	s_waitcnt lgkmcnt(0)
	s_and_saveexec_b64 s[8:9], s[4:5]
	s_cbranch_execz .LBB56_396
; %bb.387:
	s_andn2_b64 vcc, exec, s[10:11]
	s_cbranch_vccnz .LBB56_389
; %bb.388:
	buffer_load_dword v126, v117, s[0:3], 0 offen
	ds_read_b32 v127, v116
	s_waitcnt vmcnt(0) lgkmcnt(0)
	v_mul_f32_e32 v126, v126, v127
	s_cbranch_execz .LBB56_390
	s_branch .LBB56_391
.LBB56_389:
                                        ; implicit-def: $vgpr126
.LBB56_390:
	ds_read_b32 v126, v116
.LBB56_391:
	s_and_saveexec_b64 s[12:13], s[6:7]
	s_cbranch_execz .LBB56_395
; %bb.392:
	v_mov_b32_e32 v127, 0
	v_add_u32_e32 v127, 0x44, v127
	v_subrev_u32_e32 v128, 17, v0
	s_movk_i32 s14, 0x134
	s_mov_b64 s[6:7], 0
.LBB56_393:                             ; =>This Inner Loop Header: Depth=1
	buffer_load_dword v129, v127, s[0:3], 0 offen
	v_mov_b32_e32 v130, s14
	ds_read_b32 v130, v130
	v_add_u32_e32 v128, -1, v128
	s_add_i32 s14, s14, 4
	v_cmp_eq_u32_e32 vcc, 0, v128
	v_add_u32_e32 v127, 4, v127
	s_or_b64 s[6:7], vcc, s[6:7]
	s_waitcnt vmcnt(0) lgkmcnt(0)
	v_fmac_f32_e32 v126, v129, v130
	s_andn2_b64 exec, exec, s[6:7]
	s_cbranch_execnz .LBB56_393
; %bb.394:
	s_or_b64 exec, exec, s[6:7]
.LBB56_395:
	s_or_b64 exec, exec, s[12:13]
	v_mov_b32_e32 v127, 0
	ds_read_b32 v127, v127 offset:64
	s_waitcnt lgkmcnt(0)
	v_mul_f32_e32 v126, v126, v127
	buffer_store_dword v126, off, s[0:3], 0 offset:64
.LBB56_396:
	s_or_b64 exec, exec, s[8:9]
	buffer_load_dword v126, off, s[0:3], 0 offset:60
	v_cmp_lt_u32_e64 s[6:7], 15, v0
	s_waitcnt vmcnt(0)
	ds_write_b32 v116, v126
	s_waitcnt lgkmcnt(0)
	; wave barrier
	s_waitcnt lgkmcnt(0)
	s_and_saveexec_b64 s[8:9], s[6:7]
	s_cbranch_execz .LBB56_406
; %bb.397:
	s_andn2_b64 vcc, exec, s[10:11]
	s_cbranch_vccnz .LBB56_399
; %bb.398:
	buffer_load_dword v126, v117, s[0:3], 0 offen
	ds_read_b32 v127, v116
	s_waitcnt vmcnt(0) lgkmcnt(0)
	v_mul_f32_e32 v126, v126, v127
	s_cbranch_execz .LBB56_400
	s_branch .LBB56_401
.LBB56_399:
                                        ; implicit-def: $vgpr126
.LBB56_400:
	ds_read_b32 v126, v116
.LBB56_401:
	s_and_saveexec_b64 s[12:13], s[4:5]
	s_cbranch_execz .LBB56_405
; %bb.402:
	v_add_u32_e32 v127, -16, v0
	s_movk_i32 s14, 0x130
	s_mov_b64 s[4:5], 0
.LBB56_403:                             ; =>This Inner Loop Header: Depth=1
	buffer_load_dword v128, v125, s[0:3], 0 offen
	v_mov_b32_e32 v129, s14
	ds_read_b32 v129, v129
	v_add_u32_e32 v127, -1, v127
	s_add_i32 s14, s14, 4
	v_cmp_eq_u32_e32 vcc, 0, v127
	v_add_u32_e32 v125, 4, v125
	s_or_b64 s[4:5], vcc, s[4:5]
	s_waitcnt vmcnt(0) lgkmcnt(0)
	v_fmac_f32_e32 v126, v128, v129
	s_andn2_b64 exec, exec, s[4:5]
	s_cbranch_execnz .LBB56_403
; %bb.404:
	s_or_b64 exec, exec, s[4:5]
.LBB56_405:
	s_or_b64 exec, exec, s[12:13]
	v_mov_b32_e32 v125, 0
	ds_read_b32 v125, v125 offset:60
	s_waitcnt lgkmcnt(0)
	v_mul_f32_e32 v125, v126, v125
	buffer_store_dword v125, off, s[0:3], 0 offset:60
.LBB56_406:
	s_or_b64 exec, exec, s[8:9]
	buffer_load_dword v125, off, s[0:3], 0 offset:56
	v_cmp_lt_u32_e64 s[4:5], 14, v0
	s_waitcnt vmcnt(0)
	ds_write_b32 v116, v125
	s_waitcnt lgkmcnt(0)
	; wave barrier
	s_waitcnt lgkmcnt(0)
	s_and_saveexec_b64 s[8:9], s[4:5]
	s_cbranch_execz .LBB56_416
; %bb.407:
	s_andn2_b64 vcc, exec, s[10:11]
	s_cbranch_vccnz .LBB56_409
; %bb.408:
	buffer_load_dword v125, v117, s[0:3], 0 offen
	ds_read_b32 v126, v116
	s_waitcnt vmcnt(0) lgkmcnt(0)
	v_mul_f32_e32 v125, v125, v126
	s_cbranch_execz .LBB56_410
	s_branch .LBB56_411
.LBB56_409:
                                        ; implicit-def: $vgpr125
.LBB56_410:
	ds_read_b32 v125, v116
.LBB56_411:
	s_and_saveexec_b64 s[12:13], s[6:7]
	s_cbranch_execz .LBB56_415
; %bb.412:
	v_mov_b32_e32 v126, 0
	v_add_u32_e32 v126, 60, v126
	v_add_u32_e32 v127, -15, v0
	s_movk_i32 s14, 0x12c
	s_mov_b64 s[6:7], 0
.LBB56_413:                             ; =>This Inner Loop Header: Depth=1
	buffer_load_dword v128, v126, s[0:3], 0 offen
	v_mov_b32_e32 v129, s14
	ds_read_b32 v129, v129
	v_add_u32_e32 v127, -1, v127
	s_add_i32 s14, s14, 4
	v_cmp_eq_u32_e32 vcc, 0, v127
	v_add_u32_e32 v126, 4, v126
	s_or_b64 s[6:7], vcc, s[6:7]
	s_waitcnt vmcnt(0) lgkmcnt(0)
	v_fmac_f32_e32 v125, v128, v129
	s_andn2_b64 exec, exec, s[6:7]
	s_cbranch_execnz .LBB56_413
; %bb.414:
	s_or_b64 exec, exec, s[6:7]
.LBB56_415:
	s_or_b64 exec, exec, s[12:13]
	v_mov_b32_e32 v126, 0
	ds_read_b32 v126, v126 offset:56
	s_waitcnt lgkmcnt(0)
	v_mul_f32_e32 v125, v125, v126
	buffer_store_dword v125, off, s[0:3], 0 offset:56
.LBB56_416:
	s_or_b64 exec, exec, s[8:9]
	buffer_load_dword v125, off, s[0:3], 0 offset:52
	v_cmp_lt_u32_e64 s[6:7], 13, v0
	s_waitcnt vmcnt(0)
	ds_write_b32 v116, v125
	s_waitcnt lgkmcnt(0)
	; wave barrier
	s_waitcnt lgkmcnt(0)
	s_and_saveexec_b64 s[8:9], s[6:7]
	s_cbranch_execz .LBB56_426
; %bb.417:
	s_andn2_b64 vcc, exec, s[10:11]
	s_cbranch_vccnz .LBB56_419
; %bb.418:
	buffer_load_dword v125, v117, s[0:3], 0 offen
	ds_read_b32 v126, v116
	s_waitcnt vmcnt(0) lgkmcnt(0)
	v_mul_f32_e32 v125, v125, v126
	s_cbranch_execz .LBB56_420
	s_branch .LBB56_421
.LBB56_419:
                                        ; implicit-def: $vgpr125
.LBB56_420:
	ds_read_b32 v125, v116
.LBB56_421:
	s_and_saveexec_b64 s[12:13], s[4:5]
	s_cbranch_execz .LBB56_425
; %bb.422:
	v_add_u32_e32 v126, -14, v0
	s_movk_i32 s14, 0x128
	s_mov_b64 s[4:5], 0
.LBB56_423:                             ; =>This Inner Loop Header: Depth=1
	buffer_load_dword v127, v124, s[0:3], 0 offen
	v_mov_b32_e32 v128, s14
	ds_read_b32 v128, v128
	v_add_u32_e32 v126, -1, v126
	s_add_i32 s14, s14, 4
	v_cmp_eq_u32_e32 vcc, 0, v126
	v_add_u32_e32 v124, 4, v124
	s_or_b64 s[4:5], vcc, s[4:5]
	s_waitcnt vmcnt(0) lgkmcnt(0)
	v_fmac_f32_e32 v125, v127, v128
	s_andn2_b64 exec, exec, s[4:5]
	s_cbranch_execnz .LBB56_423
; %bb.424:
	s_or_b64 exec, exec, s[4:5]
.LBB56_425:
	s_or_b64 exec, exec, s[12:13]
	v_mov_b32_e32 v124, 0
	ds_read_b32 v124, v124 offset:52
	s_waitcnt lgkmcnt(0)
	v_mul_f32_e32 v124, v125, v124
	buffer_store_dword v124, off, s[0:3], 0 offset:52
.LBB56_426:
	s_or_b64 exec, exec, s[8:9]
	buffer_load_dword v124, off, s[0:3], 0 offset:48
	v_cmp_lt_u32_e64 s[4:5], 12, v0
	s_waitcnt vmcnt(0)
	ds_write_b32 v116, v124
	s_waitcnt lgkmcnt(0)
	; wave barrier
	s_waitcnt lgkmcnt(0)
	s_and_saveexec_b64 s[8:9], s[4:5]
	s_cbranch_execz .LBB56_436
; %bb.427:
	s_andn2_b64 vcc, exec, s[10:11]
	s_cbranch_vccnz .LBB56_429
; %bb.428:
	buffer_load_dword v124, v117, s[0:3], 0 offen
	ds_read_b32 v125, v116
	s_waitcnt vmcnt(0) lgkmcnt(0)
	v_mul_f32_e32 v124, v124, v125
	s_cbranch_execz .LBB56_430
	s_branch .LBB56_431
.LBB56_429:
                                        ; implicit-def: $vgpr124
.LBB56_430:
	ds_read_b32 v124, v116
.LBB56_431:
	s_and_saveexec_b64 s[12:13], s[6:7]
	s_cbranch_execz .LBB56_435
; %bb.432:
	v_mov_b32_e32 v125, 0
	v_add_u32_e32 v125, 52, v125
	v_add_u32_e32 v126, -13, v0
	s_movk_i32 s14, 0x124
	s_mov_b64 s[6:7], 0
.LBB56_433:                             ; =>This Inner Loop Header: Depth=1
	buffer_load_dword v127, v125, s[0:3], 0 offen
	v_mov_b32_e32 v128, s14
	ds_read_b32 v128, v128
	v_add_u32_e32 v126, -1, v126
	s_add_i32 s14, s14, 4
	v_cmp_eq_u32_e32 vcc, 0, v126
	v_add_u32_e32 v125, 4, v125
	s_or_b64 s[6:7], vcc, s[6:7]
	s_waitcnt vmcnt(0) lgkmcnt(0)
	v_fmac_f32_e32 v124, v127, v128
	s_andn2_b64 exec, exec, s[6:7]
	s_cbranch_execnz .LBB56_433
; %bb.434:
	s_or_b64 exec, exec, s[6:7]
.LBB56_435:
	s_or_b64 exec, exec, s[12:13]
	v_mov_b32_e32 v125, 0
	ds_read_b32 v125, v125 offset:48
	s_waitcnt lgkmcnt(0)
	v_mul_f32_e32 v124, v124, v125
	buffer_store_dword v124, off, s[0:3], 0 offset:48
.LBB56_436:
	s_or_b64 exec, exec, s[8:9]
	buffer_load_dword v124, off, s[0:3], 0 offset:44
	v_cmp_lt_u32_e64 s[6:7], 11, v0
	s_waitcnt vmcnt(0)
	ds_write_b32 v116, v124
	s_waitcnt lgkmcnt(0)
	; wave barrier
	s_waitcnt lgkmcnt(0)
	s_and_saveexec_b64 s[8:9], s[6:7]
	s_cbranch_execz .LBB56_446
; %bb.437:
	s_andn2_b64 vcc, exec, s[10:11]
	s_cbranch_vccnz .LBB56_439
; %bb.438:
	buffer_load_dword v124, v117, s[0:3], 0 offen
	ds_read_b32 v125, v116
	s_waitcnt vmcnt(0) lgkmcnt(0)
	v_mul_f32_e32 v124, v124, v125
	s_cbranch_execz .LBB56_440
	s_branch .LBB56_441
.LBB56_439:
                                        ; implicit-def: $vgpr124
.LBB56_440:
	ds_read_b32 v124, v116
.LBB56_441:
	s_and_saveexec_b64 s[12:13], s[4:5]
	s_cbranch_execz .LBB56_445
; %bb.442:
	v_add_u32_e32 v125, -12, v0
	s_movk_i32 s14, 0x120
	s_mov_b64 s[4:5], 0
.LBB56_443:                             ; =>This Inner Loop Header: Depth=1
	buffer_load_dword v126, v123, s[0:3], 0 offen
	v_mov_b32_e32 v127, s14
	ds_read_b32 v127, v127
	v_add_u32_e32 v125, -1, v125
	s_add_i32 s14, s14, 4
	v_cmp_eq_u32_e32 vcc, 0, v125
	v_add_u32_e32 v123, 4, v123
	s_or_b64 s[4:5], vcc, s[4:5]
	s_waitcnt vmcnt(0) lgkmcnt(0)
	v_fmac_f32_e32 v124, v126, v127
	s_andn2_b64 exec, exec, s[4:5]
	s_cbranch_execnz .LBB56_443
; %bb.444:
	s_or_b64 exec, exec, s[4:5]
.LBB56_445:
	s_or_b64 exec, exec, s[12:13]
	v_mov_b32_e32 v123, 0
	ds_read_b32 v123, v123 offset:44
	s_waitcnt lgkmcnt(0)
	v_mul_f32_e32 v123, v124, v123
	buffer_store_dword v123, off, s[0:3], 0 offset:44
.LBB56_446:
	s_or_b64 exec, exec, s[8:9]
	buffer_load_dword v123, off, s[0:3], 0 offset:40
	v_cmp_lt_u32_e64 s[4:5], 10, v0
	s_waitcnt vmcnt(0)
	ds_write_b32 v116, v123
	s_waitcnt lgkmcnt(0)
	; wave barrier
	s_waitcnt lgkmcnt(0)
	s_and_saveexec_b64 s[8:9], s[4:5]
	s_cbranch_execz .LBB56_456
; %bb.447:
	s_andn2_b64 vcc, exec, s[10:11]
	s_cbranch_vccnz .LBB56_449
; %bb.448:
	buffer_load_dword v123, v117, s[0:3], 0 offen
	ds_read_b32 v124, v116
	s_waitcnt vmcnt(0) lgkmcnt(0)
	v_mul_f32_e32 v123, v123, v124
	s_cbranch_execz .LBB56_450
	s_branch .LBB56_451
.LBB56_449:
                                        ; implicit-def: $vgpr123
.LBB56_450:
	ds_read_b32 v123, v116
.LBB56_451:
	s_and_saveexec_b64 s[12:13], s[6:7]
	s_cbranch_execz .LBB56_455
; %bb.452:
	v_mov_b32_e32 v124, 0
	v_add_u32_e32 v124, 44, v124
	v_add_u32_e32 v125, -11, v0
	s_movk_i32 s14, 0x11c
	s_mov_b64 s[6:7], 0
.LBB56_453:                             ; =>This Inner Loop Header: Depth=1
	buffer_load_dword v126, v124, s[0:3], 0 offen
	v_mov_b32_e32 v127, s14
	ds_read_b32 v127, v127
	v_add_u32_e32 v125, -1, v125
	s_add_i32 s14, s14, 4
	v_cmp_eq_u32_e32 vcc, 0, v125
	v_add_u32_e32 v124, 4, v124
	s_or_b64 s[6:7], vcc, s[6:7]
	s_waitcnt vmcnt(0) lgkmcnt(0)
	v_fmac_f32_e32 v123, v126, v127
	s_andn2_b64 exec, exec, s[6:7]
	s_cbranch_execnz .LBB56_453
; %bb.454:
	s_or_b64 exec, exec, s[6:7]
.LBB56_455:
	s_or_b64 exec, exec, s[12:13]
	v_mov_b32_e32 v124, 0
	ds_read_b32 v124, v124 offset:40
	s_waitcnt lgkmcnt(0)
	v_mul_f32_e32 v123, v123, v124
	buffer_store_dword v123, off, s[0:3], 0 offset:40
.LBB56_456:
	s_or_b64 exec, exec, s[8:9]
	buffer_load_dword v123, off, s[0:3], 0 offset:36
	v_cmp_lt_u32_e64 s[6:7], 9, v0
	s_waitcnt vmcnt(0)
	ds_write_b32 v116, v123
	s_waitcnt lgkmcnt(0)
	; wave barrier
	s_waitcnt lgkmcnt(0)
	s_and_saveexec_b64 s[8:9], s[6:7]
	s_cbranch_execz .LBB56_466
; %bb.457:
	s_andn2_b64 vcc, exec, s[10:11]
	s_cbranch_vccnz .LBB56_459
; %bb.458:
	buffer_load_dword v123, v117, s[0:3], 0 offen
	ds_read_b32 v124, v116
	s_waitcnt vmcnt(0) lgkmcnt(0)
	v_mul_f32_e32 v123, v123, v124
	s_cbranch_execz .LBB56_460
	s_branch .LBB56_461
.LBB56_459:
                                        ; implicit-def: $vgpr123
.LBB56_460:
	ds_read_b32 v123, v116
.LBB56_461:
	s_and_saveexec_b64 s[12:13], s[4:5]
	s_cbranch_execz .LBB56_465
; %bb.462:
	v_add_u32_e32 v124, -10, v0
	s_movk_i32 s14, 0x118
	s_mov_b64 s[4:5], 0
.LBB56_463:                             ; =>This Inner Loop Header: Depth=1
	buffer_load_dword v125, v122, s[0:3], 0 offen
	v_mov_b32_e32 v126, s14
	ds_read_b32 v126, v126
	v_add_u32_e32 v124, -1, v124
	s_add_i32 s14, s14, 4
	v_cmp_eq_u32_e32 vcc, 0, v124
	v_add_u32_e32 v122, 4, v122
	s_or_b64 s[4:5], vcc, s[4:5]
	s_waitcnt vmcnt(0) lgkmcnt(0)
	v_fmac_f32_e32 v123, v125, v126
	s_andn2_b64 exec, exec, s[4:5]
	s_cbranch_execnz .LBB56_463
; %bb.464:
	s_or_b64 exec, exec, s[4:5]
.LBB56_465:
	s_or_b64 exec, exec, s[12:13]
	v_mov_b32_e32 v122, 0
	ds_read_b32 v122, v122 offset:36
	s_waitcnt lgkmcnt(0)
	v_mul_f32_e32 v122, v123, v122
	buffer_store_dword v122, off, s[0:3], 0 offset:36
.LBB56_466:
	s_or_b64 exec, exec, s[8:9]
	buffer_load_dword v122, off, s[0:3], 0 offset:32
	v_cmp_lt_u32_e64 s[4:5], 8, v0
	s_waitcnt vmcnt(0)
	ds_write_b32 v116, v122
	s_waitcnt lgkmcnt(0)
	; wave barrier
	s_waitcnt lgkmcnt(0)
	s_and_saveexec_b64 s[8:9], s[4:5]
	s_cbranch_execz .LBB56_476
; %bb.467:
	s_andn2_b64 vcc, exec, s[10:11]
	s_cbranch_vccnz .LBB56_469
; %bb.468:
	buffer_load_dword v122, v117, s[0:3], 0 offen
	ds_read_b32 v123, v116
	s_waitcnt vmcnt(0) lgkmcnt(0)
	v_mul_f32_e32 v122, v122, v123
	s_cbranch_execz .LBB56_470
	s_branch .LBB56_471
.LBB56_469:
                                        ; implicit-def: $vgpr122
.LBB56_470:
	ds_read_b32 v122, v116
.LBB56_471:
	s_and_saveexec_b64 s[12:13], s[6:7]
	s_cbranch_execz .LBB56_475
; %bb.472:
	v_mov_b32_e32 v123, 0
	v_add_u32_e32 v123, 36, v123
	v_add_u32_e32 v124, -9, v0
	s_movk_i32 s14, 0x114
	s_mov_b64 s[6:7], 0
.LBB56_473:                             ; =>This Inner Loop Header: Depth=1
	buffer_load_dword v125, v123, s[0:3], 0 offen
	v_mov_b32_e32 v126, s14
	ds_read_b32 v126, v126
	v_add_u32_e32 v124, -1, v124
	s_add_i32 s14, s14, 4
	v_cmp_eq_u32_e32 vcc, 0, v124
	v_add_u32_e32 v123, 4, v123
	s_or_b64 s[6:7], vcc, s[6:7]
	s_waitcnt vmcnt(0) lgkmcnt(0)
	v_fmac_f32_e32 v122, v125, v126
	s_andn2_b64 exec, exec, s[6:7]
	s_cbranch_execnz .LBB56_473
; %bb.474:
	s_or_b64 exec, exec, s[6:7]
.LBB56_475:
	s_or_b64 exec, exec, s[12:13]
	v_mov_b32_e32 v123, 0
	ds_read_b32 v123, v123 offset:32
	s_waitcnt lgkmcnt(0)
	v_mul_f32_e32 v122, v122, v123
	buffer_store_dword v122, off, s[0:3], 0 offset:32
.LBB56_476:
	s_or_b64 exec, exec, s[8:9]
	buffer_load_dword v122, off, s[0:3], 0 offset:28
	v_cmp_lt_u32_e64 s[6:7], 7, v0
	s_waitcnt vmcnt(0)
	ds_write_b32 v116, v122
	s_waitcnt lgkmcnt(0)
	; wave barrier
	s_waitcnt lgkmcnt(0)
	s_and_saveexec_b64 s[8:9], s[6:7]
	s_cbranch_execz .LBB56_486
; %bb.477:
	s_andn2_b64 vcc, exec, s[10:11]
	s_cbranch_vccnz .LBB56_479
; %bb.478:
	buffer_load_dword v122, v117, s[0:3], 0 offen
	ds_read_b32 v123, v116
	s_waitcnt vmcnt(0) lgkmcnt(0)
	v_mul_f32_e32 v122, v122, v123
	s_cbranch_execz .LBB56_480
	s_branch .LBB56_481
.LBB56_479:
                                        ; implicit-def: $vgpr122
.LBB56_480:
	ds_read_b32 v122, v116
.LBB56_481:
	s_and_saveexec_b64 s[12:13], s[4:5]
	s_cbranch_execz .LBB56_485
; %bb.482:
	v_add_u32_e32 v123, -8, v0
	s_movk_i32 s14, 0x110
	s_mov_b64 s[4:5], 0
.LBB56_483:                             ; =>This Inner Loop Header: Depth=1
	buffer_load_dword v124, v121, s[0:3], 0 offen
	v_mov_b32_e32 v125, s14
	ds_read_b32 v125, v125
	v_add_u32_e32 v123, -1, v123
	s_add_i32 s14, s14, 4
	v_cmp_eq_u32_e32 vcc, 0, v123
	v_add_u32_e32 v121, 4, v121
	s_or_b64 s[4:5], vcc, s[4:5]
	s_waitcnt vmcnt(0) lgkmcnt(0)
	v_fmac_f32_e32 v122, v124, v125
	s_andn2_b64 exec, exec, s[4:5]
	s_cbranch_execnz .LBB56_483
; %bb.484:
	s_or_b64 exec, exec, s[4:5]
.LBB56_485:
	s_or_b64 exec, exec, s[12:13]
	v_mov_b32_e32 v121, 0
	ds_read_b32 v121, v121 offset:28
	s_waitcnt lgkmcnt(0)
	v_mul_f32_e32 v121, v122, v121
	buffer_store_dword v121, off, s[0:3], 0 offset:28
.LBB56_486:
	s_or_b64 exec, exec, s[8:9]
	buffer_load_dword v121, off, s[0:3], 0 offset:24
	v_cmp_lt_u32_e64 s[4:5], 6, v0
	s_waitcnt vmcnt(0)
	ds_write_b32 v116, v121
	s_waitcnt lgkmcnt(0)
	; wave barrier
	s_waitcnt lgkmcnt(0)
	s_and_saveexec_b64 s[8:9], s[4:5]
	s_cbranch_execz .LBB56_496
; %bb.487:
	s_andn2_b64 vcc, exec, s[10:11]
	s_cbranch_vccnz .LBB56_489
; %bb.488:
	buffer_load_dword v121, v117, s[0:3], 0 offen
	ds_read_b32 v122, v116
	s_waitcnt vmcnt(0) lgkmcnt(0)
	v_mul_f32_e32 v121, v121, v122
	s_cbranch_execz .LBB56_490
	s_branch .LBB56_491
.LBB56_489:
                                        ; implicit-def: $vgpr121
.LBB56_490:
	ds_read_b32 v121, v116
.LBB56_491:
	s_and_saveexec_b64 s[12:13], s[6:7]
	s_cbranch_execz .LBB56_495
; %bb.492:
	v_mov_b32_e32 v122, 0
	v_add_u32_e32 v122, 28, v122
	v_add_u32_e32 v123, -7, v0
	s_movk_i32 s14, 0x10c
	s_mov_b64 s[6:7], 0
.LBB56_493:                             ; =>This Inner Loop Header: Depth=1
	buffer_load_dword v124, v122, s[0:3], 0 offen
	v_mov_b32_e32 v125, s14
	ds_read_b32 v125, v125
	v_add_u32_e32 v123, -1, v123
	s_add_i32 s14, s14, 4
	v_cmp_eq_u32_e32 vcc, 0, v123
	v_add_u32_e32 v122, 4, v122
	s_or_b64 s[6:7], vcc, s[6:7]
	s_waitcnt vmcnt(0) lgkmcnt(0)
	v_fmac_f32_e32 v121, v124, v125
	s_andn2_b64 exec, exec, s[6:7]
	s_cbranch_execnz .LBB56_493
; %bb.494:
	s_or_b64 exec, exec, s[6:7]
.LBB56_495:
	s_or_b64 exec, exec, s[12:13]
	v_mov_b32_e32 v122, 0
	ds_read_b32 v122, v122 offset:24
	s_waitcnt lgkmcnt(0)
	v_mul_f32_e32 v121, v121, v122
	buffer_store_dword v121, off, s[0:3], 0 offset:24
.LBB56_496:
	s_or_b64 exec, exec, s[8:9]
	buffer_load_dword v121, off, s[0:3], 0 offset:20
	v_cmp_lt_u32_e64 s[6:7], 5, v0
	s_waitcnt vmcnt(0)
	ds_write_b32 v116, v121
	s_waitcnt lgkmcnt(0)
	; wave barrier
	s_waitcnt lgkmcnt(0)
	s_and_saveexec_b64 s[8:9], s[6:7]
	s_cbranch_execz .LBB56_506
; %bb.497:
	s_andn2_b64 vcc, exec, s[10:11]
	s_cbranch_vccnz .LBB56_499
; %bb.498:
	buffer_load_dword v121, v117, s[0:3], 0 offen
	ds_read_b32 v122, v116
	s_waitcnt vmcnt(0) lgkmcnt(0)
	v_mul_f32_e32 v121, v121, v122
	s_cbranch_execz .LBB56_500
	s_branch .LBB56_501
.LBB56_499:
                                        ; implicit-def: $vgpr121
.LBB56_500:
	ds_read_b32 v121, v116
.LBB56_501:
	s_and_saveexec_b64 s[12:13], s[4:5]
	s_cbranch_execz .LBB56_505
; %bb.502:
	v_add_u32_e32 v122, -6, v0
	s_movk_i32 s14, 0x108
	s_mov_b64 s[4:5], 0
.LBB56_503:                             ; =>This Inner Loop Header: Depth=1
	buffer_load_dword v123, v120, s[0:3], 0 offen
	v_mov_b32_e32 v124, s14
	ds_read_b32 v124, v124
	v_add_u32_e32 v122, -1, v122
	s_add_i32 s14, s14, 4
	v_cmp_eq_u32_e32 vcc, 0, v122
	v_add_u32_e32 v120, 4, v120
	s_or_b64 s[4:5], vcc, s[4:5]
	s_waitcnt vmcnt(0) lgkmcnt(0)
	v_fmac_f32_e32 v121, v123, v124
	s_andn2_b64 exec, exec, s[4:5]
	s_cbranch_execnz .LBB56_503
; %bb.504:
	s_or_b64 exec, exec, s[4:5]
.LBB56_505:
	s_or_b64 exec, exec, s[12:13]
	v_mov_b32_e32 v120, 0
	ds_read_b32 v120, v120 offset:20
	s_waitcnt lgkmcnt(0)
	v_mul_f32_e32 v120, v121, v120
	buffer_store_dword v120, off, s[0:3], 0 offset:20
.LBB56_506:
	s_or_b64 exec, exec, s[8:9]
	buffer_load_dword v120, off, s[0:3], 0 offset:16
	v_cmp_lt_u32_e64 s[4:5], 4, v0
	s_waitcnt vmcnt(0)
	ds_write_b32 v116, v120
	s_waitcnt lgkmcnt(0)
	; wave barrier
	s_waitcnt lgkmcnt(0)
	s_and_saveexec_b64 s[8:9], s[4:5]
	s_cbranch_execz .LBB56_516
; %bb.507:
	s_andn2_b64 vcc, exec, s[10:11]
	s_cbranch_vccnz .LBB56_509
; %bb.508:
	buffer_load_dword v120, v117, s[0:3], 0 offen
	ds_read_b32 v121, v116
	s_waitcnt vmcnt(0) lgkmcnt(0)
	v_mul_f32_e32 v120, v120, v121
	s_cbranch_execz .LBB56_510
	s_branch .LBB56_511
.LBB56_509:
                                        ; implicit-def: $vgpr120
.LBB56_510:
	ds_read_b32 v120, v116
.LBB56_511:
	s_and_saveexec_b64 s[12:13], s[6:7]
	s_cbranch_execz .LBB56_515
; %bb.512:
	v_mov_b32_e32 v121, 0
	v_add_u32_e32 v121, 20, v121
	v_add_u32_e32 v122, -5, v0
	s_movk_i32 s14, 0x104
	s_mov_b64 s[6:7], 0
.LBB56_513:                             ; =>This Inner Loop Header: Depth=1
	buffer_load_dword v123, v121, s[0:3], 0 offen
	v_mov_b32_e32 v124, s14
	ds_read_b32 v124, v124
	v_add_u32_e32 v122, -1, v122
	s_add_i32 s14, s14, 4
	v_cmp_eq_u32_e32 vcc, 0, v122
	v_add_u32_e32 v121, 4, v121
	s_or_b64 s[6:7], vcc, s[6:7]
	s_waitcnt vmcnt(0) lgkmcnt(0)
	v_fmac_f32_e32 v120, v123, v124
	s_andn2_b64 exec, exec, s[6:7]
	s_cbranch_execnz .LBB56_513
; %bb.514:
	s_or_b64 exec, exec, s[6:7]
.LBB56_515:
	s_or_b64 exec, exec, s[12:13]
	v_mov_b32_e32 v121, 0
	ds_read_b32 v121, v121 offset:16
	s_waitcnt lgkmcnt(0)
	v_mul_f32_e32 v120, v120, v121
	buffer_store_dword v120, off, s[0:3], 0 offset:16
.LBB56_516:
	s_or_b64 exec, exec, s[8:9]
	buffer_load_dword v120, off, s[0:3], 0 offset:12
	v_cmp_lt_u32_e64 s[6:7], 3, v0
	s_waitcnt vmcnt(0)
	ds_write_b32 v116, v120
	s_waitcnt lgkmcnt(0)
	; wave barrier
	s_waitcnt lgkmcnt(0)
	s_and_saveexec_b64 s[8:9], s[6:7]
	s_cbranch_execz .LBB56_526
; %bb.517:
	s_andn2_b64 vcc, exec, s[10:11]
	s_cbranch_vccnz .LBB56_519
; %bb.518:
	buffer_load_dword v120, v117, s[0:3], 0 offen
	ds_read_b32 v121, v116
	s_waitcnt vmcnt(0) lgkmcnt(0)
	v_mul_f32_e32 v120, v120, v121
	s_cbranch_execz .LBB56_520
	s_branch .LBB56_521
.LBB56_519:
                                        ; implicit-def: $vgpr120
.LBB56_520:
	ds_read_b32 v120, v116
.LBB56_521:
	s_and_saveexec_b64 s[12:13], s[4:5]
	s_cbranch_execz .LBB56_525
; %bb.522:
	v_add_u32_e32 v121, -4, v0
	s_movk_i32 s14, 0x100
	s_mov_b64 s[4:5], 0
.LBB56_523:                             ; =>This Inner Loop Header: Depth=1
	buffer_load_dword v122, v119, s[0:3], 0 offen
	v_mov_b32_e32 v123, s14
	ds_read_b32 v123, v123
	v_add_u32_e32 v121, -1, v121
	s_add_i32 s14, s14, 4
	v_cmp_eq_u32_e32 vcc, 0, v121
	v_add_u32_e32 v119, 4, v119
	s_or_b64 s[4:5], vcc, s[4:5]
	s_waitcnt vmcnt(0) lgkmcnt(0)
	v_fmac_f32_e32 v120, v122, v123
	s_andn2_b64 exec, exec, s[4:5]
	s_cbranch_execnz .LBB56_523
; %bb.524:
	s_or_b64 exec, exec, s[4:5]
.LBB56_525:
	s_or_b64 exec, exec, s[12:13]
	v_mov_b32_e32 v119, 0
	ds_read_b32 v119, v119 offset:12
	s_waitcnt lgkmcnt(0)
	v_mul_f32_e32 v119, v120, v119
	buffer_store_dword v119, off, s[0:3], 0 offset:12
.LBB56_526:
	s_or_b64 exec, exec, s[8:9]
	buffer_load_dword v119, off, s[0:3], 0 offset:8
	v_cmp_lt_u32_e64 s[4:5], 2, v0
	s_waitcnt vmcnt(0)
	ds_write_b32 v116, v119
	s_waitcnt lgkmcnt(0)
	; wave barrier
	s_waitcnt lgkmcnt(0)
	s_and_saveexec_b64 s[8:9], s[4:5]
	s_cbranch_execz .LBB56_536
; %bb.527:
	s_andn2_b64 vcc, exec, s[10:11]
	s_cbranch_vccnz .LBB56_529
; %bb.528:
	buffer_load_dword v119, v117, s[0:3], 0 offen
	ds_read_b32 v120, v116
	s_waitcnt vmcnt(0) lgkmcnt(0)
	v_mul_f32_e32 v119, v119, v120
	s_cbranch_execz .LBB56_530
	s_branch .LBB56_531
.LBB56_529:
                                        ; implicit-def: $vgpr119
.LBB56_530:
	ds_read_b32 v119, v116
.LBB56_531:
	s_and_saveexec_b64 s[12:13], s[6:7]
	s_cbranch_execz .LBB56_535
; %bb.532:
	v_mov_b32_e32 v120, 0
	v_or_b32_e32 v120, 12, v120
	v_add_u32_e32 v121, -3, v0
	s_movk_i32 s14, 0xfc
	s_mov_b64 s[6:7], 0
.LBB56_533:                             ; =>This Inner Loop Header: Depth=1
	buffer_load_dword v122, v120, s[0:3], 0 offen
	v_mov_b32_e32 v123, s14
	ds_read_b32 v123, v123
	v_add_u32_e32 v121, -1, v121
	s_add_i32 s14, s14, 4
	v_cmp_eq_u32_e32 vcc, 0, v121
	v_add_u32_e32 v120, 4, v120
	s_or_b64 s[6:7], vcc, s[6:7]
	s_waitcnt vmcnt(0) lgkmcnt(0)
	v_fmac_f32_e32 v119, v122, v123
	s_andn2_b64 exec, exec, s[6:7]
	s_cbranch_execnz .LBB56_533
; %bb.534:
	s_or_b64 exec, exec, s[6:7]
.LBB56_535:
	s_or_b64 exec, exec, s[12:13]
	v_mov_b32_e32 v120, 0
	ds_read_b32 v120, v120 offset:8
	s_waitcnt lgkmcnt(0)
	v_mul_f32_e32 v119, v119, v120
	buffer_store_dword v119, off, s[0:3], 0 offset:8
.LBB56_536:
	s_or_b64 exec, exec, s[8:9]
	buffer_load_dword v119, off, s[0:3], 0 offset:4
	v_cmp_lt_u32_e64 s[6:7], 1, v0
	s_waitcnt vmcnt(0)
	ds_write_b32 v116, v119
	s_waitcnt lgkmcnt(0)
	; wave barrier
	s_waitcnt lgkmcnt(0)
	s_and_saveexec_b64 s[8:9], s[6:7]
	s_cbranch_execz .LBB56_546
; %bb.537:
	s_andn2_b64 vcc, exec, s[10:11]
	s_cbranch_vccnz .LBB56_539
; %bb.538:
	buffer_load_dword v119, v117, s[0:3], 0 offen
	ds_read_b32 v120, v116
	s_waitcnt vmcnt(0) lgkmcnt(0)
	v_mul_f32_e32 v119, v119, v120
	s_cbranch_execz .LBB56_540
	s_branch .LBB56_541
.LBB56_539:
                                        ; implicit-def: $vgpr119
.LBB56_540:
	ds_read_b32 v119, v116
.LBB56_541:
	s_and_saveexec_b64 s[12:13], s[4:5]
	s_cbranch_execz .LBB56_545
; %bb.542:
	v_add_u32_e32 v120, -2, v0
	s_movk_i32 s14, 0xf8
	s_mov_b64 s[4:5], 0
.LBB56_543:                             ; =>This Inner Loop Header: Depth=1
	buffer_load_dword v121, v118, s[0:3], 0 offen
	v_mov_b32_e32 v122, s14
	ds_read_b32 v122, v122
	v_add_u32_e32 v120, -1, v120
	s_add_i32 s14, s14, 4
	v_cmp_eq_u32_e32 vcc, 0, v120
	v_add_u32_e32 v118, 4, v118
	s_or_b64 s[4:5], vcc, s[4:5]
	s_waitcnt vmcnt(0) lgkmcnt(0)
	v_fmac_f32_e32 v119, v121, v122
	s_andn2_b64 exec, exec, s[4:5]
	s_cbranch_execnz .LBB56_543
; %bb.544:
	s_or_b64 exec, exec, s[4:5]
.LBB56_545:
	s_or_b64 exec, exec, s[12:13]
	v_mov_b32_e32 v118, 0
	ds_read_b32 v118, v118 offset:4
	s_waitcnt lgkmcnt(0)
	v_mul_f32_e32 v118, v119, v118
	buffer_store_dword v118, off, s[0:3], 0 offset:4
.LBB56_546:
	s_or_b64 exec, exec, s[8:9]
	buffer_load_dword v118, off, s[0:3], 0
	v_cmp_ne_u32_e32 vcc, 0, v0
	s_waitcnt vmcnt(0)
	ds_write_b32 v116, v118
	s_waitcnt lgkmcnt(0)
	; wave barrier
	s_waitcnt lgkmcnt(0)
	s_and_saveexec_b64 s[4:5], vcc
	s_cbranch_execz .LBB56_556
; %bb.547:
	s_andn2_b64 vcc, exec, s[10:11]
	s_cbranch_vccnz .LBB56_549
; %bb.548:
	buffer_load_dword v118, v117, s[0:3], 0 offen
	ds_read_b32 v119, v116
	s_waitcnt vmcnt(0) lgkmcnt(0)
	v_mul_f32_e32 v118, v118, v119
	s_cbranch_execz .LBB56_550
	s_branch .LBB56_551
.LBB56_549:
                                        ; implicit-def: $vgpr118
.LBB56_550:
	ds_read_b32 v118, v116
.LBB56_551:
	s_and_saveexec_b64 s[8:9], s[6:7]
	s_cbranch_execz .LBB56_555
; %bb.552:
	v_mov_b32_e32 v119, 0
	v_or_b32_e32 v119, 4, v119
	v_add_u32_e32 v120, -1, v0
	s_movk_i32 s12, 0xf4
	s_mov_b64 s[6:7], 0
.LBB56_553:                             ; =>This Inner Loop Header: Depth=1
	buffer_load_dword v121, v119, s[0:3], 0 offen
	v_mov_b32_e32 v122, s12
	ds_read_b32 v122, v122
	v_add_u32_e32 v120, -1, v120
	s_add_i32 s12, s12, 4
	v_cmp_eq_u32_e32 vcc, 0, v120
	v_add_u32_e32 v119, 4, v119
	s_or_b64 s[6:7], vcc, s[6:7]
	s_waitcnt vmcnt(0) lgkmcnt(0)
	v_fmac_f32_e32 v118, v121, v122
	s_andn2_b64 exec, exec, s[6:7]
	s_cbranch_execnz .LBB56_553
; %bb.554:
	s_or_b64 exec, exec, s[6:7]
.LBB56_555:
	s_or_b64 exec, exec, s[8:9]
	v_mov_b32_e32 v119, 0
	ds_read_b32 v119, v119
	s_waitcnt lgkmcnt(0)
	v_mul_f32_e32 v118, v118, v119
	buffer_store_dword v118, off, s[0:3], 0
.LBB56_556:
	s_or_b64 exec, exec, s[4:5]
	s_mov_b64 s[4:5], 0
.LBB56_557:
	s_and_b64 vcc, exec, s[4:5]
	s_cbranch_vccz .LBB56_1111
; %bb.558:
	buffer_load_dword v118, off, s[0:3], 0 offset:4
	v_cmp_eq_u32_e64 s[6:7], 0, v0
	s_waitcnt vmcnt(0)
	ds_write_b32 v116, v118
	s_waitcnt lgkmcnt(0)
	; wave barrier
	s_waitcnt lgkmcnt(0)
	s_and_saveexec_b64 s[4:5], s[6:7]
	s_cbranch_execz .LBB56_564
; %bb.559:
	s_and_b64 vcc, exec, s[10:11]
	s_cbranch_vccz .LBB56_561
; %bb.560:
	buffer_load_dword v118, v117, s[0:3], 0 offen
	ds_read_b32 v119, v116
	s_waitcnt vmcnt(0) lgkmcnt(0)
	v_mul_f32_e32 v118, v118, v119
	s_cbranch_execz .LBB56_562
	s_branch .LBB56_563
.LBB56_561:
                                        ; implicit-def: $vgpr118
.LBB56_562:
	ds_read_b32 v118, v116
.LBB56_563:
	v_mov_b32_e32 v119, 0
	ds_read_b32 v119, v119 offset:4
	s_waitcnt lgkmcnt(0)
	v_mul_f32_e32 v118, v118, v119
	buffer_store_dword v118, off, s[0:3], 0 offset:4
.LBB56_564:
	s_or_b64 exec, exec, s[4:5]
	buffer_load_dword v118, off, s[0:3], 0 offset:8
	v_cndmask_b32_e64 v119, 0, 1, s[10:11]
	v_cmp_gt_u32_e32 vcc, 2, v0
	v_cmp_ne_u32_e64 s[4:5], 1, v119
	s_waitcnt vmcnt(0)
	ds_write_b32 v116, v118
	s_waitcnt lgkmcnt(0)
	; wave barrier
	s_waitcnt lgkmcnt(0)
	s_and_saveexec_b64 s[8:9], vcc
	s_cbranch_execz .LBB56_572
; %bb.565:
	s_and_b64 vcc, exec, s[4:5]
	s_cbranch_vccnz .LBB56_567
; %bb.566:
	buffer_load_dword v118, v117, s[0:3], 0 offen
	ds_read_b32 v119, v116
	s_waitcnt vmcnt(0) lgkmcnt(0)
	v_mul_f32_e32 v118, v118, v119
	s_cbranch_execz .LBB56_568
	s_branch .LBB56_569
.LBB56_567:
                                        ; implicit-def: $vgpr118
.LBB56_568:
	ds_read_b32 v118, v116
.LBB56_569:
	s_and_saveexec_b64 s[10:11], s[6:7]
	s_cbranch_execz .LBB56_571
; %bb.570:
	buffer_load_dword v119, v117, s[0:3], 0 offen offset:4
	ds_read_b32 v120, v116 offset:4
	s_waitcnt vmcnt(0) lgkmcnt(0)
	v_fmac_f32_e32 v118, v119, v120
.LBB56_571:
	s_or_b64 exec, exec, s[10:11]
	v_mov_b32_e32 v119, 0
	ds_read_b32 v119, v119 offset:8
	s_waitcnt lgkmcnt(0)
	v_mul_f32_e32 v118, v118, v119
	buffer_store_dword v118, off, s[0:3], 0 offset:8
.LBB56_572:
	s_or_b64 exec, exec, s[8:9]
	buffer_load_dword v118, off, s[0:3], 0 offset:12
	v_cmp_gt_u32_e32 vcc, 3, v0
	s_waitcnt vmcnt(0)
	ds_write_b32 v116, v118
	s_waitcnt lgkmcnt(0)
	; wave barrier
	s_waitcnt lgkmcnt(0)
	s_and_saveexec_b64 s[8:9], vcc
	s_cbranch_execz .LBB56_580
; %bb.573:
	s_and_b64 vcc, exec, s[4:5]
	s_cbranch_vccnz .LBB56_575
; %bb.574:
	buffer_load_dword v118, v117, s[0:3], 0 offen
	ds_read_b32 v119, v116
	s_waitcnt vmcnt(0) lgkmcnt(0)
	v_mul_f32_e32 v118, v118, v119
	s_cbranch_execz .LBB56_576
	s_branch .LBB56_577
.LBB56_575:
                                        ; implicit-def: $vgpr118
.LBB56_576:
	ds_read_b32 v118, v116
.LBB56_577:
	v_cmp_ne_u32_e32 vcc, 2, v0
	s_and_saveexec_b64 s[10:11], vcc
	s_cbranch_execz .LBB56_579
; %bb.578:
	buffer_load_dword v119, v117, s[0:3], 0 offen offset:4
	buffer_load_dword v120, off, s[0:3], 0 offset:8
	v_mov_b32_e32 v121, 0
	ds_read_b32 v122, v116 offset:4
	ds_read_b32 v121, v121 offset:248
	s_waitcnt vmcnt(1) lgkmcnt(1)
	v_fmac_f32_e32 v118, v119, v122
	s_waitcnt vmcnt(0) lgkmcnt(0)
	v_fma_f32 v119, v120, v121, v118
	v_cndmask_b32_e64 v118, v118, v119, s[6:7]
.LBB56_579:
	s_or_b64 exec, exec, s[10:11]
	v_mov_b32_e32 v119, 0
	ds_read_b32 v119, v119 offset:12
	s_waitcnt lgkmcnt(0)
	v_mul_f32_e32 v118, v118, v119
	buffer_store_dword v118, off, s[0:3], 0 offset:12
.LBB56_580:
	s_or_b64 exec, exec, s[8:9]
	buffer_load_dword v118, off, s[0:3], 0 offset:16
	v_cmp_gt_u32_e32 vcc, 4, v0
	s_waitcnt vmcnt(0)
	ds_write_b32 v116, v118
	s_waitcnt lgkmcnt(0)
	; wave barrier
	s_waitcnt lgkmcnt(0)
	s_and_saveexec_b64 s[6:7], vcc
	s_cbranch_execz .LBB56_590
; %bb.581:
	s_and_b64 vcc, exec, s[4:5]
	s_cbranch_vccnz .LBB56_583
; %bb.582:
	buffer_load_dword v118, v117, s[0:3], 0 offen
	ds_read_b32 v119, v116
	s_waitcnt vmcnt(0) lgkmcnt(0)
	v_mul_f32_e32 v118, v118, v119
	s_cbranch_execz .LBB56_584
	s_branch .LBB56_585
.LBB56_583:
                                        ; implicit-def: $vgpr118
.LBB56_584:
	ds_read_b32 v118, v116
.LBB56_585:
	v_cmp_ne_u32_e32 vcc, 3, v0
	s_and_saveexec_b64 s[8:9], vcc
	s_cbranch_execz .LBB56_589
; %bb.586:
	v_mov_b32_e32 v120, 0
	v_add_u32_e32 v119, 0xf4, v1
	v_add3_u32 v120, v1, v120, 4
	s_mov_b64 s[10:11], 0
	v_mov_b32_e32 v121, v0
.LBB56_587:                             ; =>This Inner Loop Header: Depth=1
	buffer_load_dword v122, v120, s[0:3], 0 offen
	ds_read_b32 v123, v119
	v_add_u32_e32 v121, 1, v121
	v_cmp_lt_u32_e32 vcc, 2, v121
	v_add_u32_e32 v119, 4, v119
	v_add_u32_e32 v120, 4, v120
	s_or_b64 s[10:11], vcc, s[10:11]
	s_waitcnt vmcnt(0) lgkmcnt(0)
	v_fmac_f32_e32 v118, v122, v123
	s_andn2_b64 exec, exec, s[10:11]
	s_cbranch_execnz .LBB56_587
; %bb.588:
	s_or_b64 exec, exec, s[10:11]
.LBB56_589:
	s_or_b64 exec, exec, s[8:9]
	v_mov_b32_e32 v119, 0
	ds_read_b32 v119, v119 offset:16
	s_waitcnt lgkmcnt(0)
	v_mul_f32_e32 v118, v118, v119
	buffer_store_dword v118, off, s[0:3], 0 offset:16
.LBB56_590:
	s_or_b64 exec, exec, s[6:7]
	buffer_load_dword v118, off, s[0:3], 0 offset:20
	v_cmp_gt_u32_e32 vcc, 5, v0
	s_waitcnt vmcnt(0)
	ds_write_b32 v116, v118
	s_waitcnt lgkmcnt(0)
	; wave barrier
	s_waitcnt lgkmcnt(0)
	s_and_saveexec_b64 s[6:7], vcc
	s_cbranch_execz .LBB56_600
; %bb.591:
	s_and_b64 vcc, exec, s[4:5]
	s_cbranch_vccnz .LBB56_593
; %bb.592:
	buffer_load_dword v118, v117, s[0:3], 0 offen
	ds_read_b32 v119, v116
	s_waitcnt vmcnt(0) lgkmcnt(0)
	v_mul_f32_e32 v118, v118, v119
	s_cbranch_execz .LBB56_594
	s_branch .LBB56_595
.LBB56_593:
                                        ; implicit-def: $vgpr118
.LBB56_594:
	ds_read_b32 v118, v116
.LBB56_595:
	v_cmp_ne_u32_e32 vcc, 4, v0
	s_and_saveexec_b64 s[8:9], vcc
	s_cbranch_execz .LBB56_599
; %bb.596:
	v_mov_b32_e32 v120, 0
	v_add_u32_e32 v119, 0xf4, v1
	v_add3_u32 v120, v1, v120, 4
	s_mov_b64 s[10:11], 0
	v_mov_b32_e32 v121, v0
.LBB56_597:                             ; =>This Inner Loop Header: Depth=1
	buffer_load_dword v122, v120, s[0:3], 0 offen
	ds_read_b32 v123, v119
	v_add_u32_e32 v121, 1, v121
	v_cmp_lt_u32_e32 vcc, 3, v121
	v_add_u32_e32 v119, 4, v119
	v_add_u32_e32 v120, 4, v120
	s_or_b64 s[10:11], vcc, s[10:11]
	s_waitcnt vmcnt(0) lgkmcnt(0)
	v_fmac_f32_e32 v118, v122, v123
	s_andn2_b64 exec, exec, s[10:11]
	s_cbranch_execnz .LBB56_597
; %bb.598:
	s_or_b64 exec, exec, s[10:11]
.LBB56_599:
	s_or_b64 exec, exec, s[8:9]
	v_mov_b32_e32 v119, 0
	ds_read_b32 v119, v119 offset:20
	s_waitcnt lgkmcnt(0)
	v_mul_f32_e32 v118, v118, v119
	buffer_store_dword v118, off, s[0:3], 0 offset:20
.LBB56_600:
	;; [unrolled: 56-line block ×42, first 2 shown]
	s_or_b64 exec, exec, s[6:7]
	buffer_load_dword v118, off, s[0:3], 0 offset:184
	v_cmp_gt_u32_e32 vcc, 46, v0
	s_waitcnt vmcnt(0)
	ds_write_b32 v116, v118
	s_waitcnt lgkmcnt(0)
	; wave barrier
	s_waitcnt lgkmcnt(0)
	s_and_saveexec_b64 s[6:7], vcc
	s_cbranch_execz .LBB56_1010
; %bb.1001:
	s_and_b64 vcc, exec, s[4:5]
	s_cbranch_vccnz .LBB56_1003
; %bb.1002:
	buffer_load_dword v118, v117, s[0:3], 0 offen
	ds_read_b32 v119, v116
	s_waitcnt vmcnt(0) lgkmcnt(0)
	v_mul_f32_e32 v118, v118, v119
	s_cbranch_execz .LBB56_1004
	s_branch .LBB56_1005
.LBB56_1003:
                                        ; implicit-def: $vgpr118
.LBB56_1004:
	ds_read_b32 v118, v116
.LBB56_1005:
	v_cmp_ne_u32_e32 vcc, 45, v0
	s_and_saveexec_b64 s[8:9], vcc
	s_cbranch_execz .LBB56_1009
; %bb.1006:
	v_mov_b32_e32 v120, 0
	v_add_u32_e32 v119, 0xf4, v1
	v_add3_u32 v120, v1, v120, 4
	s_mov_b64 s[10:11], 0
	v_mov_b32_e32 v121, v0
.LBB56_1007:                            ; =>This Inner Loop Header: Depth=1
	buffer_load_dword v122, v120, s[0:3], 0 offen
	ds_read_b32 v123, v119
	v_add_u32_e32 v121, 1, v121
	v_cmp_lt_u32_e32 vcc, 44, v121
	v_add_u32_e32 v119, 4, v119
	v_add_u32_e32 v120, 4, v120
	s_or_b64 s[10:11], vcc, s[10:11]
	s_waitcnt vmcnt(0) lgkmcnt(0)
	v_fmac_f32_e32 v118, v122, v123
	s_andn2_b64 exec, exec, s[10:11]
	s_cbranch_execnz .LBB56_1007
; %bb.1008:
	s_or_b64 exec, exec, s[10:11]
.LBB56_1009:
	s_or_b64 exec, exec, s[8:9]
	v_mov_b32_e32 v119, 0
	ds_read_b32 v119, v119 offset:184
	s_waitcnt lgkmcnt(0)
	v_mul_f32_e32 v118, v118, v119
	buffer_store_dword v118, off, s[0:3], 0 offset:184
.LBB56_1010:
	s_or_b64 exec, exec, s[6:7]
	buffer_load_dword v118, off, s[0:3], 0 offset:188
	v_cmp_gt_u32_e32 vcc, 47, v0
	s_waitcnt vmcnt(0)
	ds_write_b32 v116, v118
	s_waitcnt lgkmcnt(0)
	; wave barrier
	s_waitcnt lgkmcnt(0)
	s_and_saveexec_b64 s[6:7], vcc
	s_cbranch_execz .LBB56_1020
; %bb.1011:
	s_and_b64 vcc, exec, s[4:5]
	s_cbranch_vccnz .LBB56_1013
; %bb.1012:
	buffer_load_dword v118, v117, s[0:3], 0 offen
	ds_read_b32 v119, v116
	s_waitcnt vmcnt(0) lgkmcnt(0)
	v_mul_f32_e32 v118, v118, v119
	s_cbranch_execz .LBB56_1014
	s_branch .LBB56_1015
.LBB56_1013:
                                        ; implicit-def: $vgpr118
.LBB56_1014:
	ds_read_b32 v118, v116
.LBB56_1015:
	v_cmp_ne_u32_e32 vcc, 46, v0
	s_and_saveexec_b64 s[8:9], vcc
	s_cbranch_execz .LBB56_1019
; %bb.1016:
	v_mov_b32_e32 v120, 0
	v_add_u32_e32 v119, 0xf4, v1
	v_add3_u32 v120, v1, v120, 4
	s_mov_b64 s[10:11], 0
	v_mov_b32_e32 v121, v0
.LBB56_1017:                            ; =>This Inner Loop Header: Depth=1
	buffer_load_dword v122, v120, s[0:3], 0 offen
	ds_read_b32 v123, v119
	v_add_u32_e32 v121, 1, v121
	v_cmp_lt_u32_e32 vcc, 45, v121
	v_add_u32_e32 v119, 4, v119
	v_add_u32_e32 v120, 4, v120
	s_or_b64 s[10:11], vcc, s[10:11]
	s_waitcnt vmcnt(0) lgkmcnt(0)
	v_fmac_f32_e32 v118, v122, v123
	s_andn2_b64 exec, exec, s[10:11]
	s_cbranch_execnz .LBB56_1017
; %bb.1018:
	s_or_b64 exec, exec, s[10:11]
.LBB56_1019:
	s_or_b64 exec, exec, s[8:9]
	v_mov_b32_e32 v119, 0
	ds_read_b32 v119, v119 offset:188
	s_waitcnt lgkmcnt(0)
	v_mul_f32_e32 v118, v118, v119
	buffer_store_dword v118, off, s[0:3], 0 offset:188
.LBB56_1020:
	;; [unrolled: 56-line block ×9, first 2 shown]
	s_or_b64 exec, exec, s[6:7]
	buffer_load_dword v118, off, s[0:3], 0 offset:220
	v_cmp_gt_u32_e64 s[6:7], 55, v0
	s_waitcnt vmcnt(0)
	ds_write_b32 v116, v118
	s_waitcnt lgkmcnt(0)
	; wave barrier
	s_waitcnt lgkmcnt(0)
	s_and_saveexec_b64 s[8:9], s[6:7]
	s_cbranch_execz .LBB56_1100
; %bb.1091:
	s_and_b64 vcc, exec, s[4:5]
	s_cbranch_vccnz .LBB56_1093
; %bb.1092:
	buffer_load_dword v118, v117, s[0:3], 0 offen
	ds_read_b32 v119, v116
	s_waitcnt vmcnt(0) lgkmcnt(0)
	v_mul_f32_e32 v118, v118, v119
	s_cbranch_execz .LBB56_1094
	s_branch .LBB56_1095
.LBB56_1093:
                                        ; implicit-def: $vgpr118
.LBB56_1094:
	ds_read_b32 v118, v116
.LBB56_1095:
	v_cmp_ne_u32_e32 vcc, 54, v0
	s_and_saveexec_b64 s[10:11], vcc
	s_cbranch_execz .LBB56_1099
; %bb.1096:
	v_mov_b32_e32 v120, 0
	v_add_u32_e32 v119, 0xf4, v1
	v_add3_u32 v120, v1, v120, 4
	s_mov_b64 s[12:13], 0
	v_mov_b32_e32 v121, v0
.LBB56_1097:                            ; =>This Inner Loop Header: Depth=1
	buffer_load_dword v122, v120, s[0:3], 0 offen
	ds_read_b32 v123, v119
	v_add_u32_e32 v121, 1, v121
	v_cmp_lt_u32_e32 vcc, 53, v121
	v_add_u32_e32 v119, 4, v119
	v_add_u32_e32 v120, 4, v120
	s_or_b64 s[12:13], vcc, s[12:13]
	s_waitcnt vmcnt(0) lgkmcnt(0)
	v_fmac_f32_e32 v118, v122, v123
	s_andn2_b64 exec, exec, s[12:13]
	s_cbranch_execnz .LBB56_1097
; %bb.1098:
	s_or_b64 exec, exec, s[12:13]
.LBB56_1099:
	s_or_b64 exec, exec, s[10:11]
	v_mov_b32_e32 v119, 0
	ds_read_b32 v119, v119 offset:220
	s_waitcnt lgkmcnt(0)
	v_mul_f32_e32 v118, v118, v119
	buffer_store_dword v118, off, s[0:3], 0 offset:220
.LBB56_1100:
	s_or_b64 exec, exec, s[8:9]
	buffer_load_dword v118, off, s[0:3], 0 offset:224
	v_cmp_ne_u32_e32 vcc, 56, v0
	s_waitcnt vmcnt(0)
	ds_write_b32 v116, v118
	s_waitcnt lgkmcnt(0)
	; wave barrier
	s_waitcnt lgkmcnt(0)
	s_and_saveexec_b64 s[8:9], vcc
	s_cbranch_execz .LBB56_1110
; %bb.1101:
	s_and_b64 vcc, exec, s[4:5]
	s_cbranch_vccnz .LBB56_1103
; %bb.1102:
	buffer_load_dword v117, v117, s[0:3], 0 offen
	ds_read_b32 v118, v116
	s_waitcnt vmcnt(0) lgkmcnt(0)
	v_mul_f32_e32 v117, v117, v118
	s_cbranch_execz .LBB56_1104
	s_branch .LBB56_1105
.LBB56_1103:
                                        ; implicit-def: $vgpr117
.LBB56_1104:
	ds_read_b32 v117, v116
.LBB56_1105:
	s_and_saveexec_b64 s[4:5], s[6:7]
	s_cbranch_execz .LBB56_1109
; %bb.1106:
	v_mov_b32_e32 v118, 0
	v_add_u32_e32 v116, 0xf4, v1
	v_add3_u32 v1, v1, v118, 4
	s_mov_b64 s[6:7], 0
.LBB56_1107:                            ; =>This Inner Loop Header: Depth=1
	buffer_load_dword v118, v1, s[0:3], 0 offen
	ds_read_b32 v119, v116
	v_add_u32_e32 v0, 1, v0
	v_cmp_lt_u32_e32 vcc, 54, v0
	v_add_u32_e32 v116, 4, v116
	v_add_u32_e32 v1, 4, v1
	s_or_b64 s[6:7], vcc, s[6:7]
	s_waitcnt vmcnt(0) lgkmcnt(0)
	v_fmac_f32_e32 v117, v118, v119
	s_andn2_b64 exec, exec, s[6:7]
	s_cbranch_execnz .LBB56_1107
; %bb.1108:
	s_or_b64 exec, exec, s[6:7]
.LBB56_1109:
	s_or_b64 exec, exec, s[4:5]
	v_mov_b32_e32 v0, 0
	ds_read_b32 v0, v0 offset:224
	s_waitcnt lgkmcnt(0)
	v_mul_f32_e32 v0, v117, v0
	buffer_store_dword v0, off, s[0:3], 0 offset:224
.LBB56_1110:
	s_or_b64 exec, exec, s[8:9]
.LBB56_1111:
	buffer_load_dword v0, off, s[0:3], 0
	buffer_load_dword v1, off, s[0:3], 0 offset:4
	buffer_load_dword v116, off, s[0:3], 0 offset:8
	;; [unrolled: 1-line block ×47, first 2 shown]
	s_waitcnt vmcnt(47)
	global_store_dword v[110:111], v0, off
	s_waitcnt vmcnt(47)
	global_store_dword v[114:115], v1, off
	buffer_load_dword v0, off, s[0:3], 0 offset:192
	s_nop 0
	buffer_load_dword v1, off, s[0:3], 0 offset:196
	buffer_load_dword v110, off, s[0:3], 0 offset:200
	;; [unrolled: 1-line block ×7, first 2 shown]
	s_waitcnt vmcnt(55)
	global_store_dword v[2:3], v116, off
	buffer_load_dword v2, off, s[0:3], 0 offset:224
	s_waitcnt vmcnt(56)
	global_store_dword v[4:5], v117, off
	s_waitcnt vmcnt(56)
	global_store_dword v[6:7], v118, off
	;; [unrolled: 2-line block ×54, first 2 shown]
.LBB56_1112:
	s_endpgm
	.section	.rodata,"a",@progbits
	.p2align	6, 0x0
	.amdhsa_kernel _ZN9rocsolver6v33100L18trti2_kernel_smallILi57EfPfEEv13rocblas_fill_17rocblas_diagonal_T1_iil
		.amdhsa_group_segment_fixed_size 468
		.amdhsa_private_segment_fixed_size 240
		.amdhsa_kernarg_size 32
		.amdhsa_user_sgpr_count 8
		.amdhsa_user_sgpr_private_segment_buffer 1
		.amdhsa_user_sgpr_dispatch_ptr 0
		.amdhsa_user_sgpr_queue_ptr 0
		.amdhsa_user_sgpr_kernarg_segment_ptr 1
		.amdhsa_user_sgpr_dispatch_id 0
		.amdhsa_user_sgpr_flat_scratch_init 1
		.amdhsa_user_sgpr_kernarg_preload_length 0
		.amdhsa_user_sgpr_kernarg_preload_offset 0
		.amdhsa_user_sgpr_private_segment_size 0
		.amdhsa_uses_dynamic_stack 0
		.amdhsa_system_sgpr_private_segment_wavefront_offset 1
		.amdhsa_system_sgpr_workgroup_id_x 1
		.amdhsa_system_sgpr_workgroup_id_y 0
		.amdhsa_system_sgpr_workgroup_id_z 0
		.amdhsa_system_sgpr_workgroup_info 0
		.amdhsa_system_vgpr_workitem_id 0
		.amdhsa_next_free_vgpr 164
		.amdhsa_next_free_sgpr 20
		.amdhsa_accum_offset 164
		.amdhsa_reserve_vcc 1
		.amdhsa_reserve_flat_scratch 0
		.amdhsa_float_round_mode_32 0
		.amdhsa_float_round_mode_16_64 0
		.amdhsa_float_denorm_mode_32 3
		.amdhsa_float_denorm_mode_16_64 3
		.amdhsa_dx10_clamp 1
		.amdhsa_ieee_mode 1
		.amdhsa_fp16_overflow 0
		.amdhsa_tg_split 0
		.amdhsa_exception_fp_ieee_invalid_op 0
		.amdhsa_exception_fp_denorm_src 0
		.amdhsa_exception_fp_ieee_div_zero 0
		.amdhsa_exception_fp_ieee_overflow 0
		.amdhsa_exception_fp_ieee_underflow 0
		.amdhsa_exception_fp_ieee_inexact 0
		.amdhsa_exception_int_div_zero 0
	.end_amdhsa_kernel
	.section	.text._ZN9rocsolver6v33100L18trti2_kernel_smallILi57EfPfEEv13rocblas_fill_17rocblas_diagonal_T1_iil,"axG",@progbits,_ZN9rocsolver6v33100L18trti2_kernel_smallILi57EfPfEEv13rocblas_fill_17rocblas_diagonal_T1_iil,comdat
.Lfunc_end56:
	.size	_ZN9rocsolver6v33100L18trti2_kernel_smallILi57EfPfEEv13rocblas_fill_17rocblas_diagonal_T1_iil, .Lfunc_end56-_ZN9rocsolver6v33100L18trti2_kernel_smallILi57EfPfEEv13rocblas_fill_17rocblas_diagonal_T1_iil
                                        ; -- End function
	.section	.AMDGPU.csdata,"",@progbits
; Kernel info:
; codeLenInByte = 27972
; NumSgprs: 24
; NumVgprs: 164
; NumAgprs: 0
; TotalNumVgprs: 164
; ScratchSize: 240
; MemoryBound: 0
; FloatMode: 240
; IeeeMode: 1
; LDSByteSize: 468 bytes/workgroup (compile time only)
; SGPRBlocks: 2
; VGPRBlocks: 20
; NumSGPRsForWavesPerEU: 24
; NumVGPRsForWavesPerEU: 164
; AccumOffset: 164
; Occupancy: 3
; WaveLimiterHint : 0
; COMPUTE_PGM_RSRC2:SCRATCH_EN: 1
; COMPUTE_PGM_RSRC2:USER_SGPR: 8
; COMPUTE_PGM_RSRC2:TRAP_HANDLER: 0
; COMPUTE_PGM_RSRC2:TGID_X_EN: 1
; COMPUTE_PGM_RSRC2:TGID_Y_EN: 0
; COMPUTE_PGM_RSRC2:TGID_Z_EN: 0
; COMPUTE_PGM_RSRC2:TIDIG_COMP_CNT: 0
; COMPUTE_PGM_RSRC3_GFX90A:ACCUM_OFFSET: 40
; COMPUTE_PGM_RSRC3_GFX90A:TG_SPLIT: 0
	.section	.text._ZN9rocsolver6v33100L18trti2_kernel_smallILi58EfPfEEv13rocblas_fill_17rocblas_diagonal_T1_iil,"axG",@progbits,_ZN9rocsolver6v33100L18trti2_kernel_smallILi58EfPfEEv13rocblas_fill_17rocblas_diagonal_T1_iil,comdat
	.globl	_ZN9rocsolver6v33100L18trti2_kernel_smallILi58EfPfEEv13rocblas_fill_17rocblas_diagonal_T1_iil ; -- Begin function _ZN9rocsolver6v33100L18trti2_kernel_smallILi58EfPfEEv13rocblas_fill_17rocblas_diagonal_T1_iil
	.p2align	8
	.type	_ZN9rocsolver6v33100L18trti2_kernel_smallILi58EfPfEEv13rocblas_fill_17rocblas_diagonal_T1_iil,@function
_ZN9rocsolver6v33100L18trti2_kernel_smallILi58EfPfEEv13rocblas_fill_17rocblas_diagonal_T1_iil: ; @_ZN9rocsolver6v33100L18trti2_kernel_smallILi58EfPfEEv13rocblas_fill_17rocblas_diagonal_T1_iil
; %bb.0:
	s_add_u32 s0, s0, s9
	s_addc_u32 s1, s1, 0
	v_cmp_gt_u32_e32 vcc, 58, v0
	s_and_saveexec_b64 s[6:7], vcc
	s_cbranch_execz .LBB57_1132
; %bb.1:
	s_load_dwordx8 s[12:19], s[4:5], 0x0
	s_ashr_i32 s6, s8, 31
	s_waitcnt lgkmcnt(0)
	s_mul_i32 s7, s8, s19
	s_mul_hi_u32 s9, s8, s18
	s_add_i32 s7, s9, s7
	s_mul_i32 s6, s6, s18
	s_add_i32 s7, s7, s6
	s_mul_i32 s6, s8, s18
	s_ashr_i32 s5, s16, 31
	s_lshl_b64 s[6:7], s[6:7], 2
	s_mov_b32 s4, s16
	s_add_u32 s6, s14, s6
	s_addc_u32 s7, s15, s7
	s_lshl_b64 s[4:5], s[4:5], 2
	s_add_u32 s4, s6, s4
	s_addc_u32 s5, s7, s5
	s_add_i32 s6, s17, s17
	v_add_u32_e32 v2, s6, v0
	v_ashrrev_i32_e32 v3, 31, v2
	v_lshlrev_b64 v[4:5], 2, v[2:3]
	v_add_u32_e32 v6, s17, v2
	v_mov_b32_e32 v1, s5
	v_add_co_u32_e32 v4, vcc, s4, v4
	v_ashrrev_i32_e32 v7, 31, v6
	v_addc_co_u32_e32 v5, vcc, v1, v5, vcc
	v_lshlrev_b64 v[2:3], 2, v[6:7]
	v_add_u32_e32 v8, s17, v6
	v_add_co_u32_e32 v2, vcc, s4, v2
	v_ashrrev_i32_e32 v9, 31, v8
	v_addc_co_u32_e32 v3, vcc, v1, v3, vcc
	v_lshlrev_b64 v[6:7], 2, v[8:9]
	v_add_u32_e32 v10, s17, v8
	;; [unrolled: 5-line block ×45, first 2 shown]
	v_add_co_u32_e32 v92, vcc, s4, v92
	v_ashrrev_i32_e32 v97, 31, v96
	v_addc_co_u32_e32 v93, vcc, v1, v93, vcc
	v_lshlrev_b64 v[94:95], 2, v[96:97]
	v_add_co_u32_e32 v94, vcc, s4, v94
	v_add_u32_e32 v98, s17, v96
	v_addc_co_u32_e32 v95, vcc, v1, v95, vcc
	v_ashrrev_i32_e32 v99, 31, v98
	v_lshlrev_b32_e32 v1, 2, v0
	v_lshlrev_b64 v[96:97], 2, v[98:99]
	v_mov_b32_e32 v99, s5
	v_add_co_u32_e32 v108, vcc, s4, v1
	s_ashr_i32 s7, s17, 31
	s_mov_b32 s6, s17
	v_addc_co_u32_e32 v109, vcc, 0, v99, vcc
	s_lshl_b64 s[6:7], s[6:7], 2
	v_mov_b32_e32 v99, s7
	v_add_co_u32_e32 v112, vcc, s6, v108
	v_addc_co_u32_e32 v113, vcc, v109, v99, vcc
	global_load_dword v118, v1, s[4:5]
	global_load_dword v119, v[112:113], off
	global_load_dword v120, v[6:7], off
	;; [unrolled: 1-line block ×16, first 2 shown]
	v_mov_b32_e32 v100, s5
	v_add_co_u32_e32 v96, vcc, s4, v96
	v_addc_co_u32_e32 v97, vcc, v100, v97, vcc
	v_add_u32_e32 v100, s17, v98
	v_ashrrev_i32_e32 v101, 31, v100
	v_lshlrev_b64 v[98:99], 2, v[100:101]
	v_mov_b32_e32 v102, s5
	v_add_co_u32_e32 v98, vcc, s4, v98
	v_addc_co_u32_e32 v99, vcc, v102, v99, vcc
	v_add_u32_e32 v102, s17, v100
	v_ashrrev_i32_e32 v103, 31, v102
	v_lshlrev_b64 v[100:101], 2, v[102:103]
	;; [unrolled: 6-line block ×7, first 2 shown]
	v_add_u32_e32 v116, s17, v116
	v_mov_b32_e32 v135, s5
	v_add_co_u32_e32 v114, vcc, s4, v114
	v_ashrrev_i32_e32 v117, 31, v116
	v_addc_co_u32_e32 v115, vcc, v135, v115, vcc
	v_lshlrev_b64 v[116:117], 2, v[116:117]
	v_add_co_u32_e32 v116, vcc, s4, v116
	v_addc_co_u32_e32 v117, vcc, v135, v117, vcc
	global_load_dword v135, v[116:117], off
	s_waitcnt vmcnt(17)
	buffer_store_dword v118, off, s[0:3], 0
	s_waitcnt vmcnt(17)
	buffer_store_dword v119, off, s[0:3], 0 offset:4
	s_waitcnt vmcnt(12)
	buffer_store_dword v125, off, s[0:3], 0 offset:12
	;; [unrolled: 2-line block ×3, first 2 shown]
	buffer_store_dword v120, off, s[0:3], 0 offset:16
	buffer_store_dword v121, off, s[0:3], 0 offset:20
	;; [unrolled: 1-line block ×5, first 2 shown]
	global_load_dword v118, v[32:33], off
	global_load_dword v119, v[34:35], off
	;; [unrolled: 1-line block ×32, first 2 shown]
	s_waitcnt vmcnt(49)
	buffer_store_dword v127, off, s[0:3], 0 offset:36
	s_waitcnt vmcnt(49)
	buffer_store_dword v128, off, s[0:3], 0 offset:44
	global_load_dword v127, v[96:97], off
	s_nop 0
	global_load_dword v128, v[114:115], off
	global_load_dword v159, v[106:107], off
	;; [unrolled: 1-line block ×6, first 2 shown]
	s_cmpk_lg_i32 s13, 0x84
	s_waitcnt vmcnt(51)
	buffer_store_dword v134, off, s[0:3], 0 offset:40
	global_load_dword v134, v[110:111], off
	s_nop 0
	buffer_store_dword v129, off, s[0:3], 0 offset:48
	buffer_store_dword v130, off, s[0:3], 0 offset:52
	;; [unrolled: 1-line block ×5, first 2 shown]
	s_waitcnt vmcnt(47)
	buffer_store_dword v118, off, s[0:3], 0 offset:68
	s_waitcnt vmcnt(47)
	buffer_store_dword v119, off, s[0:3], 0 offset:72
	;; [unrolled: 2-line block ×5, first 2 shown]
	buffer_store_dword v122, off, s[0:3], 0 offset:92
	buffer_store_dword v123, off, s[0:3], 0 offset:88
	s_waitcnt vmcnt(46)
	buffer_store_dword v126, off, s[0:3], 0 offset:100
	buffer_store_dword v121, off, s[0:3], 0 offset:96
	s_waitcnt vmcnt(42)
	buffer_store_dword v141, off, s[0:3], 0 offset:108
	s_waitcnt vmcnt(42)
	buffer_store_dword v142, off, s[0:3], 0 offset:104
	buffer_store_dword v139, off, s[0:3], 0 offset:116
	buffer_store_dword v140, off, s[0:3], 0 offset:112
	buffer_store_dword v137, off, s[0:3], 0 offset:124
	buffer_store_dword v138, off, s[0:3], 0 offset:120
	s_waitcnt vmcnt(46)
	buffer_store_dword v143, off, s[0:3], 0 offset:132
	buffer_store_dword v136, off, s[0:3], 0 offset:128
	s_waitcnt vmcnt(42)
	buffer_store_dword v149, off, s[0:3], 0 offset:140
	s_waitcnt vmcnt(42)
	buffer_store_dword v150, off, s[0:3], 0 offset:136
	buffer_store_dword v147, off, s[0:3], 0 offset:148
	buffer_store_dword v148, off, s[0:3], 0 offset:144
	;; [unrolled: 11-line block ×3, first 2 shown]
	buffer_store_dword v153, off, s[0:3], 0 offset:188
	buffer_store_dword v154, off, s[0:3], 0 offset:184
	s_waitcnt vmcnt(44)
	buffer_store_dword v127, off, s[0:3], 0 offset:196
	buffer_store_dword v152, off, s[0:3], 0 offset:192
	s_waitcnt vmcnt(42)
	buffer_store_dword v161, off, s[0:3], 0 offset:204
	s_waitcnt vmcnt(42)
	;; [unrolled: 2-line block ×3, first 2 shown]
	buffer_store_dword v163, off, s[0:3], 0 offset:212
	buffer_store_dword v160, off, s[0:3], 0 offset:208
	s_waitcnt vmcnt(42)
	buffer_store_dword v134, off, s[0:3], 0 offset:220
	buffer_store_dword v159, off, s[0:3], 0 offset:216
	;; [unrolled: 1-line block ×4, first 2 shown]
	s_cselect_b64 s[8:9], -1, 0
	s_cmpk_eq_i32 s13, 0x84
	v_mov_b32_e32 v146, 0
	v_mov_b32_e32 v118, -1.0
	s_cbranch_scc1 .LBB57_3
; %bb.2:
	v_lshl_add_u32 v118, v0, 2, v146
	buffer_load_dword v119, v118, s[0:3], 0 offen
	s_waitcnt vmcnt(0)
	v_div_scale_f32 v120, s[4:5], v119, v119, 1.0
	v_rcp_f32_e32 v121, v120
	v_div_scale_f32 v122, vcc, 1.0, v119, 1.0
	v_fma_f32 v123, -v120, v121, 1.0
	v_fmac_f32_e32 v121, v123, v121
	v_mul_f32_e32 v123, v122, v121
	v_fma_f32 v124, -v120, v123, v122
	v_fmac_f32_e32 v123, v124, v121
	v_fma_f32 v120, -v120, v123, v122
	v_div_fmas_f32 v120, v120, v121, v123
	v_div_fixup_f32 v119, v120, v119, 1.0
	buffer_store_dword v119, v118, s[0:3], 0 offen
	v_xor_b32_e32 v118, 0x80000000, v119
.LBB57_3:
	ds_write_b32 v1, v118
	s_cmpk_eq_i32 s12, 0x79
	v_add_u32_e32 v118, 0xf0, v1
	v_add_u32_e32 v119, 0, v1
	s_mov_b64 s[4:5], -1
	s_cbranch_scc1 .LBB57_567
; %bb.4:
	buffer_load_dword v120, off, s[0:3], 0 offset:224
	v_cmp_eq_u32_e64 s[4:5], 57, v0
	s_waitcnt vmcnt(0)
	ds_write_b32 v118, v120
	s_waitcnt lgkmcnt(0)
	; wave barrier
	s_waitcnt lgkmcnt(0)
	s_and_saveexec_b64 s[6:7], s[4:5]
	s_cbranch_execz .LBB57_10
; %bb.5:
	s_and_b64 vcc, exec, s[8:9]
	s_cbranch_vccz .LBB57_7
; %bb.6:
	buffer_load_dword v120, v119, s[0:3], 0 offen
	ds_read_b32 v121, v118
	s_waitcnt vmcnt(0) lgkmcnt(0)
	v_mul_f32_e32 v120, v120, v121
	s_cbranch_execz .LBB57_8
	s_branch .LBB57_9
.LBB57_7:
                                        ; implicit-def: $vgpr120
.LBB57_8:
	ds_read_b32 v120, v118
.LBB57_9:
	v_mov_b32_e32 v121, 0
	ds_read_b32 v121, v121 offset:224
	s_waitcnt lgkmcnt(0)
	v_mul_f32_e32 v120, v120, v121
	buffer_store_dword v120, off, s[0:3], 0 offset:224
.LBB57_10:
	s_or_b64 exec, exec, s[6:7]
	buffer_load_dword v147, off, s[0:3], 0 offset:220
	v_or_b32_e32 v120, 8, v146
	v_add_u32_e32 v121, 16, v146
	v_add_u32_e32 v122, 24, v146
	;; [unrolled: 1-line block ×26, first 2 shown]
	v_cmp_lt_u32_e64 s[6:7], 55, v0
	s_waitcnt vmcnt(0)
	ds_write_b32 v118, v147
	s_waitcnt lgkmcnt(0)
	; wave barrier
	s_waitcnt lgkmcnt(0)
	s_and_saveexec_b64 s[10:11], s[6:7]
	s_cbranch_execz .LBB57_16
; %bb.11:
	s_andn2_b64 vcc, exec, s[8:9]
	s_cbranch_vccnz .LBB57_13
; %bb.12:
	buffer_load_dword v147, v119, s[0:3], 0 offen
	ds_read_b32 v148, v118
	s_waitcnt vmcnt(0) lgkmcnt(0)
	v_mul_f32_e32 v147, v147, v148
	s_cbranch_execz .LBB57_14
	s_branch .LBB57_15
.LBB57_13:
                                        ; implicit-def: $vgpr147
.LBB57_14:
	ds_read_b32 v147, v118
.LBB57_15:
	buffer_load_dword v150, off, s[0:3], 0 offset:224
	v_mov_b32_e32 v148, 0
	ds_read2_b32 v[148:149], v148 offset0:55 offset1:116
	s_waitcnt vmcnt(0) lgkmcnt(0)
	v_fma_f32 v149, v150, v149, v147
	v_cndmask_b32_e64 v147, v147, v149, s[4:5]
	v_mul_f32_e32 v147, v147, v148
	buffer_store_dword v147, off, s[0:3], 0 offset:220
.LBB57_16:
	s_or_b64 exec, exec, s[10:11]
	buffer_load_dword v147, off, s[0:3], 0 offset:216
	v_cmp_lt_u32_e64 s[4:5], 54, v0
	s_waitcnt vmcnt(0)
	ds_write_b32 v118, v147
	s_waitcnt lgkmcnt(0)
	; wave barrier
	s_waitcnt lgkmcnt(0)
	s_and_saveexec_b64 s[10:11], s[4:5]
	s_cbranch_execz .LBB57_26
; %bb.17:
	s_andn2_b64 vcc, exec, s[8:9]
	s_cbranch_vccnz .LBB57_19
; %bb.18:
	buffer_load_dword v147, v119, s[0:3], 0 offen
	ds_read_b32 v148, v118
	s_waitcnt vmcnt(0) lgkmcnt(0)
	v_mul_f32_e32 v147, v147, v148
	s_cbranch_execz .LBB57_20
	s_branch .LBB57_21
.LBB57_19:
                                        ; implicit-def: $vgpr147
.LBB57_20:
	ds_read_b32 v147, v118
.LBB57_21:
	s_and_saveexec_b64 s[12:13], s[6:7]
	s_cbranch_execz .LBB57_25
; %bb.22:
	v_mov_b32_e32 v148, 0
	v_add_u32_e32 v148, 0xdc, v148
	v_subrev_u32_e32 v149, 55, v0
	s_movk_i32 s14, 0x1cc
	s_mov_b64 s[6:7], 0
.LBB57_23:                              ; =>This Inner Loop Header: Depth=1
	buffer_load_dword v150, v148, s[0:3], 0 offen
	v_mov_b32_e32 v151, s14
	ds_read_b32 v151, v151
	v_add_u32_e32 v149, -1, v149
	s_add_i32 s14, s14, 4
	v_cmp_eq_u32_e32 vcc, 0, v149
	v_add_u32_e32 v148, 4, v148
	s_or_b64 s[6:7], vcc, s[6:7]
	s_waitcnt vmcnt(0) lgkmcnt(0)
	v_fmac_f32_e32 v147, v150, v151
	s_andn2_b64 exec, exec, s[6:7]
	s_cbranch_execnz .LBB57_23
; %bb.24:
	s_or_b64 exec, exec, s[6:7]
.LBB57_25:
	s_or_b64 exec, exec, s[12:13]
	v_mov_b32_e32 v148, 0
	ds_read_b32 v148, v148 offset:216
	s_waitcnt lgkmcnt(0)
	v_mul_f32_e32 v147, v147, v148
	buffer_store_dword v147, off, s[0:3], 0 offset:216
.LBB57_26:
	s_or_b64 exec, exec, s[10:11]
	buffer_load_dword v147, off, s[0:3], 0 offset:212
	v_cmp_lt_u32_e64 s[6:7], 53, v0
	s_waitcnt vmcnt(0)
	ds_write_b32 v118, v147
	s_waitcnt lgkmcnt(0)
	; wave barrier
	s_waitcnt lgkmcnt(0)
	s_and_saveexec_b64 s[10:11], s[6:7]
	s_cbranch_execz .LBB57_36
; %bb.27:
	s_andn2_b64 vcc, exec, s[8:9]
	s_cbranch_vccnz .LBB57_29
; %bb.28:
	buffer_load_dword v147, v119, s[0:3], 0 offen
	ds_read_b32 v148, v118
	s_waitcnt vmcnt(0) lgkmcnt(0)
	v_mul_f32_e32 v147, v147, v148
	s_cbranch_execz .LBB57_30
	s_branch .LBB57_31
.LBB57_29:
                                        ; implicit-def: $vgpr147
.LBB57_30:
	ds_read_b32 v147, v118
.LBB57_31:
	s_and_saveexec_b64 s[12:13], s[4:5]
	s_cbranch_execz .LBB57_35
; %bb.32:
	v_subrev_u32_e32 v148, 54, v0
	s_movk_i32 s14, 0x1c8
	s_mov_b64 s[4:5], 0
.LBB57_33:                              ; =>This Inner Loop Header: Depth=1
	buffer_load_dword v149, v146, s[0:3], 0 offen
	v_mov_b32_e32 v150, s14
	ds_read_b32 v150, v150
	v_add_u32_e32 v148, -1, v148
	s_add_i32 s14, s14, 4
	v_cmp_eq_u32_e32 vcc, 0, v148
	v_add_u32_e32 v146, 4, v146
	s_or_b64 s[4:5], vcc, s[4:5]
	s_waitcnt vmcnt(0) lgkmcnt(0)
	v_fmac_f32_e32 v147, v149, v150
	s_andn2_b64 exec, exec, s[4:5]
	s_cbranch_execnz .LBB57_33
; %bb.34:
	s_or_b64 exec, exec, s[4:5]
.LBB57_35:
	s_or_b64 exec, exec, s[12:13]
	v_mov_b32_e32 v146, 0
	ds_read_b32 v146, v146 offset:212
	s_waitcnt lgkmcnt(0)
	v_mul_f32_e32 v146, v147, v146
	buffer_store_dword v146, off, s[0:3], 0 offset:212
.LBB57_36:
	s_or_b64 exec, exec, s[10:11]
	buffer_load_dword v146, off, s[0:3], 0 offset:208
	v_cmp_lt_u32_e64 s[4:5], 52, v0
	s_waitcnt vmcnt(0)
	ds_write_b32 v118, v146
	s_waitcnt lgkmcnt(0)
	; wave barrier
	s_waitcnt lgkmcnt(0)
	s_and_saveexec_b64 s[10:11], s[4:5]
	s_cbranch_execz .LBB57_46
; %bb.37:
	s_andn2_b64 vcc, exec, s[8:9]
	s_cbranch_vccnz .LBB57_39
; %bb.38:
	buffer_load_dword v146, v119, s[0:3], 0 offen
	ds_read_b32 v147, v118
	s_waitcnt vmcnt(0) lgkmcnt(0)
	v_mul_f32_e32 v146, v146, v147
	s_cbranch_execz .LBB57_40
	s_branch .LBB57_41
.LBB57_39:
                                        ; implicit-def: $vgpr146
.LBB57_40:
	ds_read_b32 v146, v118
.LBB57_41:
	s_and_saveexec_b64 s[12:13], s[6:7]
	s_cbranch_execz .LBB57_45
; %bb.42:
	v_mov_b32_e32 v147, 0
	v_add_u32_e32 v147, 0xd4, v147
	v_subrev_u32_e32 v148, 53, v0
	s_movk_i32 s14, 0x1c4
	s_mov_b64 s[6:7], 0
.LBB57_43:                              ; =>This Inner Loop Header: Depth=1
	buffer_load_dword v149, v147, s[0:3], 0 offen
	v_mov_b32_e32 v150, s14
	ds_read_b32 v150, v150
	v_add_u32_e32 v148, -1, v148
	s_add_i32 s14, s14, 4
	v_cmp_eq_u32_e32 vcc, 0, v148
	v_add_u32_e32 v147, 4, v147
	s_or_b64 s[6:7], vcc, s[6:7]
	s_waitcnt vmcnt(0) lgkmcnt(0)
	v_fmac_f32_e32 v146, v149, v150
	s_andn2_b64 exec, exec, s[6:7]
	s_cbranch_execnz .LBB57_43
; %bb.44:
	s_or_b64 exec, exec, s[6:7]
.LBB57_45:
	s_or_b64 exec, exec, s[12:13]
	v_mov_b32_e32 v147, 0
	ds_read_b32 v147, v147 offset:208
	s_waitcnt lgkmcnt(0)
	v_mul_f32_e32 v146, v146, v147
	buffer_store_dword v146, off, s[0:3], 0 offset:208
.LBB57_46:
	s_or_b64 exec, exec, s[10:11]
	buffer_load_dword v146, off, s[0:3], 0 offset:204
	v_cmp_lt_u32_e64 s[6:7], 51, v0
	s_waitcnt vmcnt(0)
	ds_write_b32 v118, v146
	s_waitcnt lgkmcnt(0)
	; wave barrier
	s_waitcnt lgkmcnt(0)
	s_and_saveexec_b64 s[10:11], s[6:7]
	s_cbranch_execz .LBB57_56
; %bb.47:
	s_andn2_b64 vcc, exec, s[8:9]
	s_cbranch_vccnz .LBB57_49
; %bb.48:
	buffer_load_dword v146, v119, s[0:3], 0 offen
	ds_read_b32 v147, v118
	s_waitcnt vmcnt(0) lgkmcnt(0)
	v_mul_f32_e32 v146, v146, v147
	s_cbranch_execz .LBB57_50
	s_branch .LBB57_51
.LBB57_49:
                                        ; implicit-def: $vgpr146
.LBB57_50:
	ds_read_b32 v146, v118
.LBB57_51:
	s_and_saveexec_b64 s[12:13], s[4:5]
	s_cbranch_execz .LBB57_55
; %bb.52:
	v_subrev_u32_e32 v147, 52, v0
	s_movk_i32 s14, 0x1c0
	s_mov_b64 s[4:5], 0
.LBB57_53:                              ; =>This Inner Loop Header: Depth=1
	buffer_load_dword v148, v145, s[0:3], 0 offen
	v_mov_b32_e32 v149, s14
	ds_read_b32 v149, v149
	v_add_u32_e32 v147, -1, v147
	s_add_i32 s14, s14, 4
	v_cmp_eq_u32_e32 vcc, 0, v147
	v_add_u32_e32 v145, 4, v145
	s_or_b64 s[4:5], vcc, s[4:5]
	s_waitcnt vmcnt(0) lgkmcnt(0)
	v_fmac_f32_e32 v146, v148, v149
	s_andn2_b64 exec, exec, s[4:5]
	s_cbranch_execnz .LBB57_53
; %bb.54:
	s_or_b64 exec, exec, s[4:5]
.LBB57_55:
	s_or_b64 exec, exec, s[12:13]
	v_mov_b32_e32 v145, 0
	ds_read_b32 v145, v145 offset:204
	s_waitcnt lgkmcnt(0)
	v_mul_f32_e32 v145, v146, v145
	buffer_store_dword v145, off, s[0:3], 0 offset:204
.LBB57_56:
	s_or_b64 exec, exec, s[10:11]
	buffer_load_dword v145, off, s[0:3], 0 offset:200
	v_cmp_lt_u32_e64 s[4:5], 50, v0
	s_waitcnt vmcnt(0)
	ds_write_b32 v118, v145
	s_waitcnt lgkmcnt(0)
	; wave barrier
	s_waitcnt lgkmcnt(0)
	s_and_saveexec_b64 s[10:11], s[4:5]
	s_cbranch_execz .LBB57_66
; %bb.57:
	s_andn2_b64 vcc, exec, s[8:9]
	s_cbranch_vccnz .LBB57_59
; %bb.58:
	buffer_load_dword v145, v119, s[0:3], 0 offen
	ds_read_b32 v146, v118
	s_waitcnt vmcnt(0) lgkmcnt(0)
	v_mul_f32_e32 v145, v145, v146
	s_cbranch_execz .LBB57_60
	s_branch .LBB57_61
.LBB57_59:
                                        ; implicit-def: $vgpr145
.LBB57_60:
	ds_read_b32 v145, v118
.LBB57_61:
	s_and_saveexec_b64 s[12:13], s[6:7]
	s_cbranch_execz .LBB57_65
; %bb.62:
	v_mov_b32_e32 v146, 0
	v_add_u32_e32 v146, 0xcc, v146
	v_subrev_u32_e32 v147, 51, v0
	s_movk_i32 s14, 0x1bc
	s_mov_b64 s[6:7], 0
.LBB57_63:                              ; =>This Inner Loop Header: Depth=1
	buffer_load_dword v148, v146, s[0:3], 0 offen
	v_mov_b32_e32 v149, s14
	ds_read_b32 v149, v149
	v_add_u32_e32 v147, -1, v147
	s_add_i32 s14, s14, 4
	v_cmp_eq_u32_e32 vcc, 0, v147
	v_add_u32_e32 v146, 4, v146
	s_or_b64 s[6:7], vcc, s[6:7]
	s_waitcnt vmcnt(0) lgkmcnt(0)
	v_fmac_f32_e32 v145, v148, v149
	s_andn2_b64 exec, exec, s[6:7]
	s_cbranch_execnz .LBB57_63
; %bb.64:
	s_or_b64 exec, exec, s[6:7]
.LBB57_65:
	s_or_b64 exec, exec, s[12:13]
	v_mov_b32_e32 v146, 0
	ds_read_b32 v146, v146 offset:200
	s_waitcnt lgkmcnt(0)
	v_mul_f32_e32 v145, v145, v146
	buffer_store_dword v145, off, s[0:3], 0 offset:200
.LBB57_66:
	s_or_b64 exec, exec, s[10:11]
	buffer_load_dword v145, off, s[0:3], 0 offset:196
	v_cmp_lt_u32_e64 s[6:7], 49, v0
	s_waitcnt vmcnt(0)
	ds_write_b32 v118, v145
	s_waitcnt lgkmcnt(0)
	; wave barrier
	s_waitcnt lgkmcnt(0)
	s_and_saveexec_b64 s[10:11], s[6:7]
	s_cbranch_execz .LBB57_76
; %bb.67:
	s_andn2_b64 vcc, exec, s[8:9]
	s_cbranch_vccnz .LBB57_69
; %bb.68:
	buffer_load_dword v145, v119, s[0:3], 0 offen
	ds_read_b32 v146, v118
	s_waitcnt vmcnt(0) lgkmcnt(0)
	v_mul_f32_e32 v145, v145, v146
	s_cbranch_execz .LBB57_70
	s_branch .LBB57_71
.LBB57_69:
                                        ; implicit-def: $vgpr145
.LBB57_70:
	ds_read_b32 v145, v118
.LBB57_71:
	s_and_saveexec_b64 s[12:13], s[4:5]
	s_cbranch_execz .LBB57_75
; %bb.72:
	v_subrev_u32_e32 v146, 50, v0
	s_movk_i32 s14, 0x1b8
	s_mov_b64 s[4:5], 0
.LBB57_73:                              ; =>This Inner Loop Header: Depth=1
	buffer_load_dword v147, v144, s[0:3], 0 offen
	v_mov_b32_e32 v148, s14
	ds_read_b32 v148, v148
	v_add_u32_e32 v146, -1, v146
	s_add_i32 s14, s14, 4
	v_cmp_eq_u32_e32 vcc, 0, v146
	v_add_u32_e32 v144, 4, v144
	s_or_b64 s[4:5], vcc, s[4:5]
	s_waitcnt vmcnt(0) lgkmcnt(0)
	v_fmac_f32_e32 v145, v147, v148
	s_andn2_b64 exec, exec, s[4:5]
	s_cbranch_execnz .LBB57_73
; %bb.74:
	s_or_b64 exec, exec, s[4:5]
.LBB57_75:
	s_or_b64 exec, exec, s[12:13]
	v_mov_b32_e32 v144, 0
	ds_read_b32 v144, v144 offset:196
	s_waitcnt lgkmcnt(0)
	v_mul_f32_e32 v144, v145, v144
	buffer_store_dword v144, off, s[0:3], 0 offset:196
.LBB57_76:
	s_or_b64 exec, exec, s[10:11]
	buffer_load_dword v144, off, s[0:3], 0 offset:192
	v_cmp_lt_u32_e64 s[4:5], 48, v0
	s_waitcnt vmcnt(0)
	ds_write_b32 v118, v144
	s_waitcnt lgkmcnt(0)
	; wave barrier
	s_waitcnt lgkmcnt(0)
	s_and_saveexec_b64 s[10:11], s[4:5]
	s_cbranch_execz .LBB57_86
; %bb.77:
	s_andn2_b64 vcc, exec, s[8:9]
	s_cbranch_vccnz .LBB57_79
; %bb.78:
	buffer_load_dword v144, v119, s[0:3], 0 offen
	ds_read_b32 v145, v118
	s_waitcnt vmcnt(0) lgkmcnt(0)
	v_mul_f32_e32 v144, v144, v145
	s_cbranch_execz .LBB57_80
	s_branch .LBB57_81
.LBB57_79:
                                        ; implicit-def: $vgpr144
.LBB57_80:
	ds_read_b32 v144, v118
.LBB57_81:
	s_and_saveexec_b64 s[12:13], s[6:7]
	s_cbranch_execz .LBB57_85
; %bb.82:
	v_mov_b32_e32 v145, 0
	v_add_u32_e32 v145, 0xc4, v145
	v_subrev_u32_e32 v146, 49, v0
	s_movk_i32 s14, 0x1b4
	s_mov_b64 s[6:7], 0
.LBB57_83:                              ; =>This Inner Loop Header: Depth=1
	buffer_load_dword v147, v145, s[0:3], 0 offen
	v_mov_b32_e32 v148, s14
	ds_read_b32 v148, v148
	v_add_u32_e32 v146, -1, v146
	s_add_i32 s14, s14, 4
	v_cmp_eq_u32_e32 vcc, 0, v146
	v_add_u32_e32 v145, 4, v145
	s_or_b64 s[6:7], vcc, s[6:7]
	s_waitcnt vmcnt(0) lgkmcnt(0)
	v_fmac_f32_e32 v144, v147, v148
	s_andn2_b64 exec, exec, s[6:7]
	s_cbranch_execnz .LBB57_83
; %bb.84:
	s_or_b64 exec, exec, s[6:7]
.LBB57_85:
	s_or_b64 exec, exec, s[12:13]
	v_mov_b32_e32 v145, 0
	ds_read_b32 v145, v145 offset:192
	s_waitcnt lgkmcnt(0)
	v_mul_f32_e32 v144, v144, v145
	buffer_store_dword v144, off, s[0:3], 0 offset:192
.LBB57_86:
	s_or_b64 exec, exec, s[10:11]
	buffer_load_dword v144, off, s[0:3], 0 offset:188
	v_cmp_lt_u32_e64 s[6:7], 47, v0
	s_waitcnt vmcnt(0)
	ds_write_b32 v118, v144
	s_waitcnt lgkmcnt(0)
	; wave barrier
	s_waitcnt lgkmcnt(0)
	s_and_saveexec_b64 s[10:11], s[6:7]
	s_cbranch_execz .LBB57_96
; %bb.87:
	s_andn2_b64 vcc, exec, s[8:9]
	s_cbranch_vccnz .LBB57_89
; %bb.88:
	buffer_load_dword v144, v119, s[0:3], 0 offen
	ds_read_b32 v145, v118
	s_waitcnt vmcnt(0) lgkmcnt(0)
	v_mul_f32_e32 v144, v144, v145
	s_cbranch_execz .LBB57_90
	s_branch .LBB57_91
.LBB57_89:
                                        ; implicit-def: $vgpr144
.LBB57_90:
	ds_read_b32 v144, v118
.LBB57_91:
	s_and_saveexec_b64 s[12:13], s[4:5]
	s_cbranch_execz .LBB57_95
; %bb.92:
	v_subrev_u32_e32 v145, 48, v0
	s_movk_i32 s14, 0x1b0
	s_mov_b64 s[4:5], 0
.LBB57_93:                              ; =>This Inner Loop Header: Depth=1
	buffer_load_dword v146, v143, s[0:3], 0 offen
	v_mov_b32_e32 v147, s14
	ds_read_b32 v147, v147
	v_add_u32_e32 v145, -1, v145
	s_add_i32 s14, s14, 4
	v_cmp_eq_u32_e32 vcc, 0, v145
	v_add_u32_e32 v143, 4, v143
	s_or_b64 s[4:5], vcc, s[4:5]
	s_waitcnt vmcnt(0) lgkmcnt(0)
	v_fmac_f32_e32 v144, v146, v147
	s_andn2_b64 exec, exec, s[4:5]
	s_cbranch_execnz .LBB57_93
; %bb.94:
	s_or_b64 exec, exec, s[4:5]
.LBB57_95:
	s_or_b64 exec, exec, s[12:13]
	v_mov_b32_e32 v143, 0
	ds_read_b32 v143, v143 offset:188
	s_waitcnt lgkmcnt(0)
	v_mul_f32_e32 v143, v144, v143
	buffer_store_dword v143, off, s[0:3], 0 offset:188
.LBB57_96:
	s_or_b64 exec, exec, s[10:11]
	buffer_load_dword v143, off, s[0:3], 0 offset:184
	v_cmp_lt_u32_e64 s[4:5], 46, v0
	s_waitcnt vmcnt(0)
	ds_write_b32 v118, v143
	s_waitcnt lgkmcnt(0)
	; wave barrier
	s_waitcnt lgkmcnt(0)
	s_and_saveexec_b64 s[10:11], s[4:5]
	s_cbranch_execz .LBB57_106
; %bb.97:
	s_andn2_b64 vcc, exec, s[8:9]
	s_cbranch_vccnz .LBB57_99
; %bb.98:
	buffer_load_dword v143, v119, s[0:3], 0 offen
	ds_read_b32 v144, v118
	s_waitcnt vmcnt(0) lgkmcnt(0)
	v_mul_f32_e32 v143, v143, v144
	s_cbranch_execz .LBB57_100
	s_branch .LBB57_101
.LBB57_99:
                                        ; implicit-def: $vgpr143
.LBB57_100:
	ds_read_b32 v143, v118
.LBB57_101:
	s_and_saveexec_b64 s[12:13], s[6:7]
	s_cbranch_execz .LBB57_105
; %bb.102:
	v_mov_b32_e32 v144, 0
	v_add_u32_e32 v144, 0xbc, v144
	v_subrev_u32_e32 v145, 47, v0
	s_movk_i32 s14, 0x1ac
	s_mov_b64 s[6:7], 0
.LBB57_103:                             ; =>This Inner Loop Header: Depth=1
	buffer_load_dword v146, v144, s[0:3], 0 offen
	v_mov_b32_e32 v147, s14
	ds_read_b32 v147, v147
	v_add_u32_e32 v145, -1, v145
	s_add_i32 s14, s14, 4
	v_cmp_eq_u32_e32 vcc, 0, v145
	v_add_u32_e32 v144, 4, v144
	s_or_b64 s[6:7], vcc, s[6:7]
	s_waitcnt vmcnt(0) lgkmcnt(0)
	v_fmac_f32_e32 v143, v146, v147
	s_andn2_b64 exec, exec, s[6:7]
	s_cbranch_execnz .LBB57_103
; %bb.104:
	s_or_b64 exec, exec, s[6:7]
.LBB57_105:
	s_or_b64 exec, exec, s[12:13]
	v_mov_b32_e32 v144, 0
	ds_read_b32 v144, v144 offset:184
	s_waitcnt lgkmcnt(0)
	v_mul_f32_e32 v143, v143, v144
	buffer_store_dword v143, off, s[0:3], 0 offset:184
.LBB57_106:
	s_or_b64 exec, exec, s[10:11]
	buffer_load_dword v143, off, s[0:3], 0 offset:180
	v_cmp_lt_u32_e64 s[6:7], 45, v0
	s_waitcnt vmcnt(0)
	ds_write_b32 v118, v143
	s_waitcnt lgkmcnt(0)
	; wave barrier
	s_waitcnt lgkmcnt(0)
	s_and_saveexec_b64 s[10:11], s[6:7]
	s_cbranch_execz .LBB57_116
; %bb.107:
	s_andn2_b64 vcc, exec, s[8:9]
	s_cbranch_vccnz .LBB57_109
; %bb.108:
	buffer_load_dword v143, v119, s[0:3], 0 offen
	ds_read_b32 v144, v118
	s_waitcnt vmcnt(0) lgkmcnt(0)
	v_mul_f32_e32 v143, v143, v144
	s_cbranch_execz .LBB57_110
	s_branch .LBB57_111
.LBB57_109:
                                        ; implicit-def: $vgpr143
.LBB57_110:
	ds_read_b32 v143, v118
.LBB57_111:
	s_and_saveexec_b64 s[12:13], s[4:5]
	s_cbranch_execz .LBB57_115
; %bb.112:
	v_subrev_u32_e32 v144, 46, v0
	s_movk_i32 s14, 0x1a8
	s_mov_b64 s[4:5], 0
.LBB57_113:                             ; =>This Inner Loop Header: Depth=1
	buffer_load_dword v145, v142, s[0:3], 0 offen
	v_mov_b32_e32 v146, s14
	ds_read_b32 v146, v146
	v_add_u32_e32 v144, -1, v144
	s_add_i32 s14, s14, 4
	v_cmp_eq_u32_e32 vcc, 0, v144
	v_add_u32_e32 v142, 4, v142
	s_or_b64 s[4:5], vcc, s[4:5]
	s_waitcnt vmcnt(0) lgkmcnt(0)
	v_fmac_f32_e32 v143, v145, v146
	s_andn2_b64 exec, exec, s[4:5]
	s_cbranch_execnz .LBB57_113
; %bb.114:
	s_or_b64 exec, exec, s[4:5]
.LBB57_115:
	s_or_b64 exec, exec, s[12:13]
	v_mov_b32_e32 v142, 0
	ds_read_b32 v142, v142 offset:180
	s_waitcnt lgkmcnt(0)
	v_mul_f32_e32 v142, v143, v142
	buffer_store_dword v142, off, s[0:3], 0 offset:180
.LBB57_116:
	s_or_b64 exec, exec, s[10:11]
	buffer_load_dword v142, off, s[0:3], 0 offset:176
	v_cmp_lt_u32_e64 s[4:5], 44, v0
	s_waitcnt vmcnt(0)
	ds_write_b32 v118, v142
	s_waitcnt lgkmcnt(0)
	; wave barrier
	s_waitcnt lgkmcnt(0)
	s_and_saveexec_b64 s[10:11], s[4:5]
	s_cbranch_execz .LBB57_126
; %bb.117:
	s_andn2_b64 vcc, exec, s[8:9]
	s_cbranch_vccnz .LBB57_119
; %bb.118:
	buffer_load_dword v142, v119, s[0:3], 0 offen
	ds_read_b32 v143, v118
	s_waitcnt vmcnt(0) lgkmcnt(0)
	v_mul_f32_e32 v142, v142, v143
	s_cbranch_execz .LBB57_120
	s_branch .LBB57_121
.LBB57_119:
                                        ; implicit-def: $vgpr142
.LBB57_120:
	ds_read_b32 v142, v118
.LBB57_121:
	s_and_saveexec_b64 s[12:13], s[6:7]
	s_cbranch_execz .LBB57_125
; %bb.122:
	v_mov_b32_e32 v143, 0
	v_add_u32_e32 v143, 0xb4, v143
	v_subrev_u32_e32 v144, 45, v0
	s_movk_i32 s14, 0x1a4
	s_mov_b64 s[6:7], 0
.LBB57_123:                             ; =>This Inner Loop Header: Depth=1
	buffer_load_dword v145, v143, s[0:3], 0 offen
	v_mov_b32_e32 v146, s14
	ds_read_b32 v146, v146
	v_add_u32_e32 v144, -1, v144
	s_add_i32 s14, s14, 4
	v_cmp_eq_u32_e32 vcc, 0, v144
	v_add_u32_e32 v143, 4, v143
	s_or_b64 s[6:7], vcc, s[6:7]
	s_waitcnt vmcnt(0) lgkmcnt(0)
	v_fmac_f32_e32 v142, v145, v146
	s_andn2_b64 exec, exec, s[6:7]
	s_cbranch_execnz .LBB57_123
; %bb.124:
	s_or_b64 exec, exec, s[6:7]
.LBB57_125:
	s_or_b64 exec, exec, s[12:13]
	v_mov_b32_e32 v143, 0
	ds_read_b32 v143, v143 offset:176
	s_waitcnt lgkmcnt(0)
	v_mul_f32_e32 v142, v142, v143
	buffer_store_dword v142, off, s[0:3], 0 offset:176
.LBB57_126:
	s_or_b64 exec, exec, s[10:11]
	buffer_load_dword v142, off, s[0:3], 0 offset:172
	v_cmp_lt_u32_e64 s[6:7], 43, v0
	s_waitcnt vmcnt(0)
	ds_write_b32 v118, v142
	s_waitcnt lgkmcnt(0)
	; wave barrier
	s_waitcnt lgkmcnt(0)
	s_and_saveexec_b64 s[10:11], s[6:7]
	s_cbranch_execz .LBB57_136
; %bb.127:
	s_andn2_b64 vcc, exec, s[8:9]
	s_cbranch_vccnz .LBB57_129
; %bb.128:
	buffer_load_dword v142, v119, s[0:3], 0 offen
	ds_read_b32 v143, v118
	s_waitcnt vmcnt(0) lgkmcnt(0)
	v_mul_f32_e32 v142, v142, v143
	s_cbranch_execz .LBB57_130
	s_branch .LBB57_131
.LBB57_129:
                                        ; implicit-def: $vgpr142
.LBB57_130:
	ds_read_b32 v142, v118
.LBB57_131:
	s_and_saveexec_b64 s[12:13], s[4:5]
	s_cbranch_execz .LBB57_135
; %bb.132:
	v_subrev_u32_e32 v143, 44, v0
	s_movk_i32 s14, 0x1a0
	s_mov_b64 s[4:5], 0
.LBB57_133:                             ; =>This Inner Loop Header: Depth=1
	buffer_load_dword v144, v141, s[0:3], 0 offen
	v_mov_b32_e32 v145, s14
	ds_read_b32 v145, v145
	v_add_u32_e32 v143, -1, v143
	s_add_i32 s14, s14, 4
	v_cmp_eq_u32_e32 vcc, 0, v143
	v_add_u32_e32 v141, 4, v141
	s_or_b64 s[4:5], vcc, s[4:5]
	s_waitcnt vmcnt(0) lgkmcnt(0)
	v_fmac_f32_e32 v142, v144, v145
	s_andn2_b64 exec, exec, s[4:5]
	s_cbranch_execnz .LBB57_133
; %bb.134:
	s_or_b64 exec, exec, s[4:5]
.LBB57_135:
	s_or_b64 exec, exec, s[12:13]
	v_mov_b32_e32 v141, 0
	ds_read_b32 v141, v141 offset:172
	s_waitcnt lgkmcnt(0)
	v_mul_f32_e32 v141, v142, v141
	buffer_store_dword v141, off, s[0:3], 0 offset:172
.LBB57_136:
	s_or_b64 exec, exec, s[10:11]
	buffer_load_dword v141, off, s[0:3], 0 offset:168
	v_cmp_lt_u32_e64 s[4:5], 42, v0
	s_waitcnt vmcnt(0)
	ds_write_b32 v118, v141
	s_waitcnt lgkmcnt(0)
	; wave barrier
	s_waitcnt lgkmcnt(0)
	s_and_saveexec_b64 s[10:11], s[4:5]
	s_cbranch_execz .LBB57_146
; %bb.137:
	s_andn2_b64 vcc, exec, s[8:9]
	s_cbranch_vccnz .LBB57_139
; %bb.138:
	buffer_load_dword v141, v119, s[0:3], 0 offen
	ds_read_b32 v142, v118
	s_waitcnt vmcnt(0) lgkmcnt(0)
	v_mul_f32_e32 v141, v141, v142
	s_cbranch_execz .LBB57_140
	s_branch .LBB57_141
.LBB57_139:
                                        ; implicit-def: $vgpr141
.LBB57_140:
	ds_read_b32 v141, v118
.LBB57_141:
	s_and_saveexec_b64 s[12:13], s[6:7]
	s_cbranch_execz .LBB57_145
; %bb.142:
	v_mov_b32_e32 v142, 0
	v_add_u32_e32 v142, 0xac, v142
	v_subrev_u32_e32 v143, 43, v0
	s_movk_i32 s14, 0x19c
	s_mov_b64 s[6:7], 0
.LBB57_143:                             ; =>This Inner Loop Header: Depth=1
	buffer_load_dword v144, v142, s[0:3], 0 offen
	v_mov_b32_e32 v145, s14
	ds_read_b32 v145, v145
	v_add_u32_e32 v143, -1, v143
	s_add_i32 s14, s14, 4
	v_cmp_eq_u32_e32 vcc, 0, v143
	v_add_u32_e32 v142, 4, v142
	s_or_b64 s[6:7], vcc, s[6:7]
	s_waitcnt vmcnt(0) lgkmcnt(0)
	v_fmac_f32_e32 v141, v144, v145
	s_andn2_b64 exec, exec, s[6:7]
	s_cbranch_execnz .LBB57_143
; %bb.144:
	s_or_b64 exec, exec, s[6:7]
.LBB57_145:
	s_or_b64 exec, exec, s[12:13]
	v_mov_b32_e32 v142, 0
	ds_read_b32 v142, v142 offset:168
	s_waitcnt lgkmcnt(0)
	v_mul_f32_e32 v141, v141, v142
	buffer_store_dword v141, off, s[0:3], 0 offset:168
.LBB57_146:
	s_or_b64 exec, exec, s[10:11]
	buffer_load_dword v141, off, s[0:3], 0 offset:164
	v_cmp_lt_u32_e64 s[6:7], 41, v0
	s_waitcnt vmcnt(0)
	ds_write_b32 v118, v141
	s_waitcnt lgkmcnt(0)
	; wave barrier
	s_waitcnt lgkmcnt(0)
	s_and_saveexec_b64 s[10:11], s[6:7]
	s_cbranch_execz .LBB57_156
; %bb.147:
	s_andn2_b64 vcc, exec, s[8:9]
	s_cbranch_vccnz .LBB57_149
; %bb.148:
	buffer_load_dword v141, v119, s[0:3], 0 offen
	ds_read_b32 v142, v118
	s_waitcnt vmcnt(0) lgkmcnt(0)
	v_mul_f32_e32 v141, v141, v142
	s_cbranch_execz .LBB57_150
	s_branch .LBB57_151
.LBB57_149:
                                        ; implicit-def: $vgpr141
.LBB57_150:
	ds_read_b32 v141, v118
.LBB57_151:
	s_and_saveexec_b64 s[12:13], s[4:5]
	s_cbranch_execz .LBB57_155
; %bb.152:
	v_subrev_u32_e32 v142, 42, v0
	s_movk_i32 s14, 0x198
	s_mov_b64 s[4:5], 0
.LBB57_153:                             ; =>This Inner Loop Header: Depth=1
	buffer_load_dword v143, v140, s[0:3], 0 offen
	v_mov_b32_e32 v144, s14
	ds_read_b32 v144, v144
	v_add_u32_e32 v142, -1, v142
	s_add_i32 s14, s14, 4
	v_cmp_eq_u32_e32 vcc, 0, v142
	v_add_u32_e32 v140, 4, v140
	s_or_b64 s[4:5], vcc, s[4:5]
	s_waitcnt vmcnt(0) lgkmcnt(0)
	v_fmac_f32_e32 v141, v143, v144
	s_andn2_b64 exec, exec, s[4:5]
	s_cbranch_execnz .LBB57_153
; %bb.154:
	s_or_b64 exec, exec, s[4:5]
.LBB57_155:
	s_or_b64 exec, exec, s[12:13]
	v_mov_b32_e32 v140, 0
	ds_read_b32 v140, v140 offset:164
	s_waitcnt lgkmcnt(0)
	v_mul_f32_e32 v140, v141, v140
	buffer_store_dword v140, off, s[0:3], 0 offset:164
.LBB57_156:
	s_or_b64 exec, exec, s[10:11]
	buffer_load_dword v140, off, s[0:3], 0 offset:160
	v_cmp_lt_u32_e64 s[4:5], 40, v0
	s_waitcnt vmcnt(0)
	ds_write_b32 v118, v140
	s_waitcnt lgkmcnt(0)
	; wave barrier
	s_waitcnt lgkmcnt(0)
	s_and_saveexec_b64 s[10:11], s[4:5]
	s_cbranch_execz .LBB57_166
; %bb.157:
	s_andn2_b64 vcc, exec, s[8:9]
	s_cbranch_vccnz .LBB57_159
; %bb.158:
	buffer_load_dword v140, v119, s[0:3], 0 offen
	ds_read_b32 v141, v118
	s_waitcnt vmcnt(0) lgkmcnt(0)
	v_mul_f32_e32 v140, v140, v141
	s_cbranch_execz .LBB57_160
	s_branch .LBB57_161
.LBB57_159:
                                        ; implicit-def: $vgpr140
.LBB57_160:
	ds_read_b32 v140, v118
.LBB57_161:
	s_and_saveexec_b64 s[12:13], s[6:7]
	s_cbranch_execz .LBB57_165
; %bb.162:
	v_mov_b32_e32 v141, 0
	v_add_u32_e32 v141, 0xa4, v141
	v_subrev_u32_e32 v142, 41, v0
	s_movk_i32 s14, 0x194
	s_mov_b64 s[6:7], 0
.LBB57_163:                             ; =>This Inner Loop Header: Depth=1
	buffer_load_dword v143, v141, s[0:3], 0 offen
	v_mov_b32_e32 v144, s14
	ds_read_b32 v144, v144
	v_add_u32_e32 v142, -1, v142
	s_add_i32 s14, s14, 4
	v_cmp_eq_u32_e32 vcc, 0, v142
	v_add_u32_e32 v141, 4, v141
	s_or_b64 s[6:7], vcc, s[6:7]
	s_waitcnt vmcnt(0) lgkmcnt(0)
	v_fmac_f32_e32 v140, v143, v144
	s_andn2_b64 exec, exec, s[6:7]
	s_cbranch_execnz .LBB57_163
; %bb.164:
	s_or_b64 exec, exec, s[6:7]
.LBB57_165:
	s_or_b64 exec, exec, s[12:13]
	v_mov_b32_e32 v141, 0
	ds_read_b32 v141, v141 offset:160
	s_waitcnt lgkmcnt(0)
	v_mul_f32_e32 v140, v140, v141
	buffer_store_dword v140, off, s[0:3], 0 offset:160
.LBB57_166:
	s_or_b64 exec, exec, s[10:11]
	buffer_load_dword v140, off, s[0:3], 0 offset:156
	v_cmp_lt_u32_e64 s[6:7], 39, v0
	s_waitcnt vmcnt(0)
	ds_write_b32 v118, v140
	s_waitcnt lgkmcnt(0)
	; wave barrier
	s_waitcnt lgkmcnt(0)
	s_and_saveexec_b64 s[10:11], s[6:7]
	s_cbranch_execz .LBB57_176
; %bb.167:
	s_andn2_b64 vcc, exec, s[8:9]
	s_cbranch_vccnz .LBB57_169
; %bb.168:
	buffer_load_dword v140, v119, s[0:3], 0 offen
	ds_read_b32 v141, v118
	s_waitcnt vmcnt(0) lgkmcnt(0)
	v_mul_f32_e32 v140, v140, v141
	s_cbranch_execz .LBB57_170
	s_branch .LBB57_171
.LBB57_169:
                                        ; implicit-def: $vgpr140
.LBB57_170:
	ds_read_b32 v140, v118
.LBB57_171:
	s_and_saveexec_b64 s[12:13], s[4:5]
	s_cbranch_execz .LBB57_175
; %bb.172:
	v_subrev_u32_e32 v141, 40, v0
	s_movk_i32 s14, 0x190
	s_mov_b64 s[4:5], 0
.LBB57_173:                             ; =>This Inner Loop Header: Depth=1
	buffer_load_dword v142, v139, s[0:3], 0 offen
	v_mov_b32_e32 v143, s14
	ds_read_b32 v143, v143
	v_add_u32_e32 v141, -1, v141
	s_add_i32 s14, s14, 4
	v_cmp_eq_u32_e32 vcc, 0, v141
	v_add_u32_e32 v139, 4, v139
	s_or_b64 s[4:5], vcc, s[4:5]
	s_waitcnt vmcnt(0) lgkmcnt(0)
	v_fmac_f32_e32 v140, v142, v143
	s_andn2_b64 exec, exec, s[4:5]
	s_cbranch_execnz .LBB57_173
; %bb.174:
	s_or_b64 exec, exec, s[4:5]
.LBB57_175:
	s_or_b64 exec, exec, s[12:13]
	v_mov_b32_e32 v139, 0
	ds_read_b32 v139, v139 offset:156
	s_waitcnt lgkmcnt(0)
	v_mul_f32_e32 v139, v140, v139
	buffer_store_dword v139, off, s[0:3], 0 offset:156
.LBB57_176:
	s_or_b64 exec, exec, s[10:11]
	buffer_load_dword v139, off, s[0:3], 0 offset:152
	v_cmp_lt_u32_e64 s[4:5], 38, v0
	s_waitcnt vmcnt(0)
	ds_write_b32 v118, v139
	s_waitcnt lgkmcnt(0)
	; wave barrier
	s_waitcnt lgkmcnt(0)
	s_and_saveexec_b64 s[10:11], s[4:5]
	s_cbranch_execz .LBB57_186
; %bb.177:
	s_andn2_b64 vcc, exec, s[8:9]
	s_cbranch_vccnz .LBB57_179
; %bb.178:
	buffer_load_dword v139, v119, s[0:3], 0 offen
	ds_read_b32 v140, v118
	s_waitcnt vmcnt(0) lgkmcnt(0)
	v_mul_f32_e32 v139, v139, v140
	s_cbranch_execz .LBB57_180
	s_branch .LBB57_181
.LBB57_179:
                                        ; implicit-def: $vgpr139
.LBB57_180:
	ds_read_b32 v139, v118
.LBB57_181:
	s_and_saveexec_b64 s[12:13], s[6:7]
	s_cbranch_execz .LBB57_185
; %bb.182:
	v_mov_b32_e32 v140, 0
	v_add_u32_e32 v140, 0x9c, v140
	v_subrev_u32_e32 v141, 39, v0
	s_movk_i32 s14, 0x18c
	s_mov_b64 s[6:7], 0
.LBB57_183:                             ; =>This Inner Loop Header: Depth=1
	buffer_load_dword v142, v140, s[0:3], 0 offen
	v_mov_b32_e32 v143, s14
	ds_read_b32 v143, v143
	v_add_u32_e32 v141, -1, v141
	s_add_i32 s14, s14, 4
	v_cmp_eq_u32_e32 vcc, 0, v141
	v_add_u32_e32 v140, 4, v140
	s_or_b64 s[6:7], vcc, s[6:7]
	s_waitcnt vmcnt(0) lgkmcnt(0)
	v_fmac_f32_e32 v139, v142, v143
	s_andn2_b64 exec, exec, s[6:7]
	s_cbranch_execnz .LBB57_183
; %bb.184:
	s_or_b64 exec, exec, s[6:7]
.LBB57_185:
	s_or_b64 exec, exec, s[12:13]
	v_mov_b32_e32 v140, 0
	ds_read_b32 v140, v140 offset:152
	s_waitcnt lgkmcnt(0)
	v_mul_f32_e32 v139, v139, v140
	buffer_store_dword v139, off, s[0:3], 0 offset:152
.LBB57_186:
	s_or_b64 exec, exec, s[10:11]
	buffer_load_dword v139, off, s[0:3], 0 offset:148
	v_cmp_lt_u32_e64 s[6:7], 37, v0
	s_waitcnt vmcnt(0)
	ds_write_b32 v118, v139
	s_waitcnt lgkmcnt(0)
	; wave barrier
	s_waitcnt lgkmcnt(0)
	s_and_saveexec_b64 s[10:11], s[6:7]
	s_cbranch_execz .LBB57_196
; %bb.187:
	s_andn2_b64 vcc, exec, s[8:9]
	s_cbranch_vccnz .LBB57_189
; %bb.188:
	buffer_load_dword v139, v119, s[0:3], 0 offen
	ds_read_b32 v140, v118
	s_waitcnt vmcnt(0) lgkmcnt(0)
	v_mul_f32_e32 v139, v139, v140
	s_cbranch_execz .LBB57_190
	s_branch .LBB57_191
.LBB57_189:
                                        ; implicit-def: $vgpr139
.LBB57_190:
	ds_read_b32 v139, v118
.LBB57_191:
	s_and_saveexec_b64 s[12:13], s[4:5]
	s_cbranch_execz .LBB57_195
; %bb.192:
	v_subrev_u32_e32 v140, 38, v0
	s_movk_i32 s14, 0x188
	s_mov_b64 s[4:5], 0
.LBB57_193:                             ; =>This Inner Loop Header: Depth=1
	buffer_load_dword v141, v138, s[0:3], 0 offen
	v_mov_b32_e32 v142, s14
	ds_read_b32 v142, v142
	v_add_u32_e32 v140, -1, v140
	s_add_i32 s14, s14, 4
	v_cmp_eq_u32_e32 vcc, 0, v140
	v_add_u32_e32 v138, 4, v138
	s_or_b64 s[4:5], vcc, s[4:5]
	s_waitcnt vmcnt(0) lgkmcnt(0)
	v_fmac_f32_e32 v139, v141, v142
	s_andn2_b64 exec, exec, s[4:5]
	s_cbranch_execnz .LBB57_193
; %bb.194:
	s_or_b64 exec, exec, s[4:5]
.LBB57_195:
	s_or_b64 exec, exec, s[12:13]
	v_mov_b32_e32 v138, 0
	ds_read_b32 v138, v138 offset:148
	s_waitcnt lgkmcnt(0)
	v_mul_f32_e32 v138, v139, v138
	buffer_store_dword v138, off, s[0:3], 0 offset:148
.LBB57_196:
	s_or_b64 exec, exec, s[10:11]
	buffer_load_dword v138, off, s[0:3], 0 offset:144
	v_cmp_lt_u32_e64 s[4:5], 36, v0
	s_waitcnt vmcnt(0)
	ds_write_b32 v118, v138
	s_waitcnt lgkmcnt(0)
	; wave barrier
	s_waitcnt lgkmcnt(0)
	s_and_saveexec_b64 s[10:11], s[4:5]
	s_cbranch_execz .LBB57_206
; %bb.197:
	s_andn2_b64 vcc, exec, s[8:9]
	s_cbranch_vccnz .LBB57_199
; %bb.198:
	buffer_load_dword v138, v119, s[0:3], 0 offen
	ds_read_b32 v139, v118
	s_waitcnt vmcnt(0) lgkmcnt(0)
	v_mul_f32_e32 v138, v138, v139
	s_cbranch_execz .LBB57_200
	s_branch .LBB57_201
.LBB57_199:
                                        ; implicit-def: $vgpr138
.LBB57_200:
	ds_read_b32 v138, v118
.LBB57_201:
	s_and_saveexec_b64 s[12:13], s[6:7]
	s_cbranch_execz .LBB57_205
; %bb.202:
	v_mov_b32_e32 v139, 0
	v_add_u32_e32 v139, 0x94, v139
	v_subrev_u32_e32 v140, 37, v0
	s_movk_i32 s14, 0x184
	s_mov_b64 s[6:7], 0
.LBB57_203:                             ; =>This Inner Loop Header: Depth=1
	buffer_load_dword v141, v139, s[0:3], 0 offen
	v_mov_b32_e32 v142, s14
	ds_read_b32 v142, v142
	v_add_u32_e32 v140, -1, v140
	s_add_i32 s14, s14, 4
	v_cmp_eq_u32_e32 vcc, 0, v140
	v_add_u32_e32 v139, 4, v139
	s_or_b64 s[6:7], vcc, s[6:7]
	s_waitcnt vmcnt(0) lgkmcnt(0)
	v_fmac_f32_e32 v138, v141, v142
	s_andn2_b64 exec, exec, s[6:7]
	s_cbranch_execnz .LBB57_203
; %bb.204:
	s_or_b64 exec, exec, s[6:7]
.LBB57_205:
	s_or_b64 exec, exec, s[12:13]
	v_mov_b32_e32 v139, 0
	ds_read_b32 v139, v139 offset:144
	s_waitcnt lgkmcnt(0)
	v_mul_f32_e32 v138, v138, v139
	buffer_store_dword v138, off, s[0:3], 0 offset:144
.LBB57_206:
	s_or_b64 exec, exec, s[10:11]
	buffer_load_dword v138, off, s[0:3], 0 offset:140
	v_cmp_lt_u32_e64 s[6:7], 35, v0
	s_waitcnt vmcnt(0)
	ds_write_b32 v118, v138
	s_waitcnt lgkmcnt(0)
	; wave barrier
	s_waitcnt lgkmcnt(0)
	s_and_saveexec_b64 s[10:11], s[6:7]
	s_cbranch_execz .LBB57_216
; %bb.207:
	s_andn2_b64 vcc, exec, s[8:9]
	s_cbranch_vccnz .LBB57_209
; %bb.208:
	buffer_load_dword v138, v119, s[0:3], 0 offen
	ds_read_b32 v139, v118
	s_waitcnt vmcnt(0) lgkmcnt(0)
	v_mul_f32_e32 v138, v138, v139
	s_cbranch_execz .LBB57_210
	s_branch .LBB57_211
.LBB57_209:
                                        ; implicit-def: $vgpr138
.LBB57_210:
	ds_read_b32 v138, v118
.LBB57_211:
	s_and_saveexec_b64 s[12:13], s[4:5]
	s_cbranch_execz .LBB57_215
; %bb.212:
	v_subrev_u32_e32 v139, 36, v0
	s_movk_i32 s14, 0x180
	s_mov_b64 s[4:5], 0
.LBB57_213:                             ; =>This Inner Loop Header: Depth=1
	buffer_load_dword v140, v137, s[0:3], 0 offen
	v_mov_b32_e32 v141, s14
	ds_read_b32 v141, v141
	v_add_u32_e32 v139, -1, v139
	s_add_i32 s14, s14, 4
	v_cmp_eq_u32_e32 vcc, 0, v139
	v_add_u32_e32 v137, 4, v137
	s_or_b64 s[4:5], vcc, s[4:5]
	s_waitcnt vmcnt(0) lgkmcnt(0)
	v_fmac_f32_e32 v138, v140, v141
	s_andn2_b64 exec, exec, s[4:5]
	s_cbranch_execnz .LBB57_213
; %bb.214:
	s_or_b64 exec, exec, s[4:5]
.LBB57_215:
	s_or_b64 exec, exec, s[12:13]
	v_mov_b32_e32 v137, 0
	ds_read_b32 v137, v137 offset:140
	s_waitcnt lgkmcnt(0)
	v_mul_f32_e32 v137, v138, v137
	buffer_store_dword v137, off, s[0:3], 0 offset:140
.LBB57_216:
	s_or_b64 exec, exec, s[10:11]
	buffer_load_dword v137, off, s[0:3], 0 offset:136
	v_cmp_lt_u32_e64 s[4:5], 34, v0
	s_waitcnt vmcnt(0)
	ds_write_b32 v118, v137
	s_waitcnt lgkmcnt(0)
	; wave barrier
	s_waitcnt lgkmcnt(0)
	s_and_saveexec_b64 s[10:11], s[4:5]
	s_cbranch_execz .LBB57_226
; %bb.217:
	s_andn2_b64 vcc, exec, s[8:9]
	s_cbranch_vccnz .LBB57_219
; %bb.218:
	buffer_load_dword v137, v119, s[0:3], 0 offen
	ds_read_b32 v138, v118
	s_waitcnt vmcnt(0) lgkmcnt(0)
	v_mul_f32_e32 v137, v137, v138
	s_cbranch_execz .LBB57_220
	s_branch .LBB57_221
.LBB57_219:
                                        ; implicit-def: $vgpr137
.LBB57_220:
	ds_read_b32 v137, v118
.LBB57_221:
	s_and_saveexec_b64 s[12:13], s[6:7]
	s_cbranch_execz .LBB57_225
; %bb.222:
	v_mov_b32_e32 v138, 0
	v_add_u32_e32 v138, 0x8c, v138
	v_subrev_u32_e32 v139, 35, v0
	s_movk_i32 s14, 0x17c
	s_mov_b64 s[6:7], 0
.LBB57_223:                             ; =>This Inner Loop Header: Depth=1
	buffer_load_dword v140, v138, s[0:3], 0 offen
	v_mov_b32_e32 v141, s14
	ds_read_b32 v141, v141
	v_add_u32_e32 v139, -1, v139
	s_add_i32 s14, s14, 4
	v_cmp_eq_u32_e32 vcc, 0, v139
	v_add_u32_e32 v138, 4, v138
	s_or_b64 s[6:7], vcc, s[6:7]
	s_waitcnt vmcnt(0) lgkmcnt(0)
	v_fmac_f32_e32 v137, v140, v141
	s_andn2_b64 exec, exec, s[6:7]
	s_cbranch_execnz .LBB57_223
; %bb.224:
	s_or_b64 exec, exec, s[6:7]
.LBB57_225:
	s_or_b64 exec, exec, s[12:13]
	v_mov_b32_e32 v138, 0
	ds_read_b32 v138, v138 offset:136
	s_waitcnt lgkmcnt(0)
	v_mul_f32_e32 v137, v137, v138
	buffer_store_dword v137, off, s[0:3], 0 offset:136
.LBB57_226:
	s_or_b64 exec, exec, s[10:11]
	buffer_load_dword v137, off, s[0:3], 0 offset:132
	v_cmp_lt_u32_e64 s[6:7], 33, v0
	s_waitcnt vmcnt(0)
	ds_write_b32 v118, v137
	s_waitcnt lgkmcnt(0)
	; wave barrier
	s_waitcnt lgkmcnt(0)
	s_and_saveexec_b64 s[10:11], s[6:7]
	s_cbranch_execz .LBB57_236
; %bb.227:
	s_andn2_b64 vcc, exec, s[8:9]
	s_cbranch_vccnz .LBB57_229
; %bb.228:
	buffer_load_dword v137, v119, s[0:3], 0 offen
	ds_read_b32 v138, v118
	s_waitcnt vmcnt(0) lgkmcnt(0)
	v_mul_f32_e32 v137, v137, v138
	s_cbranch_execz .LBB57_230
	s_branch .LBB57_231
.LBB57_229:
                                        ; implicit-def: $vgpr137
.LBB57_230:
	ds_read_b32 v137, v118
.LBB57_231:
	s_and_saveexec_b64 s[12:13], s[4:5]
	s_cbranch_execz .LBB57_235
; %bb.232:
	v_subrev_u32_e32 v138, 34, v0
	s_movk_i32 s14, 0x178
	s_mov_b64 s[4:5], 0
.LBB57_233:                             ; =>This Inner Loop Header: Depth=1
	buffer_load_dword v139, v136, s[0:3], 0 offen
	v_mov_b32_e32 v140, s14
	ds_read_b32 v140, v140
	v_add_u32_e32 v138, -1, v138
	s_add_i32 s14, s14, 4
	v_cmp_eq_u32_e32 vcc, 0, v138
	v_add_u32_e32 v136, 4, v136
	s_or_b64 s[4:5], vcc, s[4:5]
	s_waitcnt vmcnt(0) lgkmcnt(0)
	v_fmac_f32_e32 v137, v139, v140
	s_andn2_b64 exec, exec, s[4:5]
	s_cbranch_execnz .LBB57_233
; %bb.234:
	s_or_b64 exec, exec, s[4:5]
.LBB57_235:
	s_or_b64 exec, exec, s[12:13]
	v_mov_b32_e32 v136, 0
	ds_read_b32 v136, v136 offset:132
	s_waitcnt lgkmcnt(0)
	v_mul_f32_e32 v136, v137, v136
	buffer_store_dword v136, off, s[0:3], 0 offset:132
.LBB57_236:
	s_or_b64 exec, exec, s[10:11]
	buffer_load_dword v136, off, s[0:3], 0 offset:128
	v_cmp_lt_u32_e64 s[4:5], 32, v0
	s_waitcnt vmcnt(0)
	ds_write_b32 v118, v136
	s_waitcnt lgkmcnt(0)
	; wave barrier
	s_waitcnt lgkmcnt(0)
	s_and_saveexec_b64 s[10:11], s[4:5]
	s_cbranch_execz .LBB57_246
; %bb.237:
	s_andn2_b64 vcc, exec, s[8:9]
	s_cbranch_vccnz .LBB57_239
; %bb.238:
	buffer_load_dword v136, v119, s[0:3], 0 offen
	ds_read_b32 v137, v118
	s_waitcnt vmcnt(0) lgkmcnt(0)
	v_mul_f32_e32 v136, v136, v137
	s_cbranch_execz .LBB57_240
	s_branch .LBB57_241
.LBB57_239:
                                        ; implicit-def: $vgpr136
.LBB57_240:
	ds_read_b32 v136, v118
.LBB57_241:
	s_and_saveexec_b64 s[12:13], s[6:7]
	s_cbranch_execz .LBB57_245
; %bb.242:
	v_mov_b32_e32 v137, 0
	v_add_u32_e32 v137, 0x84, v137
	v_subrev_u32_e32 v138, 33, v0
	s_movk_i32 s14, 0x174
	s_mov_b64 s[6:7], 0
.LBB57_243:                             ; =>This Inner Loop Header: Depth=1
	buffer_load_dword v139, v137, s[0:3], 0 offen
	v_mov_b32_e32 v140, s14
	ds_read_b32 v140, v140
	v_add_u32_e32 v138, -1, v138
	s_add_i32 s14, s14, 4
	v_cmp_eq_u32_e32 vcc, 0, v138
	v_add_u32_e32 v137, 4, v137
	s_or_b64 s[6:7], vcc, s[6:7]
	s_waitcnt vmcnt(0) lgkmcnt(0)
	v_fmac_f32_e32 v136, v139, v140
	s_andn2_b64 exec, exec, s[6:7]
	s_cbranch_execnz .LBB57_243
; %bb.244:
	s_or_b64 exec, exec, s[6:7]
.LBB57_245:
	s_or_b64 exec, exec, s[12:13]
	v_mov_b32_e32 v137, 0
	ds_read_b32 v137, v137 offset:128
	s_waitcnt lgkmcnt(0)
	v_mul_f32_e32 v136, v136, v137
	buffer_store_dword v136, off, s[0:3], 0 offset:128
.LBB57_246:
	s_or_b64 exec, exec, s[10:11]
	buffer_load_dword v136, off, s[0:3], 0 offset:124
	v_cmp_lt_u32_e64 s[6:7], 31, v0
	s_waitcnt vmcnt(0)
	ds_write_b32 v118, v136
	s_waitcnt lgkmcnt(0)
	; wave barrier
	s_waitcnt lgkmcnt(0)
	s_and_saveexec_b64 s[10:11], s[6:7]
	s_cbranch_execz .LBB57_256
; %bb.247:
	s_andn2_b64 vcc, exec, s[8:9]
	s_cbranch_vccnz .LBB57_249
; %bb.248:
	buffer_load_dword v136, v119, s[0:3], 0 offen
	ds_read_b32 v137, v118
	s_waitcnt vmcnt(0) lgkmcnt(0)
	v_mul_f32_e32 v136, v136, v137
	s_cbranch_execz .LBB57_250
	s_branch .LBB57_251
.LBB57_249:
                                        ; implicit-def: $vgpr136
.LBB57_250:
	ds_read_b32 v136, v118
.LBB57_251:
	s_and_saveexec_b64 s[12:13], s[4:5]
	s_cbranch_execz .LBB57_255
; %bb.252:
	v_subrev_u32_e32 v137, 32, v0
	s_movk_i32 s14, 0x170
	s_mov_b64 s[4:5], 0
.LBB57_253:                             ; =>This Inner Loop Header: Depth=1
	buffer_load_dword v138, v135, s[0:3], 0 offen
	v_mov_b32_e32 v139, s14
	ds_read_b32 v139, v139
	v_add_u32_e32 v137, -1, v137
	s_add_i32 s14, s14, 4
	v_cmp_eq_u32_e32 vcc, 0, v137
	v_add_u32_e32 v135, 4, v135
	s_or_b64 s[4:5], vcc, s[4:5]
	s_waitcnt vmcnt(0) lgkmcnt(0)
	v_fmac_f32_e32 v136, v138, v139
	s_andn2_b64 exec, exec, s[4:5]
	s_cbranch_execnz .LBB57_253
; %bb.254:
	s_or_b64 exec, exec, s[4:5]
.LBB57_255:
	s_or_b64 exec, exec, s[12:13]
	v_mov_b32_e32 v135, 0
	ds_read_b32 v135, v135 offset:124
	s_waitcnt lgkmcnt(0)
	v_mul_f32_e32 v135, v136, v135
	buffer_store_dword v135, off, s[0:3], 0 offset:124
.LBB57_256:
	s_or_b64 exec, exec, s[10:11]
	buffer_load_dword v135, off, s[0:3], 0 offset:120
	v_cmp_lt_u32_e64 s[4:5], 30, v0
	s_waitcnt vmcnt(0)
	ds_write_b32 v118, v135
	s_waitcnt lgkmcnt(0)
	; wave barrier
	s_waitcnt lgkmcnt(0)
	s_and_saveexec_b64 s[10:11], s[4:5]
	s_cbranch_execz .LBB57_266
; %bb.257:
	s_andn2_b64 vcc, exec, s[8:9]
	s_cbranch_vccnz .LBB57_259
; %bb.258:
	buffer_load_dword v135, v119, s[0:3], 0 offen
	ds_read_b32 v136, v118
	s_waitcnt vmcnt(0) lgkmcnt(0)
	v_mul_f32_e32 v135, v135, v136
	s_cbranch_execz .LBB57_260
	s_branch .LBB57_261
.LBB57_259:
                                        ; implicit-def: $vgpr135
.LBB57_260:
	ds_read_b32 v135, v118
.LBB57_261:
	s_and_saveexec_b64 s[12:13], s[6:7]
	s_cbranch_execz .LBB57_265
; %bb.262:
	v_mov_b32_e32 v136, 0
	v_add_u32_e32 v136, 0x7c, v136
	v_subrev_u32_e32 v137, 31, v0
	s_movk_i32 s14, 0x16c
	s_mov_b64 s[6:7], 0
.LBB57_263:                             ; =>This Inner Loop Header: Depth=1
	buffer_load_dword v138, v136, s[0:3], 0 offen
	v_mov_b32_e32 v139, s14
	ds_read_b32 v139, v139
	v_add_u32_e32 v137, -1, v137
	s_add_i32 s14, s14, 4
	v_cmp_eq_u32_e32 vcc, 0, v137
	v_add_u32_e32 v136, 4, v136
	s_or_b64 s[6:7], vcc, s[6:7]
	s_waitcnt vmcnt(0) lgkmcnt(0)
	v_fmac_f32_e32 v135, v138, v139
	s_andn2_b64 exec, exec, s[6:7]
	s_cbranch_execnz .LBB57_263
; %bb.264:
	s_or_b64 exec, exec, s[6:7]
.LBB57_265:
	s_or_b64 exec, exec, s[12:13]
	v_mov_b32_e32 v136, 0
	ds_read_b32 v136, v136 offset:120
	s_waitcnt lgkmcnt(0)
	v_mul_f32_e32 v135, v135, v136
	buffer_store_dword v135, off, s[0:3], 0 offset:120
.LBB57_266:
	s_or_b64 exec, exec, s[10:11]
	buffer_load_dword v135, off, s[0:3], 0 offset:116
	v_cmp_lt_u32_e64 s[6:7], 29, v0
	s_waitcnt vmcnt(0)
	ds_write_b32 v118, v135
	s_waitcnt lgkmcnt(0)
	; wave barrier
	s_waitcnt lgkmcnt(0)
	s_and_saveexec_b64 s[10:11], s[6:7]
	s_cbranch_execz .LBB57_276
; %bb.267:
	s_andn2_b64 vcc, exec, s[8:9]
	s_cbranch_vccnz .LBB57_269
; %bb.268:
	buffer_load_dword v135, v119, s[0:3], 0 offen
	ds_read_b32 v136, v118
	s_waitcnt vmcnt(0) lgkmcnt(0)
	v_mul_f32_e32 v135, v135, v136
	s_cbranch_execz .LBB57_270
	s_branch .LBB57_271
.LBB57_269:
                                        ; implicit-def: $vgpr135
.LBB57_270:
	ds_read_b32 v135, v118
.LBB57_271:
	s_and_saveexec_b64 s[12:13], s[4:5]
	s_cbranch_execz .LBB57_275
; %bb.272:
	v_subrev_u32_e32 v136, 30, v0
	s_movk_i32 s14, 0x168
	s_mov_b64 s[4:5], 0
.LBB57_273:                             ; =>This Inner Loop Header: Depth=1
	buffer_load_dword v137, v134, s[0:3], 0 offen
	v_mov_b32_e32 v138, s14
	ds_read_b32 v138, v138
	v_add_u32_e32 v136, -1, v136
	s_add_i32 s14, s14, 4
	v_cmp_eq_u32_e32 vcc, 0, v136
	v_add_u32_e32 v134, 4, v134
	s_or_b64 s[4:5], vcc, s[4:5]
	s_waitcnt vmcnt(0) lgkmcnt(0)
	v_fmac_f32_e32 v135, v137, v138
	s_andn2_b64 exec, exec, s[4:5]
	s_cbranch_execnz .LBB57_273
; %bb.274:
	s_or_b64 exec, exec, s[4:5]
.LBB57_275:
	s_or_b64 exec, exec, s[12:13]
	v_mov_b32_e32 v134, 0
	ds_read_b32 v134, v134 offset:116
	s_waitcnt lgkmcnt(0)
	v_mul_f32_e32 v134, v135, v134
	buffer_store_dword v134, off, s[0:3], 0 offset:116
.LBB57_276:
	s_or_b64 exec, exec, s[10:11]
	buffer_load_dword v134, off, s[0:3], 0 offset:112
	v_cmp_lt_u32_e64 s[4:5], 28, v0
	s_waitcnt vmcnt(0)
	ds_write_b32 v118, v134
	s_waitcnt lgkmcnt(0)
	; wave barrier
	s_waitcnt lgkmcnt(0)
	s_and_saveexec_b64 s[10:11], s[4:5]
	s_cbranch_execz .LBB57_286
; %bb.277:
	s_andn2_b64 vcc, exec, s[8:9]
	s_cbranch_vccnz .LBB57_279
; %bb.278:
	buffer_load_dword v134, v119, s[0:3], 0 offen
	ds_read_b32 v135, v118
	s_waitcnt vmcnt(0) lgkmcnt(0)
	v_mul_f32_e32 v134, v134, v135
	s_cbranch_execz .LBB57_280
	s_branch .LBB57_281
.LBB57_279:
                                        ; implicit-def: $vgpr134
.LBB57_280:
	ds_read_b32 v134, v118
.LBB57_281:
	s_and_saveexec_b64 s[12:13], s[6:7]
	s_cbranch_execz .LBB57_285
; %bb.282:
	v_mov_b32_e32 v135, 0
	v_add_u32_e32 v135, 0x74, v135
	v_subrev_u32_e32 v136, 29, v0
	s_movk_i32 s14, 0x164
	s_mov_b64 s[6:7], 0
.LBB57_283:                             ; =>This Inner Loop Header: Depth=1
	buffer_load_dword v137, v135, s[0:3], 0 offen
	v_mov_b32_e32 v138, s14
	ds_read_b32 v138, v138
	v_add_u32_e32 v136, -1, v136
	s_add_i32 s14, s14, 4
	v_cmp_eq_u32_e32 vcc, 0, v136
	v_add_u32_e32 v135, 4, v135
	s_or_b64 s[6:7], vcc, s[6:7]
	s_waitcnt vmcnt(0) lgkmcnt(0)
	v_fmac_f32_e32 v134, v137, v138
	s_andn2_b64 exec, exec, s[6:7]
	s_cbranch_execnz .LBB57_283
; %bb.284:
	s_or_b64 exec, exec, s[6:7]
.LBB57_285:
	s_or_b64 exec, exec, s[12:13]
	v_mov_b32_e32 v135, 0
	ds_read_b32 v135, v135 offset:112
	s_waitcnt lgkmcnt(0)
	v_mul_f32_e32 v134, v134, v135
	buffer_store_dword v134, off, s[0:3], 0 offset:112
.LBB57_286:
	s_or_b64 exec, exec, s[10:11]
	buffer_load_dword v134, off, s[0:3], 0 offset:108
	v_cmp_lt_u32_e64 s[6:7], 27, v0
	s_waitcnt vmcnt(0)
	ds_write_b32 v118, v134
	s_waitcnt lgkmcnt(0)
	; wave barrier
	s_waitcnt lgkmcnt(0)
	s_and_saveexec_b64 s[10:11], s[6:7]
	s_cbranch_execz .LBB57_296
; %bb.287:
	s_andn2_b64 vcc, exec, s[8:9]
	s_cbranch_vccnz .LBB57_289
; %bb.288:
	buffer_load_dword v134, v119, s[0:3], 0 offen
	ds_read_b32 v135, v118
	s_waitcnt vmcnt(0) lgkmcnt(0)
	v_mul_f32_e32 v134, v134, v135
	s_cbranch_execz .LBB57_290
	s_branch .LBB57_291
.LBB57_289:
                                        ; implicit-def: $vgpr134
.LBB57_290:
	ds_read_b32 v134, v118
.LBB57_291:
	s_and_saveexec_b64 s[12:13], s[4:5]
	s_cbranch_execz .LBB57_295
; %bb.292:
	v_subrev_u32_e32 v135, 28, v0
	s_movk_i32 s14, 0x160
	s_mov_b64 s[4:5], 0
.LBB57_293:                             ; =>This Inner Loop Header: Depth=1
	buffer_load_dword v136, v133, s[0:3], 0 offen
	v_mov_b32_e32 v137, s14
	ds_read_b32 v137, v137
	v_add_u32_e32 v135, -1, v135
	s_add_i32 s14, s14, 4
	v_cmp_eq_u32_e32 vcc, 0, v135
	v_add_u32_e32 v133, 4, v133
	s_or_b64 s[4:5], vcc, s[4:5]
	s_waitcnt vmcnt(0) lgkmcnt(0)
	v_fmac_f32_e32 v134, v136, v137
	s_andn2_b64 exec, exec, s[4:5]
	s_cbranch_execnz .LBB57_293
; %bb.294:
	s_or_b64 exec, exec, s[4:5]
.LBB57_295:
	s_or_b64 exec, exec, s[12:13]
	v_mov_b32_e32 v133, 0
	ds_read_b32 v133, v133 offset:108
	s_waitcnt lgkmcnt(0)
	v_mul_f32_e32 v133, v134, v133
	buffer_store_dword v133, off, s[0:3], 0 offset:108
.LBB57_296:
	s_or_b64 exec, exec, s[10:11]
	buffer_load_dword v133, off, s[0:3], 0 offset:104
	v_cmp_lt_u32_e64 s[4:5], 26, v0
	s_waitcnt vmcnt(0)
	ds_write_b32 v118, v133
	s_waitcnt lgkmcnt(0)
	; wave barrier
	s_waitcnt lgkmcnt(0)
	s_and_saveexec_b64 s[10:11], s[4:5]
	s_cbranch_execz .LBB57_306
; %bb.297:
	s_andn2_b64 vcc, exec, s[8:9]
	s_cbranch_vccnz .LBB57_299
; %bb.298:
	buffer_load_dword v133, v119, s[0:3], 0 offen
	ds_read_b32 v134, v118
	s_waitcnt vmcnt(0) lgkmcnt(0)
	v_mul_f32_e32 v133, v133, v134
	s_cbranch_execz .LBB57_300
	s_branch .LBB57_301
.LBB57_299:
                                        ; implicit-def: $vgpr133
.LBB57_300:
	ds_read_b32 v133, v118
.LBB57_301:
	s_and_saveexec_b64 s[12:13], s[6:7]
	s_cbranch_execz .LBB57_305
; %bb.302:
	v_mov_b32_e32 v134, 0
	v_add_u32_e32 v134, 0x6c, v134
	v_subrev_u32_e32 v135, 27, v0
	s_movk_i32 s14, 0x15c
	s_mov_b64 s[6:7], 0
.LBB57_303:                             ; =>This Inner Loop Header: Depth=1
	buffer_load_dword v136, v134, s[0:3], 0 offen
	v_mov_b32_e32 v137, s14
	ds_read_b32 v137, v137
	v_add_u32_e32 v135, -1, v135
	s_add_i32 s14, s14, 4
	v_cmp_eq_u32_e32 vcc, 0, v135
	v_add_u32_e32 v134, 4, v134
	s_or_b64 s[6:7], vcc, s[6:7]
	s_waitcnt vmcnt(0) lgkmcnt(0)
	v_fmac_f32_e32 v133, v136, v137
	s_andn2_b64 exec, exec, s[6:7]
	s_cbranch_execnz .LBB57_303
; %bb.304:
	s_or_b64 exec, exec, s[6:7]
.LBB57_305:
	s_or_b64 exec, exec, s[12:13]
	v_mov_b32_e32 v134, 0
	ds_read_b32 v134, v134 offset:104
	s_waitcnt lgkmcnt(0)
	v_mul_f32_e32 v133, v133, v134
	buffer_store_dword v133, off, s[0:3], 0 offset:104
.LBB57_306:
	s_or_b64 exec, exec, s[10:11]
	buffer_load_dword v133, off, s[0:3], 0 offset:100
	v_cmp_lt_u32_e64 s[6:7], 25, v0
	s_waitcnt vmcnt(0)
	ds_write_b32 v118, v133
	s_waitcnt lgkmcnt(0)
	; wave barrier
	s_waitcnt lgkmcnt(0)
	s_and_saveexec_b64 s[10:11], s[6:7]
	s_cbranch_execz .LBB57_316
; %bb.307:
	s_andn2_b64 vcc, exec, s[8:9]
	s_cbranch_vccnz .LBB57_309
; %bb.308:
	buffer_load_dword v133, v119, s[0:3], 0 offen
	ds_read_b32 v134, v118
	s_waitcnt vmcnt(0) lgkmcnt(0)
	v_mul_f32_e32 v133, v133, v134
	s_cbranch_execz .LBB57_310
	s_branch .LBB57_311
.LBB57_309:
                                        ; implicit-def: $vgpr133
.LBB57_310:
	ds_read_b32 v133, v118
.LBB57_311:
	s_and_saveexec_b64 s[12:13], s[4:5]
	s_cbranch_execz .LBB57_315
; %bb.312:
	v_subrev_u32_e32 v134, 26, v0
	s_movk_i32 s14, 0x158
	s_mov_b64 s[4:5], 0
.LBB57_313:                             ; =>This Inner Loop Header: Depth=1
	buffer_load_dword v135, v132, s[0:3], 0 offen
	v_mov_b32_e32 v136, s14
	ds_read_b32 v136, v136
	v_add_u32_e32 v134, -1, v134
	s_add_i32 s14, s14, 4
	v_cmp_eq_u32_e32 vcc, 0, v134
	v_add_u32_e32 v132, 4, v132
	s_or_b64 s[4:5], vcc, s[4:5]
	s_waitcnt vmcnt(0) lgkmcnt(0)
	v_fmac_f32_e32 v133, v135, v136
	s_andn2_b64 exec, exec, s[4:5]
	s_cbranch_execnz .LBB57_313
; %bb.314:
	s_or_b64 exec, exec, s[4:5]
.LBB57_315:
	s_or_b64 exec, exec, s[12:13]
	v_mov_b32_e32 v132, 0
	ds_read_b32 v132, v132 offset:100
	s_waitcnt lgkmcnt(0)
	v_mul_f32_e32 v132, v133, v132
	buffer_store_dword v132, off, s[0:3], 0 offset:100
.LBB57_316:
	s_or_b64 exec, exec, s[10:11]
	buffer_load_dword v132, off, s[0:3], 0 offset:96
	v_cmp_lt_u32_e64 s[4:5], 24, v0
	s_waitcnt vmcnt(0)
	ds_write_b32 v118, v132
	s_waitcnt lgkmcnt(0)
	; wave barrier
	s_waitcnt lgkmcnt(0)
	s_and_saveexec_b64 s[10:11], s[4:5]
	s_cbranch_execz .LBB57_326
; %bb.317:
	s_andn2_b64 vcc, exec, s[8:9]
	s_cbranch_vccnz .LBB57_319
; %bb.318:
	buffer_load_dword v132, v119, s[0:3], 0 offen
	ds_read_b32 v133, v118
	s_waitcnt vmcnt(0) lgkmcnt(0)
	v_mul_f32_e32 v132, v132, v133
	s_cbranch_execz .LBB57_320
	s_branch .LBB57_321
.LBB57_319:
                                        ; implicit-def: $vgpr132
.LBB57_320:
	ds_read_b32 v132, v118
.LBB57_321:
	s_and_saveexec_b64 s[12:13], s[6:7]
	s_cbranch_execz .LBB57_325
; %bb.322:
	v_mov_b32_e32 v133, 0
	v_add_u32_e32 v133, 0x64, v133
	v_subrev_u32_e32 v134, 25, v0
	s_movk_i32 s14, 0x154
	s_mov_b64 s[6:7], 0
.LBB57_323:                             ; =>This Inner Loop Header: Depth=1
	buffer_load_dword v135, v133, s[0:3], 0 offen
	v_mov_b32_e32 v136, s14
	ds_read_b32 v136, v136
	v_add_u32_e32 v134, -1, v134
	s_add_i32 s14, s14, 4
	v_cmp_eq_u32_e32 vcc, 0, v134
	v_add_u32_e32 v133, 4, v133
	s_or_b64 s[6:7], vcc, s[6:7]
	s_waitcnt vmcnt(0) lgkmcnt(0)
	v_fmac_f32_e32 v132, v135, v136
	s_andn2_b64 exec, exec, s[6:7]
	s_cbranch_execnz .LBB57_323
; %bb.324:
	s_or_b64 exec, exec, s[6:7]
.LBB57_325:
	s_or_b64 exec, exec, s[12:13]
	v_mov_b32_e32 v133, 0
	ds_read_b32 v133, v133 offset:96
	s_waitcnt lgkmcnt(0)
	v_mul_f32_e32 v132, v132, v133
	buffer_store_dword v132, off, s[0:3], 0 offset:96
.LBB57_326:
	s_or_b64 exec, exec, s[10:11]
	buffer_load_dword v132, off, s[0:3], 0 offset:92
	v_cmp_lt_u32_e64 s[6:7], 23, v0
	s_waitcnt vmcnt(0)
	ds_write_b32 v118, v132
	s_waitcnt lgkmcnt(0)
	; wave barrier
	s_waitcnt lgkmcnt(0)
	s_and_saveexec_b64 s[10:11], s[6:7]
	s_cbranch_execz .LBB57_336
; %bb.327:
	s_andn2_b64 vcc, exec, s[8:9]
	s_cbranch_vccnz .LBB57_329
; %bb.328:
	buffer_load_dword v132, v119, s[0:3], 0 offen
	ds_read_b32 v133, v118
	s_waitcnt vmcnt(0) lgkmcnt(0)
	v_mul_f32_e32 v132, v132, v133
	s_cbranch_execz .LBB57_330
	s_branch .LBB57_331
.LBB57_329:
                                        ; implicit-def: $vgpr132
.LBB57_330:
	ds_read_b32 v132, v118
.LBB57_331:
	s_and_saveexec_b64 s[12:13], s[4:5]
	s_cbranch_execz .LBB57_335
; %bb.332:
	v_subrev_u32_e32 v133, 24, v0
	s_movk_i32 s14, 0x150
	s_mov_b64 s[4:5], 0
.LBB57_333:                             ; =>This Inner Loop Header: Depth=1
	buffer_load_dword v134, v131, s[0:3], 0 offen
	v_mov_b32_e32 v135, s14
	ds_read_b32 v135, v135
	v_add_u32_e32 v133, -1, v133
	s_add_i32 s14, s14, 4
	v_cmp_eq_u32_e32 vcc, 0, v133
	v_add_u32_e32 v131, 4, v131
	s_or_b64 s[4:5], vcc, s[4:5]
	s_waitcnt vmcnt(0) lgkmcnt(0)
	v_fmac_f32_e32 v132, v134, v135
	s_andn2_b64 exec, exec, s[4:5]
	s_cbranch_execnz .LBB57_333
; %bb.334:
	s_or_b64 exec, exec, s[4:5]
.LBB57_335:
	s_or_b64 exec, exec, s[12:13]
	v_mov_b32_e32 v131, 0
	ds_read_b32 v131, v131 offset:92
	s_waitcnt lgkmcnt(0)
	v_mul_f32_e32 v131, v132, v131
	buffer_store_dword v131, off, s[0:3], 0 offset:92
.LBB57_336:
	s_or_b64 exec, exec, s[10:11]
	buffer_load_dword v131, off, s[0:3], 0 offset:88
	v_cmp_lt_u32_e64 s[4:5], 22, v0
	s_waitcnt vmcnt(0)
	ds_write_b32 v118, v131
	s_waitcnt lgkmcnt(0)
	; wave barrier
	s_waitcnt lgkmcnt(0)
	s_and_saveexec_b64 s[10:11], s[4:5]
	s_cbranch_execz .LBB57_346
; %bb.337:
	s_andn2_b64 vcc, exec, s[8:9]
	s_cbranch_vccnz .LBB57_339
; %bb.338:
	buffer_load_dword v131, v119, s[0:3], 0 offen
	ds_read_b32 v132, v118
	s_waitcnt vmcnt(0) lgkmcnt(0)
	v_mul_f32_e32 v131, v131, v132
	s_cbranch_execz .LBB57_340
	s_branch .LBB57_341
.LBB57_339:
                                        ; implicit-def: $vgpr131
.LBB57_340:
	ds_read_b32 v131, v118
.LBB57_341:
	s_and_saveexec_b64 s[12:13], s[6:7]
	s_cbranch_execz .LBB57_345
; %bb.342:
	v_mov_b32_e32 v132, 0
	v_add_u32_e32 v132, 0x5c, v132
	v_subrev_u32_e32 v133, 23, v0
	s_movk_i32 s14, 0x14c
	s_mov_b64 s[6:7], 0
.LBB57_343:                             ; =>This Inner Loop Header: Depth=1
	buffer_load_dword v134, v132, s[0:3], 0 offen
	v_mov_b32_e32 v135, s14
	ds_read_b32 v135, v135
	v_add_u32_e32 v133, -1, v133
	s_add_i32 s14, s14, 4
	v_cmp_eq_u32_e32 vcc, 0, v133
	v_add_u32_e32 v132, 4, v132
	s_or_b64 s[6:7], vcc, s[6:7]
	s_waitcnt vmcnt(0) lgkmcnt(0)
	v_fmac_f32_e32 v131, v134, v135
	s_andn2_b64 exec, exec, s[6:7]
	s_cbranch_execnz .LBB57_343
; %bb.344:
	s_or_b64 exec, exec, s[6:7]
.LBB57_345:
	s_or_b64 exec, exec, s[12:13]
	v_mov_b32_e32 v132, 0
	ds_read_b32 v132, v132 offset:88
	s_waitcnt lgkmcnt(0)
	v_mul_f32_e32 v131, v131, v132
	buffer_store_dword v131, off, s[0:3], 0 offset:88
.LBB57_346:
	s_or_b64 exec, exec, s[10:11]
	buffer_load_dword v131, off, s[0:3], 0 offset:84
	v_cmp_lt_u32_e64 s[6:7], 21, v0
	s_waitcnt vmcnt(0)
	ds_write_b32 v118, v131
	s_waitcnt lgkmcnt(0)
	; wave barrier
	s_waitcnt lgkmcnt(0)
	s_and_saveexec_b64 s[10:11], s[6:7]
	s_cbranch_execz .LBB57_356
; %bb.347:
	s_andn2_b64 vcc, exec, s[8:9]
	s_cbranch_vccnz .LBB57_349
; %bb.348:
	buffer_load_dword v131, v119, s[0:3], 0 offen
	ds_read_b32 v132, v118
	s_waitcnt vmcnt(0) lgkmcnt(0)
	v_mul_f32_e32 v131, v131, v132
	s_cbranch_execz .LBB57_350
	s_branch .LBB57_351
.LBB57_349:
                                        ; implicit-def: $vgpr131
.LBB57_350:
	ds_read_b32 v131, v118
.LBB57_351:
	s_and_saveexec_b64 s[12:13], s[4:5]
	s_cbranch_execz .LBB57_355
; %bb.352:
	v_subrev_u32_e32 v132, 22, v0
	s_movk_i32 s14, 0x148
	s_mov_b64 s[4:5], 0
.LBB57_353:                             ; =>This Inner Loop Header: Depth=1
	buffer_load_dword v133, v130, s[0:3], 0 offen
	v_mov_b32_e32 v134, s14
	ds_read_b32 v134, v134
	v_add_u32_e32 v132, -1, v132
	s_add_i32 s14, s14, 4
	v_cmp_eq_u32_e32 vcc, 0, v132
	v_add_u32_e32 v130, 4, v130
	s_or_b64 s[4:5], vcc, s[4:5]
	s_waitcnt vmcnt(0) lgkmcnt(0)
	v_fmac_f32_e32 v131, v133, v134
	s_andn2_b64 exec, exec, s[4:5]
	s_cbranch_execnz .LBB57_353
; %bb.354:
	s_or_b64 exec, exec, s[4:5]
.LBB57_355:
	s_or_b64 exec, exec, s[12:13]
	v_mov_b32_e32 v130, 0
	ds_read_b32 v130, v130 offset:84
	s_waitcnt lgkmcnt(0)
	v_mul_f32_e32 v130, v131, v130
	buffer_store_dword v130, off, s[0:3], 0 offset:84
.LBB57_356:
	s_or_b64 exec, exec, s[10:11]
	buffer_load_dword v130, off, s[0:3], 0 offset:80
	v_cmp_lt_u32_e64 s[4:5], 20, v0
	s_waitcnt vmcnt(0)
	ds_write_b32 v118, v130
	s_waitcnt lgkmcnt(0)
	; wave barrier
	s_waitcnt lgkmcnt(0)
	s_and_saveexec_b64 s[10:11], s[4:5]
	s_cbranch_execz .LBB57_366
; %bb.357:
	s_andn2_b64 vcc, exec, s[8:9]
	s_cbranch_vccnz .LBB57_359
; %bb.358:
	buffer_load_dword v130, v119, s[0:3], 0 offen
	ds_read_b32 v131, v118
	s_waitcnt vmcnt(0) lgkmcnt(0)
	v_mul_f32_e32 v130, v130, v131
	s_cbranch_execz .LBB57_360
	s_branch .LBB57_361
.LBB57_359:
                                        ; implicit-def: $vgpr130
.LBB57_360:
	ds_read_b32 v130, v118
.LBB57_361:
	s_and_saveexec_b64 s[12:13], s[6:7]
	s_cbranch_execz .LBB57_365
; %bb.362:
	v_mov_b32_e32 v131, 0
	v_add_u32_e32 v131, 0x54, v131
	v_subrev_u32_e32 v132, 21, v0
	s_movk_i32 s14, 0x144
	s_mov_b64 s[6:7], 0
.LBB57_363:                             ; =>This Inner Loop Header: Depth=1
	buffer_load_dword v133, v131, s[0:3], 0 offen
	v_mov_b32_e32 v134, s14
	ds_read_b32 v134, v134
	v_add_u32_e32 v132, -1, v132
	s_add_i32 s14, s14, 4
	v_cmp_eq_u32_e32 vcc, 0, v132
	v_add_u32_e32 v131, 4, v131
	s_or_b64 s[6:7], vcc, s[6:7]
	s_waitcnt vmcnt(0) lgkmcnt(0)
	v_fmac_f32_e32 v130, v133, v134
	s_andn2_b64 exec, exec, s[6:7]
	s_cbranch_execnz .LBB57_363
; %bb.364:
	s_or_b64 exec, exec, s[6:7]
.LBB57_365:
	s_or_b64 exec, exec, s[12:13]
	v_mov_b32_e32 v131, 0
	ds_read_b32 v131, v131 offset:80
	s_waitcnt lgkmcnt(0)
	v_mul_f32_e32 v130, v130, v131
	buffer_store_dword v130, off, s[0:3], 0 offset:80
.LBB57_366:
	s_or_b64 exec, exec, s[10:11]
	buffer_load_dword v130, off, s[0:3], 0 offset:76
	v_cmp_lt_u32_e64 s[6:7], 19, v0
	s_waitcnt vmcnt(0)
	ds_write_b32 v118, v130
	s_waitcnt lgkmcnt(0)
	; wave barrier
	s_waitcnt lgkmcnt(0)
	s_and_saveexec_b64 s[10:11], s[6:7]
	s_cbranch_execz .LBB57_376
; %bb.367:
	s_andn2_b64 vcc, exec, s[8:9]
	s_cbranch_vccnz .LBB57_369
; %bb.368:
	buffer_load_dword v130, v119, s[0:3], 0 offen
	ds_read_b32 v131, v118
	s_waitcnt vmcnt(0) lgkmcnt(0)
	v_mul_f32_e32 v130, v130, v131
	s_cbranch_execz .LBB57_370
	s_branch .LBB57_371
.LBB57_369:
                                        ; implicit-def: $vgpr130
.LBB57_370:
	ds_read_b32 v130, v118
.LBB57_371:
	s_and_saveexec_b64 s[12:13], s[4:5]
	s_cbranch_execz .LBB57_375
; %bb.372:
	v_subrev_u32_e32 v131, 20, v0
	s_movk_i32 s14, 0x140
	s_mov_b64 s[4:5], 0
.LBB57_373:                             ; =>This Inner Loop Header: Depth=1
	buffer_load_dword v132, v129, s[0:3], 0 offen
	v_mov_b32_e32 v133, s14
	ds_read_b32 v133, v133
	v_add_u32_e32 v131, -1, v131
	s_add_i32 s14, s14, 4
	v_cmp_eq_u32_e32 vcc, 0, v131
	v_add_u32_e32 v129, 4, v129
	s_or_b64 s[4:5], vcc, s[4:5]
	s_waitcnt vmcnt(0) lgkmcnt(0)
	v_fmac_f32_e32 v130, v132, v133
	s_andn2_b64 exec, exec, s[4:5]
	s_cbranch_execnz .LBB57_373
; %bb.374:
	s_or_b64 exec, exec, s[4:5]
.LBB57_375:
	s_or_b64 exec, exec, s[12:13]
	v_mov_b32_e32 v129, 0
	ds_read_b32 v129, v129 offset:76
	s_waitcnt lgkmcnt(0)
	v_mul_f32_e32 v129, v130, v129
	buffer_store_dword v129, off, s[0:3], 0 offset:76
.LBB57_376:
	s_or_b64 exec, exec, s[10:11]
	buffer_load_dword v129, off, s[0:3], 0 offset:72
	v_cmp_lt_u32_e64 s[4:5], 18, v0
	s_waitcnt vmcnt(0)
	ds_write_b32 v118, v129
	s_waitcnt lgkmcnt(0)
	; wave barrier
	s_waitcnt lgkmcnt(0)
	s_and_saveexec_b64 s[10:11], s[4:5]
	s_cbranch_execz .LBB57_386
; %bb.377:
	s_andn2_b64 vcc, exec, s[8:9]
	s_cbranch_vccnz .LBB57_379
; %bb.378:
	buffer_load_dword v129, v119, s[0:3], 0 offen
	ds_read_b32 v130, v118
	s_waitcnt vmcnt(0) lgkmcnt(0)
	v_mul_f32_e32 v129, v129, v130
	s_cbranch_execz .LBB57_380
	s_branch .LBB57_381
.LBB57_379:
                                        ; implicit-def: $vgpr129
.LBB57_380:
	ds_read_b32 v129, v118
.LBB57_381:
	s_and_saveexec_b64 s[12:13], s[6:7]
	s_cbranch_execz .LBB57_385
; %bb.382:
	v_mov_b32_e32 v130, 0
	v_add_u32_e32 v130, 0x4c, v130
	v_subrev_u32_e32 v131, 19, v0
	s_movk_i32 s14, 0x13c
	s_mov_b64 s[6:7], 0
.LBB57_383:                             ; =>This Inner Loop Header: Depth=1
	buffer_load_dword v132, v130, s[0:3], 0 offen
	v_mov_b32_e32 v133, s14
	ds_read_b32 v133, v133
	v_add_u32_e32 v131, -1, v131
	s_add_i32 s14, s14, 4
	v_cmp_eq_u32_e32 vcc, 0, v131
	v_add_u32_e32 v130, 4, v130
	s_or_b64 s[6:7], vcc, s[6:7]
	s_waitcnt vmcnt(0) lgkmcnt(0)
	v_fmac_f32_e32 v129, v132, v133
	s_andn2_b64 exec, exec, s[6:7]
	s_cbranch_execnz .LBB57_383
; %bb.384:
	s_or_b64 exec, exec, s[6:7]
.LBB57_385:
	s_or_b64 exec, exec, s[12:13]
	v_mov_b32_e32 v130, 0
	ds_read_b32 v130, v130 offset:72
	s_waitcnt lgkmcnt(0)
	v_mul_f32_e32 v129, v129, v130
	buffer_store_dword v129, off, s[0:3], 0 offset:72
.LBB57_386:
	s_or_b64 exec, exec, s[10:11]
	buffer_load_dword v129, off, s[0:3], 0 offset:68
	v_cmp_lt_u32_e64 s[6:7], 17, v0
	s_waitcnt vmcnt(0)
	ds_write_b32 v118, v129
	s_waitcnt lgkmcnt(0)
	; wave barrier
	s_waitcnt lgkmcnt(0)
	s_and_saveexec_b64 s[10:11], s[6:7]
	s_cbranch_execz .LBB57_396
; %bb.387:
	s_andn2_b64 vcc, exec, s[8:9]
	s_cbranch_vccnz .LBB57_389
; %bb.388:
	buffer_load_dword v129, v119, s[0:3], 0 offen
	ds_read_b32 v130, v118
	s_waitcnt vmcnt(0) lgkmcnt(0)
	v_mul_f32_e32 v129, v129, v130
	s_cbranch_execz .LBB57_390
	s_branch .LBB57_391
.LBB57_389:
                                        ; implicit-def: $vgpr129
.LBB57_390:
	ds_read_b32 v129, v118
.LBB57_391:
	s_and_saveexec_b64 s[12:13], s[4:5]
	s_cbranch_execz .LBB57_395
; %bb.392:
	v_subrev_u32_e32 v130, 18, v0
	s_movk_i32 s14, 0x138
	s_mov_b64 s[4:5], 0
.LBB57_393:                             ; =>This Inner Loop Header: Depth=1
	buffer_load_dword v131, v128, s[0:3], 0 offen
	v_mov_b32_e32 v132, s14
	ds_read_b32 v132, v132
	v_add_u32_e32 v130, -1, v130
	s_add_i32 s14, s14, 4
	v_cmp_eq_u32_e32 vcc, 0, v130
	v_add_u32_e32 v128, 4, v128
	s_or_b64 s[4:5], vcc, s[4:5]
	s_waitcnt vmcnt(0) lgkmcnt(0)
	v_fmac_f32_e32 v129, v131, v132
	s_andn2_b64 exec, exec, s[4:5]
	s_cbranch_execnz .LBB57_393
; %bb.394:
	s_or_b64 exec, exec, s[4:5]
.LBB57_395:
	s_or_b64 exec, exec, s[12:13]
	v_mov_b32_e32 v128, 0
	ds_read_b32 v128, v128 offset:68
	s_waitcnt lgkmcnt(0)
	v_mul_f32_e32 v128, v129, v128
	buffer_store_dword v128, off, s[0:3], 0 offset:68
.LBB57_396:
	s_or_b64 exec, exec, s[10:11]
	buffer_load_dword v128, off, s[0:3], 0 offset:64
	v_cmp_lt_u32_e64 s[4:5], 16, v0
	s_waitcnt vmcnt(0)
	ds_write_b32 v118, v128
	s_waitcnt lgkmcnt(0)
	; wave barrier
	s_waitcnt lgkmcnt(0)
	s_and_saveexec_b64 s[10:11], s[4:5]
	s_cbranch_execz .LBB57_406
; %bb.397:
	s_andn2_b64 vcc, exec, s[8:9]
	s_cbranch_vccnz .LBB57_399
; %bb.398:
	buffer_load_dword v128, v119, s[0:3], 0 offen
	ds_read_b32 v129, v118
	s_waitcnt vmcnt(0) lgkmcnt(0)
	v_mul_f32_e32 v128, v128, v129
	s_cbranch_execz .LBB57_400
	s_branch .LBB57_401
.LBB57_399:
                                        ; implicit-def: $vgpr128
.LBB57_400:
	ds_read_b32 v128, v118
.LBB57_401:
	s_and_saveexec_b64 s[12:13], s[6:7]
	s_cbranch_execz .LBB57_405
; %bb.402:
	v_mov_b32_e32 v129, 0
	v_add_u32_e32 v129, 0x44, v129
	v_subrev_u32_e32 v130, 17, v0
	s_movk_i32 s14, 0x134
	s_mov_b64 s[6:7], 0
.LBB57_403:                             ; =>This Inner Loop Header: Depth=1
	buffer_load_dword v131, v129, s[0:3], 0 offen
	v_mov_b32_e32 v132, s14
	ds_read_b32 v132, v132
	v_add_u32_e32 v130, -1, v130
	s_add_i32 s14, s14, 4
	v_cmp_eq_u32_e32 vcc, 0, v130
	v_add_u32_e32 v129, 4, v129
	s_or_b64 s[6:7], vcc, s[6:7]
	s_waitcnt vmcnt(0) lgkmcnt(0)
	v_fmac_f32_e32 v128, v131, v132
	s_andn2_b64 exec, exec, s[6:7]
	s_cbranch_execnz .LBB57_403
; %bb.404:
	s_or_b64 exec, exec, s[6:7]
.LBB57_405:
	s_or_b64 exec, exec, s[12:13]
	v_mov_b32_e32 v129, 0
	ds_read_b32 v129, v129 offset:64
	s_waitcnt lgkmcnt(0)
	v_mul_f32_e32 v128, v128, v129
	buffer_store_dword v128, off, s[0:3], 0 offset:64
.LBB57_406:
	s_or_b64 exec, exec, s[10:11]
	buffer_load_dword v128, off, s[0:3], 0 offset:60
	v_cmp_lt_u32_e64 s[6:7], 15, v0
	s_waitcnt vmcnt(0)
	ds_write_b32 v118, v128
	s_waitcnt lgkmcnt(0)
	; wave barrier
	s_waitcnt lgkmcnt(0)
	s_and_saveexec_b64 s[10:11], s[6:7]
	s_cbranch_execz .LBB57_416
; %bb.407:
	s_andn2_b64 vcc, exec, s[8:9]
	s_cbranch_vccnz .LBB57_409
; %bb.408:
	buffer_load_dword v128, v119, s[0:3], 0 offen
	ds_read_b32 v129, v118
	s_waitcnt vmcnt(0) lgkmcnt(0)
	v_mul_f32_e32 v128, v128, v129
	s_cbranch_execz .LBB57_410
	s_branch .LBB57_411
.LBB57_409:
                                        ; implicit-def: $vgpr128
.LBB57_410:
	ds_read_b32 v128, v118
.LBB57_411:
	s_and_saveexec_b64 s[12:13], s[4:5]
	s_cbranch_execz .LBB57_415
; %bb.412:
	v_add_u32_e32 v129, -16, v0
	s_movk_i32 s14, 0x130
	s_mov_b64 s[4:5], 0
.LBB57_413:                             ; =>This Inner Loop Header: Depth=1
	buffer_load_dword v130, v127, s[0:3], 0 offen
	v_mov_b32_e32 v131, s14
	ds_read_b32 v131, v131
	v_add_u32_e32 v129, -1, v129
	s_add_i32 s14, s14, 4
	v_cmp_eq_u32_e32 vcc, 0, v129
	v_add_u32_e32 v127, 4, v127
	s_or_b64 s[4:5], vcc, s[4:5]
	s_waitcnt vmcnt(0) lgkmcnt(0)
	v_fmac_f32_e32 v128, v130, v131
	s_andn2_b64 exec, exec, s[4:5]
	s_cbranch_execnz .LBB57_413
; %bb.414:
	s_or_b64 exec, exec, s[4:5]
.LBB57_415:
	s_or_b64 exec, exec, s[12:13]
	v_mov_b32_e32 v127, 0
	ds_read_b32 v127, v127 offset:60
	s_waitcnt lgkmcnt(0)
	v_mul_f32_e32 v127, v128, v127
	buffer_store_dword v127, off, s[0:3], 0 offset:60
.LBB57_416:
	s_or_b64 exec, exec, s[10:11]
	buffer_load_dword v127, off, s[0:3], 0 offset:56
	v_cmp_lt_u32_e64 s[4:5], 14, v0
	s_waitcnt vmcnt(0)
	ds_write_b32 v118, v127
	s_waitcnt lgkmcnt(0)
	; wave barrier
	s_waitcnt lgkmcnt(0)
	s_and_saveexec_b64 s[10:11], s[4:5]
	s_cbranch_execz .LBB57_426
; %bb.417:
	s_andn2_b64 vcc, exec, s[8:9]
	s_cbranch_vccnz .LBB57_419
; %bb.418:
	buffer_load_dword v127, v119, s[0:3], 0 offen
	ds_read_b32 v128, v118
	s_waitcnt vmcnt(0) lgkmcnt(0)
	v_mul_f32_e32 v127, v127, v128
	s_cbranch_execz .LBB57_420
	s_branch .LBB57_421
.LBB57_419:
                                        ; implicit-def: $vgpr127
.LBB57_420:
	ds_read_b32 v127, v118
.LBB57_421:
	s_and_saveexec_b64 s[12:13], s[6:7]
	s_cbranch_execz .LBB57_425
; %bb.422:
	v_mov_b32_e32 v128, 0
	v_add_u32_e32 v128, 60, v128
	v_add_u32_e32 v129, -15, v0
	s_movk_i32 s14, 0x12c
	s_mov_b64 s[6:7], 0
.LBB57_423:                             ; =>This Inner Loop Header: Depth=1
	buffer_load_dword v130, v128, s[0:3], 0 offen
	v_mov_b32_e32 v131, s14
	ds_read_b32 v131, v131
	v_add_u32_e32 v129, -1, v129
	s_add_i32 s14, s14, 4
	v_cmp_eq_u32_e32 vcc, 0, v129
	v_add_u32_e32 v128, 4, v128
	s_or_b64 s[6:7], vcc, s[6:7]
	s_waitcnt vmcnt(0) lgkmcnt(0)
	v_fmac_f32_e32 v127, v130, v131
	s_andn2_b64 exec, exec, s[6:7]
	s_cbranch_execnz .LBB57_423
; %bb.424:
	s_or_b64 exec, exec, s[6:7]
.LBB57_425:
	s_or_b64 exec, exec, s[12:13]
	v_mov_b32_e32 v128, 0
	ds_read_b32 v128, v128 offset:56
	s_waitcnt lgkmcnt(0)
	v_mul_f32_e32 v127, v127, v128
	buffer_store_dword v127, off, s[0:3], 0 offset:56
.LBB57_426:
	s_or_b64 exec, exec, s[10:11]
	buffer_load_dword v127, off, s[0:3], 0 offset:52
	v_cmp_lt_u32_e64 s[6:7], 13, v0
	s_waitcnt vmcnt(0)
	ds_write_b32 v118, v127
	s_waitcnt lgkmcnt(0)
	; wave barrier
	s_waitcnt lgkmcnt(0)
	s_and_saveexec_b64 s[10:11], s[6:7]
	s_cbranch_execz .LBB57_436
; %bb.427:
	s_andn2_b64 vcc, exec, s[8:9]
	s_cbranch_vccnz .LBB57_429
; %bb.428:
	buffer_load_dword v127, v119, s[0:3], 0 offen
	ds_read_b32 v128, v118
	s_waitcnt vmcnt(0) lgkmcnt(0)
	v_mul_f32_e32 v127, v127, v128
	s_cbranch_execz .LBB57_430
	s_branch .LBB57_431
.LBB57_429:
                                        ; implicit-def: $vgpr127
.LBB57_430:
	ds_read_b32 v127, v118
.LBB57_431:
	s_and_saveexec_b64 s[12:13], s[4:5]
	s_cbranch_execz .LBB57_435
; %bb.432:
	v_add_u32_e32 v128, -14, v0
	s_movk_i32 s14, 0x128
	s_mov_b64 s[4:5], 0
.LBB57_433:                             ; =>This Inner Loop Header: Depth=1
	buffer_load_dword v129, v126, s[0:3], 0 offen
	v_mov_b32_e32 v130, s14
	ds_read_b32 v130, v130
	v_add_u32_e32 v128, -1, v128
	s_add_i32 s14, s14, 4
	v_cmp_eq_u32_e32 vcc, 0, v128
	v_add_u32_e32 v126, 4, v126
	s_or_b64 s[4:5], vcc, s[4:5]
	s_waitcnt vmcnt(0) lgkmcnt(0)
	v_fmac_f32_e32 v127, v129, v130
	s_andn2_b64 exec, exec, s[4:5]
	s_cbranch_execnz .LBB57_433
; %bb.434:
	s_or_b64 exec, exec, s[4:5]
.LBB57_435:
	s_or_b64 exec, exec, s[12:13]
	v_mov_b32_e32 v126, 0
	ds_read_b32 v126, v126 offset:52
	s_waitcnt lgkmcnt(0)
	v_mul_f32_e32 v126, v127, v126
	buffer_store_dword v126, off, s[0:3], 0 offset:52
.LBB57_436:
	s_or_b64 exec, exec, s[10:11]
	buffer_load_dword v126, off, s[0:3], 0 offset:48
	v_cmp_lt_u32_e64 s[4:5], 12, v0
	s_waitcnt vmcnt(0)
	ds_write_b32 v118, v126
	s_waitcnt lgkmcnt(0)
	; wave barrier
	s_waitcnt lgkmcnt(0)
	s_and_saveexec_b64 s[10:11], s[4:5]
	s_cbranch_execz .LBB57_446
; %bb.437:
	s_andn2_b64 vcc, exec, s[8:9]
	s_cbranch_vccnz .LBB57_439
; %bb.438:
	buffer_load_dword v126, v119, s[0:3], 0 offen
	ds_read_b32 v127, v118
	s_waitcnt vmcnt(0) lgkmcnt(0)
	v_mul_f32_e32 v126, v126, v127
	s_cbranch_execz .LBB57_440
	s_branch .LBB57_441
.LBB57_439:
                                        ; implicit-def: $vgpr126
.LBB57_440:
	ds_read_b32 v126, v118
.LBB57_441:
	s_and_saveexec_b64 s[12:13], s[6:7]
	s_cbranch_execz .LBB57_445
; %bb.442:
	v_mov_b32_e32 v127, 0
	v_add_u32_e32 v127, 52, v127
	v_add_u32_e32 v128, -13, v0
	s_movk_i32 s14, 0x124
	s_mov_b64 s[6:7], 0
.LBB57_443:                             ; =>This Inner Loop Header: Depth=1
	buffer_load_dword v129, v127, s[0:3], 0 offen
	v_mov_b32_e32 v130, s14
	ds_read_b32 v130, v130
	v_add_u32_e32 v128, -1, v128
	s_add_i32 s14, s14, 4
	v_cmp_eq_u32_e32 vcc, 0, v128
	v_add_u32_e32 v127, 4, v127
	s_or_b64 s[6:7], vcc, s[6:7]
	s_waitcnt vmcnt(0) lgkmcnt(0)
	v_fmac_f32_e32 v126, v129, v130
	s_andn2_b64 exec, exec, s[6:7]
	s_cbranch_execnz .LBB57_443
; %bb.444:
	s_or_b64 exec, exec, s[6:7]
.LBB57_445:
	s_or_b64 exec, exec, s[12:13]
	v_mov_b32_e32 v127, 0
	ds_read_b32 v127, v127 offset:48
	s_waitcnt lgkmcnt(0)
	v_mul_f32_e32 v126, v126, v127
	buffer_store_dword v126, off, s[0:3], 0 offset:48
.LBB57_446:
	s_or_b64 exec, exec, s[10:11]
	buffer_load_dword v126, off, s[0:3], 0 offset:44
	v_cmp_lt_u32_e64 s[6:7], 11, v0
	s_waitcnt vmcnt(0)
	ds_write_b32 v118, v126
	s_waitcnt lgkmcnt(0)
	; wave barrier
	s_waitcnt lgkmcnt(0)
	s_and_saveexec_b64 s[10:11], s[6:7]
	s_cbranch_execz .LBB57_456
; %bb.447:
	s_andn2_b64 vcc, exec, s[8:9]
	s_cbranch_vccnz .LBB57_449
; %bb.448:
	buffer_load_dword v126, v119, s[0:3], 0 offen
	ds_read_b32 v127, v118
	s_waitcnt vmcnt(0) lgkmcnt(0)
	v_mul_f32_e32 v126, v126, v127
	s_cbranch_execz .LBB57_450
	s_branch .LBB57_451
.LBB57_449:
                                        ; implicit-def: $vgpr126
.LBB57_450:
	ds_read_b32 v126, v118
.LBB57_451:
	s_and_saveexec_b64 s[12:13], s[4:5]
	s_cbranch_execz .LBB57_455
; %bb.452:
	v_add_u32_e32 v127, -12, v0
	s_movk_i32 s14, 0x120
	s_mov_b64 s[4:5], 0
.LBB57_453:                             ; =>This Inner Loop Header: Depth=1
	buffer_load_dword v128, v125, s[0:3], 0 offen
	v_mov_b32_e32 v129, s14
	ds_read_b32 v129, v129
	v_add_u32_e32 v127, -1, v127
	s_add_i32 s14, s14, 4
	v_cmp_eq_u32_e32 vcc, 0, v127
	v_add_u32_e32 v125, 4, v125
	s_or_b64 s[4:5], vcc, s[4:5]
	s_waitcnt vmcnt(0) lgkmcnt(0)
	v_fmac_f32_e32 v126, v128, v129
	s_andn2_b64 exec, exec, s[4:5]
	s_cbranch_execnz .LBB57_453
; %bb.454:
	s_or_b64 exec, exec, s[4:5]
.LBB57_455:
	s_or_b64 exec, exec, s[12:13]
	v_mov_b32_e32 v125, 0
	ds_read_b32 v125, v125 offset:44
	s_waitcnt lgkmcnt(0)
	v_mul_f32_e32 v125, v126, v125
	buffer_store_dword v125, off, s[0:3], 0 offset:44
.LBB57_456:
	s_or_b64 exec, exec, s[10:11]
	buffer_load_dword v125, off, s[0:3], 0 offset:40
	v_cmp_lt_u32_e64 s[4:5], 10, v0
	s_waitcnt vmcnt(0)
	ds_write_b32 v118, v125
	s_waitcnt lgkmcnt(0)
	; wave barrier
	s_waitcnt lgkmcnt(0)
	s_and_saveexec_b64 s[10:11], s[4:5]
	s_cbranch_execz .LBB57_466
; %bb.457:
	s_andn2_b64 vcc, exec, s[8:9]
	s_cbranch_vccnz .LBB57_459
; %bb.458:
	buffer_load_dword v125, v119, s[0:3], 0 offen
	ds_read_b32 v126, v118
	s_waitcnt vmcnt(0) lgkmcnt(0)
	v_mul_f32_e32 v125, v125, v126
	s_cbranch_execz .LBB57_460
	s_branch .LBB57_461
.LBB57_459:
                                        ; implicit-def: $vgpr125
.LBB57_460:
	ds_read_b32 v125, v118
.LBB57_461:
	s_and_saveexec_b64 s[12:13], s[6:7]
	s_cbranch_execz .LBB57_465
; %bb.462:
	v_mov_b32_e32 v126, 0
	v_add_u32_e32 v126, 44, v126
	v_add_u32_e32 v127, -11, v0
	s_movk_i32 s14, 0x11c
	s_mov_b64 s[6:7], 0
.LBB57_463:                             ; =>This Inner Loop Header: Depth=1
	buffer_load_dword v128, v126, s[0:3], 0 offen
	v_mov_b32_e32 v129, s14
	ds_read_b32 v129, v129
	v_add_u32_e32 v127, -1, v127
	s_add_i32 s14, s14, 4
	v_cmp_eq_u32_e32 vcc, 0, v127
	v_add_u32_e32 v126, 4, v126
	s_or_b64 s[6:7], vcc, s[6:7]
	s_waitcnt vmcnt(0) lgkmcnt(0)
	v_fmac_f32_e32 v125, v128, v129
	s_andn2_b64 exec, exec, s[6:7]
	s_cbranch_execnz .LBB57_463
; %bb.464:
	s_or_b64 exec, exec, s[6:7]
.LBB57_465:
	s_or_b64 exec, exec, s[12:13]
	v_mov_b32_e32 v126, 0
	ds_read_b32 v126, v126 offset:40
	s_waitcnt lgkmcnt(0)
	v_mul_f32_e32 v125, v125, v126
	buffer_store_dword v125, off, s[0:3], 0 offset:40
.LBB57_466:
	s_or_b64 exec, exec, s[10:11]
	buffer_load_dword v125, off, s[0:3], 0 offset:36
	v_cmp_lt_u32_e64 s[6:7], 9, v0
	s_waitcnt vmcnt(0)
	ds_write_b32 v118, v125
	s_waitcnt lgkmcnt(0)
	; wave barrier
	s_waitcnt lgkmcnt(0)
	s_and_saveexec_b64 s[10:11], s[6:7]
	s_cbranch_execz .LBB57_476
; %bb.467:
	s_andn2_b64 vcc, exec, s[8:9]
	s_cbranch_vccnz .LBB57_469
; %bb.468:
	buffer_load_dword v125, v119, s[0:3], 0 offen
	ds_read_b32 v126, v118
	s_waitcnt vmcnt(0) lgkmcnt(0)
	v_mul_f32_e32 v125, v125, v126
	s_cbranch_execz .LBB57_470
	s_branch .LBB57_471
.LBB57_469:
                                        ; implicit-def: $vgpr125
.LBB57_470:
	ds_read_b32 v125, v118
.LBB57_471:
	s_and_saveexec_b64 s[12:13], s[4:5]
	s_cbranch_execz .LBB57_475
; %bb.472:
	v_add_u32_e32 v126, -10, v0
	s_movk_i32 s14, 0x118
	s_mov_b64 s[4:5], 0
.LBB57_473:                             ; =>This Inner Loop Header: Depth=1
	buffer_load_dword v127, v124, s[0:3], 0 offen
	v_mov_b32_e32 v128, s14
	ds_read_b32 v128, v128
	v_add_u32_e32 v126, -1, v126
	s_add_i32 s14, s14, 4
	v_cmp_eq_u32_e32 vcc, 0, v126
	v_add_u32_e32 v124, 4, v124
	s_or_b64 s[4:5], vcc, s[4:5]
	s_waitcnt vmcnt(0) lgkmcnt(0)
	v_fmac_f32_e32 v125, v127, v128
	s_andn2_b64 exec, exec, s[4:5]
	s_cbranch_execnz .LBB57_473
; %bb.474:
	s_or_b64 exec, exec, s[4:5]
.LBB57_475:
	s_or_b64 exec, exec, s[12:13]
	v_mov_b32_e32 v124, 0
	ds_read_b32 v124, v124 offset:36
	s_waitcnt lgkmcnt(0)
	v_mul_f32_e32 v124, v125, v124
	buffer_store_dword v124, off, s[0:3], 0 offset:36
.LBB57_476:
	s_or_b64 exec, exec, s[10:11]
	buffer_load_dword v124, off, s[0:3], 0 offset:32
	v_cmp_lt_u32_e64 s[4:5], 8, v0
	s_waitcnt vmcnt(0)
	ds_write_b32 v118, v124
	s_waitcnt lgkmcnt(0)
	; wave barrier
	s_waitcnt lgkmcnt(0)
	s_and_saveexec_b64 s[10:11], s[4:5]
	s_cbranch_execz .LBB57_486
; %bb.477:
	s_andn2_b64 vcc, exec, s[8:9]
	s_cbranch_vccnz .LBB57_479
; %bb.478:
	buffer_load_dword v124, v119, s[0:3], 0 offen
	ds_read_b32 v125, v118
	s_waitcnt vmcnt(0) lgkmcnt(0)
	v_mul_f32_e32 v124, v124, v125
	s_cbranch_execz .LBB57_480
	s_branch .LBB57_481
.LBB57_479:
                                        ; implicit-def: $vgpr124
.LBB57_480:
	ds_read_b32 v124, v118
.LBB57_481:
	s_and_saveexec_b64 s[12:13], s[6:7]
	s_cbranch_execz .LBB57_485
; %bb.482:
	v_mov_b32_e32 v125, 0
	v_add_u32_e32 v125, 36, v125
	v_add_u32_e32 v126, -9, v0
	s_movk_i32 s14, 0x114
	s_mov_b64 s[6:7], 0
.LBB57_483:                             ; =>This Inner Loop Header: Depth=1
	buffer_load_dword v127, v125, s[0:3], 0 offen
	v_mov_b32_e32 v128, s14
	ds_read_b32 v128, v128
	v_add_u32_e32 v126, -1, v126
	s_add_i32 s14, s14, 4
	v_cmp_eq_u32_e32 vcc, 0, v126
	v_add_u32_e32 v125, 4, v125
	s_or_b64 s[6:7], vcc, s[6:7]
	s_waitcnt vmcnt(0) lgkmcnt(0)
	v_fmac_f32_e32 v124, v127, v128
	s_andn2_b64 exec, exec, s[6:7]
	s_cbranch_execnz .LBB57_483
; %bb.484:
	s_or_b64 exec, exec, s[6:7]
.LBB57_485:
	s_or_b64 exec, exec, s[12:13]
	v_mov_b32_e32 v125, 0
	ds_read_b32 v125, v125 offset:32
	s_waitcnt lgkmcnt(0)
	v_mul_f32_e32 v124, v124, v125
	buffer_store_dword v124, off, s[0:3], 0 offset:32
.LBB57_486:
	s_or_b64 exec, exec, s[10:11]
	buffer_load_dword v124, off, s[0:3], 0 offset:28
	v_cmp_lt_u32_e64 s[6:7], 7, v0
	s_waitcnt vmcnt(0)
	ds_write_b32 v118, v124
	s_waitcnt lgkmcnt(0)
	; wave barrier
	s_waitcnt lgkmcnt(0)
	s_and_saveexec_b64 s[10:11], s[6:7]
	s_cbranch_execz .LBB57_496
; %bb.487:
	s_andn2_b64 vcc, exec, s[8:9]
	s_cbranch_vccnz .LBB57_489
; %bb.488:
	buffer_load_dword v124, v119, s[0:3], 0 offen
	ds_read_b32 v125, v118
	s_waitcnt vmcnt(0) lgkmcnt(0)
	v_mul_f32_e32 v124, v124, v125
	s_cbranch_execz .LBB57_490
	s_branch .LBB57_491
.LBB57_489:
                                        ; implicit-def: $vgpr124
.LBB57_490:
	ds_read_b32 v124, v118
.LBB57_491:
	s_and_saveexec_b64 s[12:13], s[4:5]
	s_cbranch_execz .LBB57_495
; %bb.492:
	v_add_u32_e32 v125, -8, v0
	s_movk_i32 s14, 0x110
	s_mov_b64 s[4:5], 0
.LBB57_493:                             ; =>This Inner Loop Header: Depth=1
	buffer_load_dword v126, v123, s[0:3], 0 offen
	v_mov_b32_e32 v127, s14
	ds_read_b32 v127, v127
	v_add_u32_e32 v125, -1, v125
	s_add_i32 s14, s14, 4
	v_cmp_eq_u32_e32 vcc, 0, v125
	v_add_u32_e32 v123, 4, v123
	s_or_b64 s[4:5], vcc, s[4:5]
	s_waitcnt vmcnt(0) lgkmcnt(0)
	v_fmac_f32_e32 v124, v126, v127
	s_andn2_b64 exec, exec, s[4:5]
	s_cbranch_execnz .LBB57_493
; %bb.494:
	s_or_b64 exec, exec, s[4:5]
.LBB57_495:
	s_or_b64 exec, exec, s[12:13]
	v_mov_b32_e32 v123, 0
	ds_read_b32 v123, v123 offset:28
	s_waitcnt lgkmcnt(0)
	v_mul_f32_e32 v123, v124, v123
	buffer_store_dword v123, off, s[0:3], 0 offset:28
.LBB57_496:
	s_or_b64 exec, exec, s[10:11]
	buffer_load_dword v123, off, s[0:3], 0 offset:24
	v_cmp_lt_u32_e64 s[4:5], 6, v0
	s_waitcnt vmcnt(0)
	ds_write_b32 v118, v123
	s_waitcnt lgkmcnt(0)
	; wave barrier
	s_waitcnt lgkmcnt(0)
	s_and_saveexec_b64 s[10:11], s[4:5]
	s_cbranch_execz .LBB57_506
; %bb.497:
	s_andn2_b64 vcc, exec, s[8:9]
	s_cbranch_vccnz .LBB57_499
; %bb.498:
	buffer_load_dword v123, v119, s[0:3], 0 offen
	ds_read_b32 v124, v118
	s_waitcnt vmcnt(0) lgkmcnt(0)
	v_mul_f32_e32 v123, v123, v124
	s_cbranch_execz .LBB57_500
	s_branch .LBB57_501
.LBB57_499:
                                        ; implicit-def: $vgpr123
.LBB57_500:
	ds_read_b32 v123, v118
.LBB57_501:
	s_and_saveexec_b64 s[12:13], s[6:7]
	s_cbranch_execz .LBB57_505
; %bb.502:
	v_mov_b32_e32 v124, 0
	v_add_u32_e32 v124, 28, v124
	v_add_u32_e32 v125, -7, v0
	s_movk_i32 s14, 0x10c
	s_mov_b64 s[6:7], 0
.LBB57_503:                             ; =>This Inner Loop Header: Depth=1
	buffer_load_dword v126, v124, s[0:3], 0 offen
	v_mov_b32_e32 v127, s14
	ds_read_b32 v127, v127
	v_add_u32_e32 v125, -1, v125
	s_add_i32 s14, s14, 4
	v_cmp_eq_u32_e32 vcc, 0, v125
	v_add_u32_e32 v124, 4, v124
	s_or_b64 s[6:7], vcc, s[6:7]
	s_waitcnt vmcnt(0) lgkmcnt(0)
	v_fmac_f32_e32 v123, v126, v127
	s_andn2_b64 exec, exec, s[6:7]
	s_cbranch_execnz .LBB57_503
; %bb.504:
	s_or_b64 exec, exec, s[6:7]
.LBB57_505:
	s_or_b64 exec, exec, s[12:13]
	v_mov_b32_e32 v124, 0
	ds_read_b32 v124, v124 offset:24
	s_waitcnt lgkmcnt(0)
	v_mul_f32_e32 v123, v123, v124
	buffer_store_dword v123, off, s[0:3], 0 offset:24
.LBB57_506:
	s_or_b64 exec, exec, s[10:11]
	buffer_load_dword v123, off, s[0:3], 0 offset:20
	v_cmp_lt_u32_e64 s[6:7], 5, v0
	s_waitcnt vmcnt(0)
	ds_write_b32 v118, v123
	s_waitcnt lgkmcnt(0)
	; wave barrier
	s_waitcnt lgkmcnt(0)
	s_and_saveexec_b64 s[10:11], s[6:7]
	s_cbranch_execz .LBB57_516
; %bb.507:
	s_andn2_b64 vcc, exec, s[8:9]
	s_cbranch_vccnz .LBB57_509
; %bb.508:
	buffer_load_dword v123, v119, s[0:3], 0 offen
	ds_read_b32 v124, v118
	s_waitcnt vmcnt(0) lgkmcnt(0)
	v_mul_f32_e32 v123, v123, v124
	s_cbranch_execz .LBB57_510
	s_branch .LBB57_511
.LBB57_509:
                                        ; implicit-def: $vgpr123
.LBB57_510:
	ds_read_b32 v123, v118
.LBB57_511:
	s_and_saveexec_b64 s[12:13], s[4:5]
	s_cbranch_execz .LBB57_515
; %bb.512:
	v_add_u32_e32 v124, -6, v0
	s_movk_i32 s14, 0x108
	s_mov_b64 s[4:5], 0
.LBB57_513:                             ; =>This Inner Loop Header: Depth=1
	buffer_load_dword v125, v122, s[0:3], 0 offen
	v_mov_b32_e32 v126, s14
	ds_read_b32 v126, v126
	v_add_u32_e32 v124, -1, v124
	s_add_i32 s14, s14, 4
	v_cmp_eq_u32_e32 vcc, 0, v124
	v_add_u32_e32 v122, 4, v122
	s_or_b64 s[4:5], vcc, s[4:5]
	s_waitcnt vmcnt(0) lgkmcnt(0)
	v_fmac_f32_e32 v123, v125, v126
	s_andn2_b64 exec, exec, s[4:5]
	s_cbranch_execnz .LBB57_513
; %bb.514:
	s_or_b64 exec, exec, s[4:5]
.LBB57_515:
	s_or_b64 exec, exec, s[12:13]
	v_mov_b32_e32 v122, 0
	ds_read_b32 v122, v122 offset:20
	s_waitcnt lgkmcnt(0)
	v_mul_f32_e32 v122, v123, v122
	buffer_store_dword v122, off, s[0:3], 0 offset:20
.LBB57_516:
	s_or_b64 exec, exec, s[10:11]
	buffer_load_dword v122, off, s[0:3], 0 offset:16
	v_cmp_lt_u32_e64 s[4:5], 4, v0
	s_waitcnt vmcnt(0)
	ds_write_b32 v118, v122
	s_waitcnt lgkmcnt(0)
	; wave barrier
	s_waitcnt lgkmcnt(0)
	s_and_saveexec_b64 s[10:11], s[4:5]
	s_cbranch_execz .LBB57_526
; %bb.517:
	s_andn2_b64 vcc, exec, s[8:9]
	s_cbranch_vccnz .LBB57_519
; %bb.518:
	buffer_load_dword v122, v119, s[0:3], 0 offen
	ds_read_b32 v123, v118
	s_waitcnt vmcnt(0) lgkmcnt(0)
	v_mul_f32_e32 v122, v122, v123
	s_cbranch_execz .LBB57_520
	s_branch .LBB57_521
.LBB57_519:
                                        ; implicit-def: $vgpr122
.LBB57_520:
	ds_read_b32 v122, v118
.LBB57_521:
	s_and_saveexec_b64 s[12:13], s[6:7]
	s_cbranch_execz .LBB57_525
; %bb.522:
	v_mov_b32_e32 v123, 0
	v_add_u32_e32 v123, 20, v123
	v_add_u32_e32 v124, -5, v0
	s_movk_i32 s14, 0x104
	s_mov_b64 s[6:7], 0
.LBB57_523:                             ; =>This Inner Loop Header: Depth=1
	buffer_load_dword v125, v123, s[0:3], 0 offen
	v_mov_b32_e32 v126, s14
	ds_read_b32 v126, v126
	v_add_u32_e32 v124, -1, v124
	s_add_i32 s14, s14, 4
	v_cmp_eq_u32_e32 vcc, 0, v124
	v_add_u32_e32 v123, 4, v123
	s_or_b64 s[6:7], vcc, s[6:7]
	s_waitcnt vmcnt(0) lgkmcnt(0)
	v_fmac_f32_e32 v122, v125, v126
	s_andn2_b64 exec, exec, s[6:7]
	s_cbranch_execnz .LBB57_523
; %bb.524:
	s_or_b64 exec, exec, s[6:7]
.LBB57_525:
	s_or_b64 exec, exec, s[12:13]
	v_mov_b32_e32 v123, 0
	ds_read_b32 v123, v123 offset:16
	s_waitcnt lgkmcnt(0)
	v_mul_f32_e32 v122, v122, v123
	buffer_store_dword v122, off, s[0:3], 0 offset:16
.LBB57_526:
	s_or_b64 exec, exec, s[10:11]
	buffer_load_dword v122, off, s[0:3], 0 offset:12
	v_cmp_lt_u32_e64 s[6:7], 3, v0
	s_waitcnt vmcnt(0)
	ds_write_b32 v118, v122
	s_waitcnt lgkmcnt(0)
	; wave barrier
	s_waitcnt lgkmcnt(0)
	s_and_saveexec_b64 s[10:11], s[6:7]
	s_cbranch_execz .LBB57_536
; %bb.527:
	s_andn2_b64 vcc, exec, s[8:9]
	s_cbranch_vccnz .LBB57_529
; %bb.528:
	buffer_load_dword v122, v119, s[0:3], 0 offen
	ds_read_b32 v123, v118
	s_waitcnt vmcnt(0) lgkmcnt(0)
	v_mul_f32_e32 v122, v122, v123
	s_cbranch_execz .LBB57_530
	s_branch .LBB57_531
.LBB57_529:
                                        ; implicit-def: $vgpr122
.LBB57_530:
	ds_read_b32 v122, v118
.LBB57_531:
	s_and_saveexec_b64 s[12:13], s[4:5]
	s_cbranch_execz .LBB57_535
; %bb.532:
	v_add_u32_e32 v123, -4, v0
	s_movk_i32 s14, 0x100
	s_mov_b64 s[4:5], 0
.LBB57_533:                             ; =>This Inner Loop Header: Depth=1
	buffer_load_dword v124, v121, s[0:3], 0 offen
	v_mov_b32_e32 v125, s14
	ds_read_b32 v125, v125
	v_add_u32_e32 v123, -1, v123
	s_add_i32 s14, s14, 4
	v_cmp_eq_u32_e32 vcc, 0, v123
	v_add_u32_e32 v121, 4, v121
	s_or_b64 s[4:5], vcc, s[4:5]
	s_waitcnt vmcnt(0) lgkmcnt(0)
	v_fmac_f32_e32 v122, v124, v125
	s_andn2_b64 exec, exec, s[4:5]
	s_cbranch_execnz .LBB57_533
; %bb.534:
	s_or_b64 exec, exec, s[4:5]
.LBB57_535:
	s_or_b64 exec, exec, s[12:13]
	v_mov_b32_e32 v121, 0
	ds_read_b32 v121, v121 offset:12
	s_waitcnt lgkmcnt(0)
	v_mul_f32_e32 v121, v122, v121
	buffer_store_dword v121, off, s[0:3], 0 offset:12
.LBB57_536:
	s_or_b64 exec, exec, s[10:11]
	buffer_load_dword v121, off, s[0:3], 0 offset:8
	v_cmp_lt_u32_e64 s[4:5], 2, v0
	s_waitcnt vmcnt(0)
	ds_write_b32 v118, v121
	s_waitcnt lgkmcnt(0)
	; wave barrier
	s_waitcnt lgkmcnt(0)
	s_and_saveexec_b64 s[10:11], s[4:5]
	s_cbranch_execz .LBB57_546
; %bb.537:
	s_andn2_b64 vcc, exec, s[8:9]
	s_cbranch_vccnz .LBB57_539
; %bb.538:
	buffer_load_dword v121, v119, s[0:3], 0 offen
	ds_read_b32 v122, v118
	s_waitcnt vmcnt(0) lgkmcnt(0)
	v_mul_f32_e32 v121, v121, v122
	s_cbranch_execz .LBB57_540
	s_branch .LBB57_541
.LBB57_539:
                                        ; implicit-def: $vgpr121
.LBB57_540:
	ds_read_b32 v121, v118
.LBB57_541:
	s_and_saveexec_b64 s[12:13], s[6:7]
	s_cbranch_execz .LBB57_545
; %bb.542:
	v_mov_b32_e32 v122, 0
	v_or_b32_e32 v122, 12, v122
	v_add_u32_e32 v123, -3, v0
	s_movk_i32 s14, 0xfc
	s_mov_b64 s[6:7], 0
.LBB57_543:                             ; =>This Inner Loop Header: Depth=1
	buffer_load_dword v124, v122, s[0:3], 0 offen
	v_mov_b32_e32 v125, s14
	ds_read_b32 v125, v125
	v_add_u32_e32 v123, -1, v123
	s_add_i32 s14, s14, 4
	v_cmp_eq_u32_e32 vcc, 0, v123
	v_add_u32_e32 v122, 4, v122
	s_or_b64 s[6:7], vcc, s[6:7]
	s_waitcnt vmcnt(0) lgkmcnt(0)
	v_fmac_f32_e32 v121, v124, v125
	s_andn2_b64 exec, exec, s[6:7]
	s_cbranch_execnz .LBB57_543
; %bb.544:
	s_or_b64 exec, exec, s[6:7]
.LBB57_545:
	s_or_b64 exec, exec, s[12:13]
	v_mov_b32_e32 v122, 0
	ds_read_b32 v122, v122 offset:8
	s_waitcnt lgkmcnt(0)
	v_mul_f32_e32 v121, v121, v122
	buffer_store_dword v121, off, s[0:3], 0 offset:8
.LBB57_546:
	s_or_b64 exec, exec, s[10:11]
	buffer_load_dword v121, off, s[0:3], 0 offset:4
	v_cmp_lt_u32_e64 s[6:7], 1, v0
	s_waitcnt vmcnt(0)
	ds_write_b32 v118, v121
	s_waitcnt lgkmcnt(0)
	; wave barrier
	s_waitcnt lgkmcnt(0)
	s_and_saveexec_b64 s[10:11], s[6:7]
	s_cbranch_execz .LBB57_556
; %bb.547:
	s_andn2_b64 vcc, exec, s[8:9]
	s_cbranch_vccnz .LBB57_549
; %bb.548:
	buffer_load_dword v121, v119, s[0:3], 0 offen
	ds_read_b32 v122, v118
	s_waitcnt vmcnt(0) lgkmcnt(0)
	v_mul_f32_e32 v121, v121, v122
	s_cbranch_execz .LBB57_550
	s_branch .LBB57_551
.LBB57_549:
                                        ; implicit-def: $vgpr121
.LBB57_550:
	ds_read_b32 v121, v118
.LBB57_551:
	s_and_saveexec_b64 s[12:13], s[4:5]
	s_cbranch_execz .LBB57_555
; %bb.552:
	v_add_u32_e32 v122, -2, v0
	s_movk_i32 s14, 0xf8
	s_mov_b64 s[4:5], 0
.LBB57_553:                             ; =>This Inner Loop Header: Depth=1
	buffer_load_dword v123, v120, s[0:3], 0 offen
	v_mov_b32_e32 v124, s14
	ds_read_b32 v124, v124
	v_add_u32_e32 v122, -1, v122
	s_add_i32 s14, s14, 4
	v_cmp_eq_u32_e32 vcc, 0, v122
	v_add_u32_e32 v120, 4, v120
	s_or_b64 s[4:5], vcc, s[4:5]
	s_waitcnt vmcnt(0) lgkmcnt(0)
	v_fmac_f32_e32 v121, v123, v124
	s_andn2_b64 exec, exec, s[4:5]
	s_cbranch_execnz .LBB57_553
; %bb.554:
	s_or_b64 exec, exec, s[4:5]
.LBB57_555:
	s_or_b64 exec, exec, s[12:13]
	v_mov_b32_e32 v120, 0
	ds_read_b32 v120, v120 offset:4
	s_waitcnt lgkmcnt(0)
	v_mul_f32_e32 v120, v121, v120
	buffer_store_dword v120, off, s[0:3], 0 offset:4
.LBB57_556:
	s_or_b64 exec, exec, s[10:11]
	buffer_load_dword v120, off, s[0:3], 0
	v_cmp_ne_u32_e32 vcc, 0, v0
	s_waitcnt vmcnt(0)
	ds_write_b32 v118, v120
	s_waitcnt lgkmcnt(0)
	; wave barrier
	s_waitcnt lgkmcnt(0)
	s_and_saveexec_b64 s[4:5], vcc
	s_cbranch_execz .LBB57_566
; %bb.557:
	s_andn2_b64 vcc, exec, s[8:9]
	s_cbranch_vccnz .LBB57_559
; %bb.558:
	buffer_load_dword v120, v119, s[0:3], 0 offen
	ds_read_b32 v121, v118
	s_waitcnt vmcnt(0) lgkmcnt(0)
	v_mul_f32_e32 v120, v120, v121
	s_cbranch_execz .LBB57_560
	s_branch .LBB57_561
.LBB57_559:
                                        ; implicit-def: $vgpr120
.LBB57_560:
	ds_read_b32 v120, v118
.LBB57_561:
	s_and_saveexec_b64 s[10:11], s[6:7]
	s_cbranch_execz .LBB57_565
; %bb.562:
	v_mov_b32_e32 v121, 0
	v_or_b32_e32 v121, 4, v121
	v_add_u32_e32 v122, -1, v0
	s_movk_i32 s12, 0xf4
	s_mov_b64 s[6:7], 0
.LBB57_563:                             ; =>This Inner Loop Header: Depth=1
	buffer_load_dword v123, v121, s[0:3], 0 offen
	v_mov_b32_e32 v124, s12
	ds_read_b32 v124, v124
	v_add_u32_e32 v122, -1, v122
	s_add_i32 s12, s12, 4
	v_cmp_eq_u32_e32 vcc, 0, v122
	v_add_u32_e32 v121, 4, v121
	s_or_b64 s[6:7], vcc, s[6:7]
	s_waitcnt vmcnt(0) lgkmcnt(0)
	v_fmac_f32_e32 v120, v123, v124
	s_andn2_b64 exec, exec, s[6:7]
	s_cbranch_execnz .LBB57_563
; %bb.564:
	s_or_b64 exec, exec, s[6:7]
.LBB57_565:
	s_or_b64 exec, exec, s[10:11]
	v_mov_b32_e32 v121, 0
	ds_read_b32 v121, v121
	s_waitcnt lgkmcnt(0)
	v_mul_f32_e32 v120, v120, v121
	buffer_store_dword v120, off, s[0:3], 0
.LBB57_566:
	s_or_b64 exec, exec, s[4:5]
	s_mov_b64 s[4:5], 0
.LBB57_567:
	s_and_b64 vcc, exec, s[4:5]
	s_cbranch_vccz .LBB57_1131
; %bb.568:
	buffer_load_dword v120, off, s[0:3], 0 offset:4
	v_cmp_eq_u32_e64 s[6:7], 0, v0
	s_waitcnt vmcnt(0)
	ds_write_b32 v118, v120
	s_waitcnt lgkmcnt(0)
	; wave barrier
	s_waitcnt lgkmcnt(0)
	s_and_saveexec_b64 s[4:5], s[6:7]
	s_cbranch_execz .LBB57_574
; %bb.569:
	s_and_b64 vcc, exec, s[8:9]
	s_cbranch_vccz .LBB57_571
; %bb.570:
	buffer_load_dword v120, v119, s[0:3], 0 offen
	ds_read_b32 v121, v118
	s_waitcnt vmcnt(0) lgkmcnt(0)
	v_mul_f32_e32 v120, v120, v121
	s_cbranch_execz .LBB57_572
	s_branch .LBB57_573
.LBB57_571:
                                        ; implicit-def: $vgpr120
.LBB57_572:
	ds_read_b32 v120, v118
.LBB57_573:
	v_mov_b32_e32 v121, 0
	ds_read_b32 v121, v121 offset:4
	s_waitcnt lgkmcnt(0)
	v_mul_f32_e32 v120, v120, v121
	buffer_store_dword v120, off, s[0:3], 0 offset:4
.LBB57_574:
	s_or_b64 exec, exec, s[4:5]
	buffer_load_dword v120, off, s[0:3], 0 offset:8
	v_cndmask_b32_e64 v121, 0, 1, s[8:9]
	v_cmp_gt_u32_e32 vcc, 2, v0
	v_cmp_ne_u32_e64 s[4:5], 1, v121
	s_waitcnt vmcnt(0)
	ds_write_b32 v118, v120
	s_waitcnt lgkmcnt(0)
	; wave barrier
	s_waitcnt lgkmcnt(0)
	s_and_saveexec_b64 s[8:9], vcc
	s_cbranch_execz .LBB57_582
; %bb.575:
	s_and_b64 vcc, exec, s[4:5]
	s_cbranch_vccnz .LBB57_577
; %bb.576:
	buffer_load_dword v120, v119, s[0:3], 0 offen
	ds_read_b32 v121, v118
	s_waitcnt vmcnt(0) lgkmcnt(0)
	v_mul_f32_e32 v120, v120, v121
	s_cbranch_execz .LBB57_578
	s_branch .LBB57_579
.LBB57_577:
                                        ; implicit-def: $vgpr120
.LBB57_578:
	ds_read_b32 v120, v118
.LBB57_579:
	s_and_saveexec_b64 s[10:11], s[6:7]
	s_cbranch_execz .LBB57_581
; %bb.580:
	buffer_load_dword v121, v119, s[0:3], 0 offen offset:4
	ds_read_b32 v122, v118 offset:4
	s_waitcnt vmcnt(0) lgkmcnt(0)
	v_fmac_f32_e32 v120, v121, v122
.LBB57_581:
	s_or_b64 exec, exec, s[10:11]
	v_mov_b32_e32 v121, 0
	ds_read_b32 v121, v121 offset:8
	s_waitcnt lgkmcnt(0)
	v_mul_f32_e32 v120, v120, v121
	buffer_store_dword v120, off, s[0:3], 0 offset:8
.LBB57_582:
	s_or_b64 exec, exec, s[8:9]
	buffer_load_dword v120, off, s[0:3], 0 offset:12
	v_cmp_gt_u32_e32 vcc, 3, v0
	s_waitcnt vmcnt(0)
	ds_write_b32 v118, v120
	s_waitcnt lgkmcnt(0)
	; wave barrier
	s_waitcnt lgkmcnt(0)
	s_and_saveexec_b64 s[8:9], vcc
	s_cbranch_execz .LBB57_590
; %bb.583:
	s_and_b64 vcc, exec, s[4:5]
	s_cbranch_vccnz .LBB57_585
; %bb.584:
	buffer_load_dword v120, v119, s[0:3], 0 offen
	ds_read_b32 v121, v118
	s_waitcnt vmcnt(0) lgkmcnt(0)
	v_mul_f32_e32 v120, v120, v121
	s_cbranch_execz .LBB57_586
	s_branch .LBB57_587
.LBB57_585:
                                        ; implicit-def: $vgpr120
.LBB57_586:
	ds_read_b32 v120, v118
.LBB57_587:
	v_cmp_ne_u32_e32 vcc, 2, v0
	s_and_saveexec_b64 s[10:11], vcc
	s_cbranch_execz .LBB57_589
; %bb.588:
	buffer_load_dword v121, v119, s[0:3], 0 offen offset:4
	buffer_load_dword v122, off, s[0:3], 0 offset:8
	v_mov_b32_e32 v123, 0
	ds_read_b32 v124, v118 offset:4
	ds_read_b32 v123, v123 offset:248
	s_waitcnt vmcnt(1) lgkmcnt(1)
	v_fmac_f32_e32 v120, v121, v124
	s_waitcnt vmcnt(0) lgkmcnt(0)
	v_fma_f32 v121, v122, v123, v120
	v_cndmask_b32_e64 v120, v120, v121, s[6:7]
.LBB57_589:
	s_or_b64 exec, exec, s[10:11]
	v_mov_b32_e32 v121, 0
	ds_read_b32 v121, v121 offset:12
	s_waitcnt lgkmcnt(0)
	v_mul_f32_e32 v120, v120, v121
	buffer_store_dword v120, off, s[0:3], 0 offset:12
.LBB57_590:
	s_or_b64 exec, exec, s[8:9]
	buffer_load_dword v120, off, s[0:3], 0 offset:16
	v_cmp_gt_u32_e32 vcc, 4, v0
	s_waitcnt vmcnt(0)
	ds_write_b32 v118, v120
	s_waitcnt lgkmcnt(0)
	; wave barrier
	s_waitcnt lgkmcnt(0)
	s_and_saveexec_b64 s[6:7], vcc
	s_cbranch_execz .LBB57_600
; %bb.591:
	s_and_b64 vcc, exec, s[4:5]
	s_cbranch_vccnz .LBB57_593
; %bb.592:
	buffer_load_dword v120, v119, s[0:3], 0 offen
	ds_read_b32 v121, v118
	s_waitcnt vmcnt(0) lgkmcnt(0)
	v_mul_f32_e32 v120, v120, v121
	s_cbranch_execz .LBB57_594
	s_branch .LBB57_595
.LBB57_593:
                                        ; implicit-def: $vgpr120
.LBB57_594:
	ds_read_b32 v120, v118
.LBB57_595:
	v_cmp_ne_u32_e32 vcc, 3, v0
	s_and_saveexec_b64 s[8:9], vcc
	s_cbranch_execz .LBB57_599
; %bb.596:
	v_mov_b32_e32 v122, 0
	v_add_u32_e32 v121, 0xf4, v1
	v_add3_u32 v122, v1, v122, 4
	s_mov_b64 s[10:11], 0
	v_mov_b32_e32 v123, v0
.LBB57_597:                             ; =>This Inner Loop Header: Depth=1
	buffer_load_dword v124, v122, s[0:3], 0 offen
	ds_read_b32 v125, v121
	v_add_u32_e32 v123, 1, v123
	v_cmp_lt_u32_e32 vcc, 2, v123
	v_add_u32_e32 v121, 4, v121
	v_add_u32_e32 v122, 4, v122
	s_or_b64 s[10:11], vcc, s[10:11]
	s_waitcnt vmcnt(0) lgkmcnt(0)
	v_fmac_f32_e32 v120, v124, v125
	s_andn2_b64 exec, exec, s[10:11]
	s_cbranch_execnz .LBB57_597
; %bb.598:
	s_or_b64 exec, exec, s[10:11]
.LBB57_599:
	s_or_b64 exec, exec, s[8:9]
	v_mov_b32_e32 v121, 0
	ds_read_b32 v121, v121 offset:16
	s_waitcnt lgkmcnt(0)
	v_mul_f32_e32 v120, v120, v121
	buffer_store_dword v120, off, s[0:3], 0 offset:16
.LBB57_600:
	s_or_b64 exec, exec, s[6:7]
	buffer_load_dword v120, off, s[0:3], 0 offset:20
	v_cmp_gt_u32_e32 vcc, 5, v0
	s_waitcnt vmcnt(0)
	ds_write_b32 v118, v120
	s_waitcnt lgkmcnt(0)
	; wave barrier
	s_waitcnt lgkmcnt(0)
	s_and_saveexec_b64 s[6:7], vcc
	s_cbranch_execz .LBB57_610
; %bb.601:
	s_and_b64 vcc, exec, s[4:5]
	s_cbranch_vccnz .LBB57_603
; %bb.602:
	buffer_load_dword v120, v119, s[0:3], 0 offen
	ds_read_b32 v121, v118
	s_waitcnt vmcnt(0) lgkmcnt(0)
	v_mul_f32_e32 v120, v120, v121
	s_cbranch_execz .LBB57_604
	s_branch .LBB57_605
.LBB57_603:
                                        ; implicit-def: $vgpr120
.LBB57_604:
	ds_read_b32 v120, v118
.LBB57_605:
	v_cmp_ne_u32_e32 vcc, 4, v0
	s_and_saveexec_b64 s[8:9], vcc
	s_cbranch_execz .LBB57_609
; %bb.606:
	v_mov_b32_e32 v122, 0
	v_add_u32_e32 v121, 0xf4, v1
	v_add3_u32 v122, v1, v122, 4
	s_mov_b64 s[10:11], 0
	v_mov_b32_e32 v123, v0
.LBB57_607:                             ; =>This Inner Loop Header: Depth=1
	buffer_load_dword v124, v122, s[0:3], 0 offen
	ds_read_b32 v125, v121
	v_add_u32_e32 v123, 1, v123
	v_cmp_lt_u32_e32 vcc, 3, v123
	v_add_u32_e32 v121, 4, v121
	v_add_u32_e32 v122, 4, v122
	s_or_b64 s[10:11], vcc, s[10:11]
	s_waitcnt vmcnt(0) lgkmcnt(0)
	v_fmac_f32_e32 v120, v124, v125
	s_andn2_b64 exec, exec, s[10:11]
	s_cbranch_execnz .LBB57_607
; %bb.608:
	s_or_b64 exec, exec, s[10:11]
.LBB57_609:
	s_or_b64 exec, exec, s[8:9]
	v_mov_b32_e32 v121, 0
	ds_read_b32 v121, v121 offset:20
	s_waitcnt lgkmcnt(0)
	v_mul_f32_e32 v120, v120, v121
	buffer_store_dword v120, off, s[0:3], 0 offset:20
.LBB57_610:
	;; [unrolled: 56-line block ×41, first 2 shown]
	s_or_b64 exec, exec, s[6:7]
	buffer_load_dword v120, off, s[0:3], 0 offset:180
	v_cmp_gt_u32_e32 vcc, 45, v0
	s_waitcnt vmcnt(0)
	ds_write_b32 v118, v120
	s_waitcnt lgkmcnt(0)
	; wave barrier
	s_waitcnt lgkmcnt(0)
	s_and_saveexec_b64 s[6:7], vcc
	s_cbranch_execz .LBB57_1010
; %bb.1001:
	s_and_b64 vcc, exec, s[4:5]
	s_cbranch_vccnz .LBB57_1003
; %bb.1002:
	buffer_load_dword v120, v119, s[0:3], 0 offen
	ds_read_b32 v121, v118
	s_waitcnt vmcnt(0) lgkmcnt(0)
	v_mul_f32_e32 v120, v120, v121
	s_cbranch_execz .LBB57_1004
	s_branch .LBB57_1005
.LBB57_1003:
                                        ; implicit-def: $vgpr120
.LBB57_1004:
	ds_read_b32 v120, v118
.LBB57_1005:
	v_cmp_ne_u32_e32 vcc, 44, v0
	s_and_saveexec_b64 s[8:9], vcc
	s_cbranch_execz .LBB57_1009
; %bb.1006:
	v_mov_b32_e32 v122, 0
	v_add_u32_e32 v121, 0xf4, v1
	v_add3_u32 v122, v1, v122, 4
	s_mov_b64 s[10:11], 0
	v_mov_b32_e32 v123, v0
.LBB57_1007:                            ; =>This Inner Loop Header: Depth=1
	buffer_load_dword v124, v122, s[0:3], 0 offen
	ds_read_b32 v125, v121
	v_add_u32_e32 v123, 1, v123
	v_cmp_lt_u32_e32 vcc, 43, v123
	v_add_u32_e32 v121, 4, v121
	v_add_u32_e32 v122, 4, v122
	s_or_b64 s[10:11], vcc, s[10:11]
	s_waitcnt vmcnt(0) lgkmcnt(0)
	v_fmac_f32_e32 v120, v124, v125
	s_andn2_b64 exec, exec, s[10:11]
	s_cbranch_execnz .LBB57_1007
; %bb.1008:
	s_or_b64 exec, exec, s[10:11]
.LBB57_1009:
	s_or_b64 exec, exec, s[8:9]
	v_mov_b32_e32 v121, 0
	ds_read_b32 v121, v121 offset:180
	s_waitcnt lgkmcnt(0)
	v_mul_f32_e32 v120, v120, v121
	buffer_store_dword v120, off, s[0:3], 0 offset:180
.LBB57_1010:
	s_or_b64 exec, exec, s[6:7]
	buffer_load_dword v120, off, s[0:3], 0 offset:184
	v_cmp_gt_u32_e32 vcc, 46, v0
	s_waitcnt vmcnt(0)
	ds_write_b32 v118, v120
	s_waitcnt lgkmcnt(0)
	; wave barrier
	s_waitcnt lgkmcnt(0)
	s_and_saveexec_b64 s[6:7], vcc
	s_cbranch_execz .LBB57_1020
; %bb.1011:
	s_and_b64 vcc, exec, s[4:5]
	s_cbranch_vccnz .LBB57_1013
; %bb.1012:
	buffer_load_dword v120, v119, s[0:3], 0 offen
	ds_read_b32 v121, v118
	s_waitcnt vmcnt(0) lgkmcnt(0)
	v_mul_f32_e32 v120, v120, v121
	s_cbranch_execz .LBB57_1014
	s_branch .LBB57_1015
.LBB57_1013:
                                        ; implicit-def: $vgpr120
.LBB57_1014:
	ds_read_b32 v120, v118
.LBB57_1015:
	v_cmp_ne_u32_e32 vcc, 45, v0
	s_and_saveexec_b64 s[8:9], vcc
	s_cbranch_execz .LBB57_1019
; %bb.1016:
	v_mov_b32_e32 v122, 0
	v_add_u32_e32 v121, 0xf4, v1
	v_add3_u32 v122, v1, v122, 4
	s_mov_b64 s[10:11], 0
	v_mov_b32_e32 v123, v0
.LBB57_1017:                            ; =>This Inner Loop Header: Depth=1
	buffer_load_dword v124, v122, s[0:3], 0 offen
	ds_read_b32 v125, v121
	v_add_u32_e32 v123, 1, v123
	v_cmp_lt_u32_e32 vcc, 44, v123
	v_add_u32_e32 v121, 4, v121
	v_add_u32_e32 v122, 4, v122
	s_or_b64 s[10:11], vcc, s[10:11]
	s_waitcnt vmcnt(0) lgkmcnt(0)
	v_fmac_f32_e32 v120, v124, v125
	s_andn2_b64 exec, exec, s[10:11]
	s_cbranch_execnz .LBB57_1017
; %bb.1018:
	s_or_b64 exec, exec, s[10:11]
.LBB57_1019:
	s_or_b64 exec, exec, s[8:9]
	v_mov_b32_e32 v121, 0
	ds_read_b32 v121, v121 offset:184
	s_waitcnt lgkmcnt(0)
	v_mul_f32_e32 v120, v120, v121
	buffer_store_dword v120, off, s[0:3], 0 offset:184
.LBB57_1020:
	s_or_b64 exec, exec, s[6:7]
	buffer_load_dword v120, off, s[0:3], 0 offset:188
	v_cmp_gt_u32_e32 vcc, 47, v0
	s_waitcnt vmcnt(0)
	ds_write_b32 v118, v120
	s_waitcnt lgkmcnt(0)
	; wave barrier
	s_waitcnt lgkmcnt(0)
	s_and_saveexec_b64 s[6:7], vcc
	s_cbranch_execz .LBB57_1030
; %bb.1021:
	s_and_b64 vcc, exec, s[4:5]
	s_cbranch_vccnz .LBB57_1023
; %bb.1022:
	buffer_load_dword v120, v119, s[0:3], 0 offen
	ds_read_b32 v121, v118
	s_waitcnt vmcnt(0) lgkmcnt(0)
	v_mul_f32_e32 v120, v120, v121
	s_cbranch_execz .LBB57_1024
	s_branch .LBB57_1025
.LBB57_1023:
                                        ; implicit-def: $vgpr120
.LBB57_1024:
	ds_read_b32 v120, v118
.LBB57_1025:
	v_cmp_ne_u32_e32 vcc, 46, v0
	s_and_saveexec_b64 s[8:9], vcc
	s_cbranch_execz .LBB57_1029
; %bb.1026:
	v_mov_b32_e32 v122, 0
	v_add_u32_e32 v121, 0xf4, v1
	v_add3_u32 v122, v1, v122, 4
	s_mov_b64 s[10:11], 0
	v_mov_b32_e32 v123, v0
.LBB57_1027:                            ; =>This Inner Loop Header: Depth=1
	buffer_load_dword v124, v122, s[0:3], 0 offen
	ds_read_b32 v125, v121
	v_add_u32_e32 v123, 1, v123
	v_cmp_lt_u32_e32 vcc, 45, v123
	v_add_u32_e32 v121, 4, v121
	v_add_u32_e32 v122, 4, v122
	s_or_b64 s[10:11], vcc, s[10:11]
	s_waitcnt vmcnt(0) lgkmcnt(0)
	v_fmac_f32_e32 v120, v124, v125
	s_andn2_b64 exec, exec, s[10:11]
	s_cbranch_execnz .LBB57_1027
; %bb.1028:
	s_or_b64 exec, exec, s[10:11]
.LBB57_1029:
	s_or_b64 exec, exec, s[8:9]
	v_mov_b32_e32 v121, 0
	ds_read_b32 v121, v121 offset:188
	s_waitcnt lgkmcnt(0)
	v_mul_f32_e32 v120, v120, v121
	buffer_store_dword v120, off, s[0:3], 0 offset:188
.LBB57_1030:
	s_or_b64 exec, exec, s[6:7]
	buffer_load_dword v120, off, s[0:3], 0 offset:192
	v_cmp_gt_u32_e32 vcc, 48, v0
	s_waitcnt vmcnt(0)
	ds_write_b32 v118, v120
	s_waitcnt lgkmcnt(0)
	; wave barrier
	s_waitcnt lgkmcnt(0)
	s_and_saveexec_b64 s[6:7], vcc
	s_cbranch_execz .LBB57_1040
; %bb.1031:
	s_and_b64 vcc, exec, s[4:5]
	s_cbranch_vccnz .LBB57_1033
; %bb.1032:
	buffer_load_dword v120, v119, s[0:3], 0 offen
	ds_read_b32 v121, v118
	s_waitcnt vmcnt(0) lgkmcnt(0)
	v_mul_f32_e32 v120, v120, v121
	s_cbranch_execz .LBB57_1034
	s_branch .LBB57_1035
.LBB57_1033:
                                        ; implicit-def: $vgpr120
.LBB57_1034:
	ds_read_b32 v120, v118
.LBB57_1035:
	v_cmp_ne_u32_e32 vcc, 47, v0
	s_and_saveexec_b64 s[8:9], vcc
	s_cbranch_execz .LBB57_1039
; %bb.1036:
	v_mov_b32_e32 v122, 0
	v_add_u32_e32 v121, 0xf4, v1
	v_add3_u32 v122, v1, v122, 4
	s_mov_b64 s[10:11], 0
	v_mov_b32_e32 v123, v0
.LBB57_1037:                            ; =>This Inner Loop Header: Depth=1
	buffer_load_dword v124, v122, s[0:3], 0 offen
	ds_read_b32 v125, v121
	v_add_u32_e32 v123, 1, v123
	v_cmp_lt_u32_e32 vcc, 46, v123
	v_add_u32_e32 v121, 4, v121
	v_add_u32_e32 v122, 4, v122
	s_or_b64 s[10:11], vcc, s[10:11]
	s_waitcnt vmcnt(0) lgkmcnt(0)
	v_fmac_f32_e32 v120, v124, v125
	s_andn2_b64 exec, exec, s[10:11]
	s_cbranch_execnz .LBB57_1037
; %bb.1038:
	s_or_b64 exec, exec, s[10:11]
.LBB57_1039:
	s_or_b64 exec, exec, s[8:9]
	v_mov_b32_e32 v121, 0
	ds_read_b32 v121, v121 offset:192
	s_waitcnt lgkmcnt(0)
	v_mul_f32_e32 v120, v120, v121
	buffer_store_dword v120, off, s[0:3], 0 offset:192
.LBB57_1040:
	s_or_b64 exec, exec, s[6:7]
	buffer_load_dword v120, off, s[0:3], 0 offset:196
	v_cmp_gt_u32_e32 vcc, 49, v0
	s_waitcnt vmcnt(0)
	ds_write_b32 v118, v120
	s_waitcnt lgkmcnt(0)
	; wave barrier
	s_waitcnt lgkmcnt(0)
	s_and_saveexec_b64 s[6:7], vcc
	s_cbranch_execz .LBB57_1050
; %bb.1041:
	s_and_b64 vcc, exec, s[4:5]
	s_cbranch_vccnz .LBB57_1043
; %bb.1042:
	buffer_load_dword v120, v119, s[0:3], 0 offen
	ds_read_b32 v121, v118
	s_waitcnt vmcnt(0) lgkmcnt(0)
	v_mul_f32_e32 v120, v120, v121
	s_cbranch_execz .LBB57_1044
	s_branch .LBB57_1045
.LBB57_1043:
                                        ; implicit-def: $vgpr120
.LBB57_1044:
	ds_read_b32 v120, v118
.LBB57_1045:
	v_cmp_ne_u32_e32 vcc, 48, v0
	s_and_saveexec_b64 s[8:9], vcc
	s_cbranch_execz .LBB57_1049
; %bb.1046:
	v_mov_b32_e32 v122, 0
	v_add_u32_e32 v121, 0xf4, v1
	v_add3_u32 v122, v1, v122, 4
	s_mov_b64 s[10:11], 0
	v_mov_b32_e32 v123, v0
.LBB57_1047:                            ; =>This Inner Loop Header: Depth=1
	buffer_load_dword v124, v122, s[0:3], 0 offen
	ds_read_b32 v125, v121
	v_add_u32_e32 v123, 1, v123
	v_cmp_lt_u32_e32 vcc, 47, v123
	v_add_u32_e32 v121, 4, v121
	v_add_u32_e32 v122, 4, v122
	s_or_b64 s[10:11], vcc, s[10:11]
	s_waitcnt vmcnt(0) lgkmcnt(0)
	v_fmac_f32_e32 v120, v124, v125
	s_andn2_b64 exec, exec, s[10:11]
	s_cbranch_execnz .LBB57_1047
; %bb.1048:
	s_or_b64 exec, exec, s[10:11]
.LBB57_1049:
	s_or_b64 exec, exec, s[8:9]
	v_mov_b32_e32 v121, 0
	ds_read_b32 v121, v121 offset:196
	s_waitcnt lgkmcnt(0)
	v_mul_f32_e32 v120, v120, v121
	buffer_store_dword v120, off, s[0:3], 0 offset:196
.LBB57_1050:
	s_or_b64 exec, exec, s[6:7]
	buffer_load_dword v120, off, s[0:3], 0 offset:200
	v_cmp_gt_u32_e32 vcc, 50, v0
	s_waitcnt vmcnt(0)
	ds_write_b32 v118, v120
	s_waitcnt lgkmcnt(0)
	; wave barrier
	s_waitcnt lgkmcnt(0)
	s_and_saveexec_b64 s[6:7], vcc
	s_cbranch_execz .LBB57_1060
; %bb.1051:
	s_and_b64 vcc, exec, s[4:5]
	s_cbranch_vccnz .LBB57_1053
; %bb.1052:
	buffer_load_dword v120, v119, s[0:3], 0 offen
	ds_read_b32 v121, v118
	s_waitcnt vmcnt(0) lgkmcnt(0)
	v_mul_f32_e32 v120, v120, v121
	s_cbranch_execz .LBB57_1054
	s_branch .LBB57_1055
.LBB57_1053:
                                        ; implicit-def: $vgpr120
.LBB57_1054:
	ds_read_b32 v120, v118
.LBB57_1055:
	v_cmp_ne_u32_e32 vcc, 49, v0
	s_and_saveexec_b64 s[8:9], vcc
	s_cbranch_execz .LBB57_1059
; %bb.1056:
	v_mov_b32_e32 v122, 0
	v_add_u32_e32 v121, 0xf4, v1
	v_add3_u32 v122, v1, v122, 4
	s_mov_b64 s[10:11], 0
	v_mov_b32_e32 v123, v0
.LBB57_1057:                            ; =>This Inner Loop Header: Depth=1
	buffer_load_dword v124, v122, s[0:3], 0 offen
	ds_read_b32 v125, v121
	v_add_u32_e32 v123, 1, v123
	v_cmp_lt_u32_e32 vcc, 48, v123
	v_add_u32_e32 v121, 4, v121
	v_add_u32_e32 v122, 4, v122
	s_or_b64 s[10:11], vcc, s[10:11]
	s_waitcnt vmcnt(0) lgkmcnt(0)
	v_fmac_f32_e32 v120, v124, v125
	s_andn2_b64 exec, exec, s[10:11]
	s_cbranch_execnz .LBB57_1057
; %bb.1058:
	s_or_b64 exec, exec, s[10:11]
.LBB57_1059:
	s_or_b64 exec, exec, s[8:9]
	v_mov_b32_e32 v121, 0
	ds_read_b32 v121, v121 offset:200
	s_waitcnt lgkmcnt(0)
	v_mul_f32_e32 v120, v120, v121
	buffer_store_dword v120, off, s[0:3], 0 offset:200
.LBB57_1060:
	s_or_b64 exec, exec, s[6:7]
	buffer_load_dword v120, off, s[0:3], 0 offset:204
	v_cmp_gt_u32_e32 vcc, 51, v0
	s_waitcnt vmcnt(0)
	ds_write_b32 v118, v120
	s_waitcnt lgkmcnt(0)
	; wave barrier
	s_waitcnt lgkmcnt(0)
	s_and_saveexec_b64 s[6:7], vcc
	s_cbranch_execz .LBB57_1070
; %bb.1061:
	s_and_b64 vcc, exec, s[4:5]
	s_cbranch_vccnz .LBB57_1063
; %bb.1062:
	buffer_load_dword v120, v119, s[0:3], 0 offen
	ds_read_b32 v121, v118
	s_waitcnt vmcnt(0) lgkmcnt(0)
	v_mul_f32_e32 v120, v120, v121
	s_cbranch_execz .LBB57_1064
	s_branch .LBB57_1065
.LBB57_1063:
                                        ; implicit-def: $vgpr120
.LBB57_1064:
	ds_read_b32 v120, v118
.LBB57_1065:
	v_cmp_ne_u32_e32 vcc, 50, v0
	s_and_saveexec_b64 s[8:9], vcc
	s_cbranch_execz .LBB57_1069
; %bb.1066:
	v_mov_b32_e32 v122, 0
	v_add_u32_e32 v121, 0xf4, v1
	v_add3_u32 v122, v1, v122, 4
	s_mov_b64 s[10:11], 0
	v_mov_b32_e32 v123, v0
.LBB57_1067:                            ; =>This Inner Loop Header: Depth=1
	buffer_load_dword v124, v122, s[0:3], 0 offen
	ds_read_b32 v125, v121
	v_add_u32_e32 v123, 1, v123
	v_cmp_lt_u32_e32 vcc, 49, v123
	v_add_u32_e32 v121, 4, v121
	v_add_u32_e32 v122, 4, v122
	s_or_b64 s[10:11], vcc, s[10:11]
	s_waitcnt vmcnt(0) lgkmcnt(0)
	v_fmac_f32_e32 v120, v124, v125
	s_andn2_b64 exec, exec, s[10:11]
	s_cbranch_execnz .LBB57_1067
; %bb.1068:
	s_or_b64 exec, exec, s[10:11]
.LBB57_1069:
	s_or_b64 exec, exec, s[8:9]
	v_mov_b32_e32 v121, 0
	ds_read_b32 v121, v121 offset:204
	s_waitcnt lgkmcnt(0)
	v_mul_f32_e32 v120, v120, v121
	buffer_store_dword v120, off, s[0:3], 0 offset:204
.LBB57_1070:
	s_or_b64 exec, exec, s[6:7]
	buffer_load_dword v120, off, s[0:3], 0 offset:208
	v_cmp_gt_u32_e32 vcc, 52, v0
	s_waitcnt vmcnt(0)
	ds_write_b32 v118, v120
	s_waitcnt lgkmcnt(0)
	; wave barrier
	s_waitcnt lgkmcnt(0)
	s_and_saveexec_b64 s[6:7], vcc
	s_cbranch_execz .LBB57_1080
; %bb.1071:
	s_and_b64 vcc, exec, s[4:5]
	s_cbranch_vccnz .LBB57_1073
; %bb.1072:
	buffer_load_dword v120, v119, s[0:3], 0 offen
	ds_read_b32 v121, v118
	s_waitcnt vmcnt(0) lgkmcnt(0)
	v_mul_f32_e32 v120, v120, v121
	s_cbranch_execz .LBB57_1074
	s_branch .LBB57_1075
.LBB57_1073:
                                        ; implicit-def: $vgpr120
.LBB57_1074:
	ds_read_b32 v120, v118
.LBB57_1075:
	v_cmp_ne_u32_e32 vcc, 51, v0
	s_and_saveexec_b64 s[8:9], vcc
	s_cbranch_execz .LBB57_1079
; %bb.1076:
	v_mov_b32_e32 v122, 0
	v_add_u32_e32 v121, 0xf4, v1
	v_add3_u32 v122, v1, v122, 4
	s_mov_b64 s[10:11], 0
	v_mov_b32_e32 v123, v0
.LBB57_1077:                            ; =>This Inner Loop Header: Depth=1
	buffer_load_dword v124, v122, s[0:3], 0 offen
	ds_read_b32 v125, v121
	v_add_u32_e32 v123, 1, v123
	v_cmp_lt_u32_e32 vcc, 50, v123
	v_add_u32_e32 v121, 4, v121
	v_add_u32_e32 v122, 4, v122
	s_or_b64 s[10:11], vcc, s[10:11]
	s_waitcnt vmcnt(0) lgkmcnt(0)
	v_fmac_f32_e32 v120, v124, v125
	s_andn2_b64 exec, exec, s[10:11]
	s_cbranch_execnz .LBB57_1077
; %bb.1078:
	s_or_b64 exec, exec, s[10:11]
.LBB57_1079:
	s_or_b64 exec, exec, s[8:9]
	v_mov_b32_e32 v121, 0
	ds_read_b32 v121, v121 offset:208
	s_waitcnt lgkmcnt(0)
	v_mul_f32_e32 v120, v120, v121
	buffer_store_dword v120, off, s[0:3], 0 offset:208
.LBB57_1080:
	s_or_b64 exec, exec, s[6:7]
	buffer_load_dword v120, off, s[0:3], 0 offset:212
	v_cmp_gt_u32_e32 vcc, 53, v0
	s_waitcnt vmcnt(0)
	ds_write_b32 v118, v120
	s_waitcnt lgkmcnt(0)
	; wave barrier
	s_waitcnt lgkmcnt(0)
	s_and_saveexec_b64 s[6:7], vcc
	s_cbranch_execz .LBB57_1090
; %bb.1081:
	s_and_b64 vcc, exec, s[4:5]
	s_cbranch_vccnz .LBB57_1083
; %bb.1082:
	buffer_load_dword v120, v119, s[0:3], 0 offen
	ds_read_b32 v121, v118
	s_waitcnt vmcnt(0) lgkmcnt(0)
	v_mul_f32_e32 v120, v120, v121
	s_cbranch_execz .LBB57_1084
	s_branch .LBB57_1085
.LBB57_1083:
                                        ; implicit-def: $vgpr120
.LBB57_1084:
	ds_read_b32 v120, v118
.LBB57_1085:
	v_cmp_ne_u32_e32 vcc, 52, v0
	s_and_saveexec_b64 s[8:9], vcc
	s_cbranch_execz .LBB57_1089
; %bb.1086:
	v_mov_b32_e32 v122, 0
	v_add_u32_e32 v121, 0xf4, v1
	v_add3_u32 v122, v1, v122, 4
	s_mov_b64 s[10:11], 0
	v_mov_b32_e32 v123, v0
.LBB57_1087:                            ; =>This Inner Loop Header: Depth=1
	buffer_load_dword v124, v122, s[0:3], 0 offen
	ds_read_b32 v125, v121
	v_add_u32_e32 v123, 1, v123
	v_cmp_lt_u32_e32 vcc, 51, v123
	v_add_u32_e32 v121, 4, v121
	v_add_u32_e32 v122, 4, v122
	s_or_b64 s[10:11], vcc, s[10:11]
	s_waitcnt vmcnt(0) lgkmcnt(0)
	v_fmac_f32_e32 v120, v124, v125
	s_andn2_b64 exec, exec, s[10:11]
	s_cbranch_execnz .LBB57_1087
; %bb.1088:
	s_or_b64 exec, exec, s[10:11]
.LBB57_1089:
	s_or_b64 exec, exec, s[8:9]
	v_mov_b32_e32 v121, 0
	ds_read_b32 v121, v121 offset:212
	s_waitcnt lgkmcnt(0)
	v_mul_f32_e32 v120, v120, v121
	buffer_store_dword v120, off, s[0:3], 0 offset:212
.LBB57_1090:
	s_or_b64 exec, exec, s[6:7]
	buffer_load_dword v120, off, s[0:3], 0 offset:216
	v_cmp_gt_u32_e32 vcc, 54, v0
	s_waitcnt vmcnt(0)
	ds_write_b32 v118, v120
	s_waitcnt lgkmcnt(0)
	; wave barrier
	s_waitcnt lgkmcnt(0)
	s_and_saveexec_b64 s[6:7], vcc
	s_cbranch_execz .LBB57_1100
; %bb.1091:
	s_and_b64 vcc, exec, s[4:5]
	s_cbranch_vccnz .LBB57_1093
; %bb.1092:
	buffer_load_dword v120, v119, s[0:3], 0 offen
	ds_read_b32 v121, v118
	s_waitcnt vmcnt(0) lgkmcnt(0)
	v_mul_f32_e32 v120, v120, v121
	s_cbranch_execz .LBB57_1094
	s_branch .LBB57_1095
.LBB57_1093:
                                        ; implicit-def: $vgpr120
.LBB57_1094:
	ds_read_b32 v120, v118
.LBB57_1095:
	v_cmp_ne_u32_e32 vcc, 53, v0
	s_and_saveexec_b64 s[8:9], vcc
	s_cbranch_execz .LBB57_1099
; %bb.1096:
	v_mov_b32_e32 v122, 0
	v_add_u32_e32 v121, 0xf4, v1
	v_add3_u32 v122, v1, v122, 4
	s_mov_b64 s[10:11], 0
	v_mov_b32_e32 v123, v0
.LBB57_1097:                            ; =>This Inner Loop Header: Depth=1
	buffer_load_dword v124, v122, s[0:3], 0 offen
	ds_read_b32 v125, v121
	v_add_u32_e32 v123, 1, v123
	v_cmp_lt_u32_e32 vcc, 52, v123
	v_add_u32_e32 v121, 4, v121
	v_add_u32_e32 v122, 4, v122
	s_or_b64 s[10:11], vcc, s[10:11]
	s_waitcnt vmcnt(0) lgkmcnt(0)
	v_fmac_f32_e32 v120, v124, v125
	s_andn2_b64 exec, exec, s[10:11]
	s_cbranch_execnz .LBB57_1097
; %bb.1098:
	s_or_b64 exec, exec, s[10:11]
.LBB57_1099:
	s_or_b64 exec, exec, s[8:9]
	v_mov_b32_e32 v121, 0
	ds_read_b32 v121, v121 offset:216
	s_waitcnt lgkmcnt(0)
	v_mul_f32_e32 v120, v120, v121
	buffer_store_dword v120, off, s[0:3], 0 offset:216
.LBB57_1100:
	s_or_b64 exec, exec, s[6:7]
	buffer_load_dword v120, off, s[0:3], 0 offset:220
	v_cmp_gt_u32_e32 vcc, 55, v0
	s_waitcnt vmcnt(0)
	ds_write_b32 v118, v120
	s_waitcnt lgkmcnt(0)
	; wave barrier
	s_waitcnt lgkmcnt(0)
	s_and_saveexec_b64 s[6:7], vcc
	s_cbranch_execz .LBB57_1110
; %bb.1101:
	s_and_b64 vcc, exec, s[4:5]
	s_cbranch_vccnz .LBB57_1103
; %bb.1102:
	buffer_load_dword v120, v119, s[0:3], 0 offen
	ds_read_b32 v121, v118
	s_waitcnt vmcnt(0) lgkmcnt(0)
	v_mul_f32_e32 v120, v120, v121
	s_cbranch_execz .LBB57_1104
	s_branch .LBB57_1105
.LBB57_1103:
                                        ; implicit-def: $vgpr120
.LBB57_1104:
	ds_read_b32 v120, v118
.LBB57_1105:
	v_cmp_ne_u32_e32 vcc, 54, v0
	s_and_saveexec_b64 s[8:9], vcc
	s_cbranch_execz .LBB57_1109
; %bb.1106:
	v_mov_b32_e32 v122, 0
	v_add_u32_e32 v121, 0xf4, v1
	v_add3_u32 v122, v1, v122, 4
	s_mov_b64 s[10:11], 0
	v_mov_b32_e32 v123, v0
.LBB57_1107:                            ; =>This Inner Loop Header: Depth=1
	buffer_load_dword v124, v122, s[0:3], 0 offen
	ds_read_b32 v125, v121
	v_add_u32_e32 v123, 1, v123
	v_cmp_lt_u32_e32 vcc, 53, v123
	v_add_u32_e32 v121, 4, v121
	v_add_u32_e32 v122, 4, v122
	s_or_b64 s[10:11], vcc, s[10:11]
	s_waitcnt vmcnt(0) lgkmcnt(0)
	v_fmac_f32_e32 v120, v124, v125
	s_andn2_b64 exec, exec, s[10:11]
	s_cbranch_execnz .LBB57_1107
; %bb.1108:
	s_or_b64 exec, exec, s[10:11]
.LBB57_1109:
	s_or_b64 exec, exec, s[8:9]
	v_mov_b32_e32 v121, 0
	ds_read_b32 v121, v121 offset:220
	s_waitcnt lgkmcnt(0)
	v_mul_f32_e32 v120, v120, v121
	buffer_store_dword v120, off, s[0:3], 0 offset:220
.LBB57_1110:
	s_or_b64 exec, exec, s[6:7]
	buffer_load_dword v120, off, s[0:3], 0 offset:224
	v_cmp_gt_u32_e64 s[6:7], 56, v0
	s_waitcnt vmcnt(0)
	ds_write_b32 v118, v120
	s_waitcnt lgkmcnt(0)
	; wave barrier
	s_waitcnt lgkmcnt(0)
	s_and_saveexec_b64 s[8:9], s[6:7]
	s_cbranch_execz .LBB57_1120
; %bb.1111:
	s_and_b64 vcc, exec, s[4:5]
	s_cbranch_vccnz .LBB57_1113
; %bb.1112:
	buffer_load_dword v120, v119, s[0:3], 0 offen
	ds_read_b32 v121, v118
	s_waitcnt vmcnt(0) lgkmcnt(0)
	v_mul_f32_e32 v120, v120, v121
	s_cbranch_execz .LBB57_1114
	s_branch .LBB57_1115
.LBB57_1113:
                                        ; implicit-def: $vgpr120
.LBB57_1114:
	ds_read_b32 v120, v118
.LBB57_1115:
	v_cmp_ne_u32_e32 vcc, 55, v0
	s_and_saveexec_b64 s[10:11], vcc
	s_cbranch_execz .LBB57_1119
; %bb.1116:
	v_mov_b32_e32 v122, 0
	v_add_u32_e32 v121, 0xf4, v1
	v_add3_u32 v122, v1, v122, 4
	s_mov_b64 s[12:13], 0
	v_mov_b32_e32 v123, v0
.LBB57_1117:                            ; =>This Inner Loop Header: Depth=1
	buffer_load_dword v124, v122, s[0:3], 0 offen
	ds_read_b32 v125, v121
	v_add_u32_e32 v123, 1, v123
	v_cmp_lt_u32_e32 vcc, 54, v123
	v_add_u32_e32 v121, 4, v121
	v_add_u32_e32 v122, 4, v122
	s_or_b64 s[12:13], vcc, s[12:13]
	s_waitcnt vmcnt(0) lgkmcnt(0)
	v_fmac_f32_e32 v120, v124, v125
	s_andn2_b64 exec, exec, s[12:13]
	s_cbranch_execnz .LBB57_1117
; %bb.1118:
	s_or_b64 exec, exec, s[12:13]
.LBB57_1119:
	s_or_b64 exec, exec, s[10:11]
	v_mov_b32_e32 v121, 0
	ds_read_b32 v121, v121 offset:224
	s_waitcnt lgkmcnt(0)
	v_mul_f32_e32 v120, v120, v121
	buffer_store_dword v120, off, s[0:3], 0 offset:224
.LBB57_1120:
	s_or_b64 exec, exec, s[8:9]
	buffer_load_dword v120, off, s[0:3], 0 offset:228
	v_cmp_ne_u32_e32 vcc, 57, v0
	s_waitcnt vmcnt(0)
	ds_write_b32 v118, v120
	s_waitcnt lgkmcnt(0)
	; wave barrier
	s_waitcnt lgkmcnt(0)
	s_and_saveexec_b64 s[8:9], vcc
	s_cbranch_execz .LBB57_1130
; %bb.1121:
	s_and_b64 vcc, exec, s[4:5]
	s_cbranch_vccnz .LBB57_1123
; %bb.1122:
	buffer_load_dword v119, v119, s[0:3], 0 offen
	ds_read_b32 v120, v118
	s_waitcnt vmcnt(0) lgkmcnt(0)
	v_mul_f32_e32 v119, v119, v120
	s_cbranch_execz .LBB57_1124
	s_branch .LBB57_1125
.LBB57_1123:
                                        ; implicit-def: $vgpr119
.LBB57_1124:
	ds_read_b32 v119, v118
.LBB57_1125:
	s_and_saveexec_b64 s[4:5], s[6:7]
	s_cbranch_execz .LBB57_1129
; %bb.1126:
	v_mov_b32_e32 v120, 0
	v_add_u32_e32 v118, 0xf4, v1
	v_add3_u32 v1, v1, v120, 4
	s_mov_b64 s[6:7], 0
.LBB57_1127:                            ; =>This Inner Loop Header: Depth=1
	buffer_load_dword v120, v1, s[0:3], 0 offen
	ds_read_b32 v121, v118
	v_add_u32_e32 v0, 1, v0
	v_cmp_lt_u32_e32 vcc, 55, v0
	v_add_u32_e32 v118, 4, v118
	v_add_u32_e32 v1, 4, v1
	s_or_b64 s[6:7], vcc, s[6:7]
	s_waitcnt vmcnt(0) lgkmcnt(0)
	v_fmac_f32_e32 v119, v120, v121
	s_andn2_b64 exec, exec, s[6:7]
	s_cbranch_execnz .LBB57_1127
; %bb.1128:
	s_or_b64 exec, exec, s[6:7]
.LBB57_1129:
	s_or_b64 exec, exec, s[4:5]
	v_mov_b32_e32 v0, 0
	ds_read_b32 v0, v0 offset:228
	s_waitcnt lgkmcnt(0)
	v_mul_f32_e32 v0, v119, v0
	buffer_store_dword v0, off, s[0:3], 0 offset:228
.LBB57_1130:
	s_or_b64 exec, exec, s[8:9]
.LBB57_1131:
	buffer_load_dword v0, off, s[0:3], 0
	buffer_load_dword v1, off, s[0:3], 0 offset:4
	buffer_load_dword v118, off, s[0:3], 0 offset:8
	;; [unrolled: 1-line block ×47, first 2 shown]
	s_waitcnt vmcnt(47)
	global_store_dword v[108:109], v0, off
	s_waitcnt vmcnt(47)
	global_store_dword v[112:113], v1, off
	;; [unrolled: 2-line block ×3, first 2 shown]
	buffer_load_dword v0, off, s[0:3], 0 offset:192
	buffer_load_dword v1, off, s[0:3], 0 offset:196
	s_nop 0
	buffer_load_dword v4, off, s[0:3], 0 offset:200
	buffer_load_dword v5, off, s[0:3], 0 offset:204
	;; [unrolled: 1-line block ×6, first 2 shown]
	s_waitcnt vmcnt(55)
	global_store_dword v[2:3], v119, off
	buffer_load_dword v2, off, s[0:3], 0 offset:224
	s_nop 0
	buffer_load_dword v3, off, s[0:3], 0 offset:228
	s_waitcnt vmcnt(57)
	global_store_dword v[6:7], v120, off
	s_waitcnt vmcnt(57)
	global_store_dword v[8:9], v121, off
	;; [unrolled: 2-line block ×54, first 2 shown]
.LBB57_1132:
	s_endpgm
	.section	.rodata,"a",@progbits
	.p2align	6, 0x0
	.amdhsa_kernel _ZN9rocsolver6v33100L18trti2_kernel_smallILi58EfPfEEv13rocblas_fill_17rocblas_diagonal_T1_iil
		.amdhsa_group_segment_fixed_size 472
		.amdhsa_private_segment_fixed_size 240
		.amdhsa_kernarg_size 32
		.amdhsa_user_sgpr_count 8
		.amdhsa_user_sgpr_private_segment_buffer 1
		.amdhsa_user_sgpr_dispatch_ptr 0
		.amdhsa_user_sgpr_queue_ptr 0
		.amdhsa_user_sgpr_kernarg_segment_ptr 1
		.amdhsa_user_sgpr_dispatch_id 0
		.amdhsa_user_sgpr_flat_scratch_init 1
		.amdhsa_user_sgpr_kernarg_preload_length 0
		.amdhsa_user_sgpr_kernarg_preload_offset 0
		.amdhsa_user_sgpr_private_segment_size 0
		.amdhsa_uses_dynamic_stack 0
		.amdhsa_system_sgpr_private_segment_wavefront_offset 1
		.amdhsa_system_sgpr_workgroup_id_x 1
		.amdhsa_system_sgpr_workgroup_id_y 0
		.amdhsa_system_sgpr_workgroup_id_z 0
		.amdhsa_system_sgpr_workgroup_info 0
		.amdhsa_system_vgpr_workitem_id 0
		.amdhsa_next_free_vgpr 164
		.amdhsa_next_free_sgpr 20
		.amdhsa_accum_offset 164
		.amdhsa_reserve_vcc 1
		.amdhsa_reserve_flat_scratch 0
		.amdhsa_float_round_mode_32 0
		.amdhsa_float_round_mode_16_64 0
		.amdhsa_float_denorm_mode_32 3
		.amdhsa_float_denorm_mode_16_64 3
		.amdhsa_dx10_clamp 1
		.amdhsa_ieee_mode 1
		.amdhsa_fp16_overflow 0
		.amdhsa_tg_split 0
		.amdhsa_exception_fp_ieee_invalid_op 0
		.amdhsa_exception_fp_denorm_src 0
		.amdhsa_exception_fp_ieee_div_zero 0
		.amdhsa_exception_fp_ieee_overflow 0
		.amdhsa_exception_fp_ieee_underflow 0
		.amdhsa_exception_fp_ieee_inexact 0
		.amdhsa_exception_int_div_zero 0
	.end_amdhsa_kernel
	.section	.text._ZN9rocsolver6v33100L18trti2_kernel_smallILi58EfPfEEv13rocblas_fill_17rocblas_diagonal_T1_iil,"axG",@progbits,_ZN9rocsolver6v33100L18trti2_kernel_smallILi58EfPfEEv13rocblas_fill_17rocblas_diagonal_T1_iil,comdat
.Lfunc_end57:
	.size	_ZN9rocsolver6v33100L18trti2_kernel_smallILi58EfPfEEv13rocblas_fill_17rocblas_diagonal_T1_iil, .Lfunc_end57-_ZN9rocsolver6v33100L18trti2_kernel_smallILi58EfPfEEv13rocblas_fill_17rocblas_diagonal_T1_iil
                                        ; -- End function
	.section	.AMDGPU.csdata,"",@progbits
; Kernel info:
; codeLenInByte = 28472
; NumSgprs: 24
; NumVgprs: 164
; NumAgprs: 0
; TotalNumVgprs: 164
; ScratchSize: 240
; MemoryBound: 0
; FloatMode: 240
; IeeeMode: 1
; LDSByteSize: 472 bytes/workgroup (compile time only)
; SGPRBlocks: 2
; VGPRBlocks: 20
; NumSGPRsForWavesPerEU: 24
; NumVGPRsForWavesPerEU: 164
; AccumOffset: 164
; Occupancy: 3
; WaveLimiterHint : 0
; COMPUTE_PGM_RSRC2:SCRATCH_EN: 1
; COMPUTE_PGM_RSRC2:USER_SGPR: 8
; COMPUTE_PGM_RSRC2:TRAP_HANDLER: 0
; COMPUTE_PGM_RSRC2:TGID_X_EN: 1
; COMPUTE_PGM_RSRC2:TGID_Y_EN: 0
; COMPUTE_PGM_RSRC2:TGID_Z_EN: 0
; COMPUTE_PGM_RSRC2:TIDIG_COMP_CNT: 0
; COMPUTE_PGM_RSRC3_GFX90A:ACCUM_OFFSET: 40
; COMPUTE_PGM_RSRC3_GFX90A:TG_SPLIT: 0
	.section	.text._ZN9rocsolver6v33100L18trti2_kernel_smallILi59EfPfEEv13rocblas_fill_17rocblas_diagonal_T1_iil,"axG",@progbits,_ZN9rocsolver6v33100L18trti2_kernel_smallILi59EfPfEEv13rocblas_fill_17rocblas_diagonal_T1_iil,comdat
	.globl	_ZN9rocsolver6v33100L18trti2_kernel_smallILi59EfPfEEv13rocblas_fill_17rocblas_diagonal_T1_iil ; -- Begin function _ZN9rocsolver6v33100L18trti2_kernel_smallILi59EfPfEEv13rocblas_fill_17rocblas_diagonal_T1_iil
	.p2align	8
	.type	_ZN9rocsolver6v33100L18trti2_kernel_smallILi59EfPfEEv13rocblas_fill_17rocblas_diagonal_T1_iil,@function
_ZN9rocsolver6v33100L18trti2_kernel_smallILi59EfPfEEv13rocblas_fill_17rocblas_diagonal_T1_iil: ; @_ZN9rocsolver6v33100L18trti2_kernel_smallILi59EfPfEEv13rocblas_fill_17rocblas_diagonal_T1_iil
; %bb.0:
	s_add_u32 s0, s0, s9
	s_addc_u32 s1, s1, 0
	v_cmp_gt_u32_e32 vcc, 59, v0
	s_and_saveexec_b64 s[6:7], vcc
	s_cbranch_execz .LBB58_1152
; %bb.1:
	s_load_dwordx8 s[12:19], s[4:5], 0x0
	s_ashr_i32 s6, s8, 31
	v_lshlrev_b32_e32 v1, 2, v0
	s_waitcnt lgkmcnt(0)
	s_mul_i32 s7, s8, s19
	s_mul_hi_u32 s9, s8, s18
	s_add_i32 s7, s9, s7
	s_mul_i32 s6, s6, s18
	s_add_i32 s7, s7, s6
	s_mul_i32 s6, s8, s18
	s_ashr_i32 s5, s16, 31
	s_lshl_b64 s[6:7], s[6:7], 2
	s_mov_b32 s4, s16
	s_add_u32 s6, s14, s6
	s_addc_u32 s7, s15, s7
	s_lshl_b64 s[4:5], s[4:5], 2
	s_add_u32 s4, s6, s4
	s_addc_u32 s5, s7, s5
	v_mov_b32_e32 v2, s5
	v_add_co_u32_e32 v4, vcc, s4, v1
	s_ashr_i32 s7, s17, 31
	s_mov_b32 s6, s17
	v_addc_co_u32_e32 v5, vcc, 0, v2, vcc
	s_lshl_b64 s[6:7], s[6:7], 2
	v_add_co_u32_e32 v2, vcc, s6, v4
	s_add_i32 s6, s17, s17
	v_add_u32_e32 v8, s6, v0
	v_mov_b32_e32 v3, s7
	v_ashrrev_i32_e32 v9, 31, v8
	v_addc_co_u32_e32 v3, vcc, v5, v3, vcc
	v_lshlrev_b64 v[6:7], 2, v[8:9]
	v_add_u32_e32 v10, s17, v8
	v_mov_b32_e32 v9, s5
	v_add_co_u32_e32 v6, vcc, s4, v6
	v_ashrrev_i32_e32 v11, 31, v10
	v_addc_co_u32_e32 v7, vcc, v9, v7, vcc
	v_lshlrev_b64 v[8:9], 2, v[10:11]
	v_add_u32_e32 v12, s17, v10
	v_mov_b32_e32 v11, s5
	v_add_co_u32_e32 v8, vcc, s4, v8
	;; [unrolled: 6-line block ×6, first 2 shown]
	v_ashrrev_i32_e32 v21, 31, v20
	v_addc_co_u32_e32 v17, vcc, v19, v17, vcc
	v_lshlrev_b64 v[18:19], 2, v[20:21]
	v_mov_b32_e32 v21, s5
	v_add_co_u32_e32 v18, vcc, s4, v18
	global_load_dword v33, v1, s[4:5]
	v_addc_co_u32_e32 v19, vcc, v21, v19, vcc
	global_load_dword v37, v[2:3], off
	global_load_dword v35, v[6:7], off
	;; [unrolled: 1-line block ×8, first 2 shown]
	v_add_u32_e32 v22, s17, v20
	v_ashrrev_i32_e32 v23, 31, v22
	v_lshlrev_b64 v[20:21], 2, v[22:23]
	v_add_u32_e32 v24, s17, v22
	v_mov_b32_e32 v23, s5
	v_add_co_u32_e32 v20, vcc, s4, v20
	v_ashrrev_i32_e32 v25, 31, v24
	v_addc_co_u32_e32 v21, vcc, v23, v21, vcc
	v_lshlrev_b64 v[22:23], 2, v[24:25]
	v_add_u32_e32 v26, s17, v24
	v_mov_b32_e32 v25, s5
	v_add_co_u32_e32 v22, vcc, s4, v22
	v_ashrrev_i32_e32 v27, 31, v26
	v_addc_co_u32_e32 v23, vcc, v25, v23, vcc
	;; [unrolled: 6-line block ×4, first 2 shown]
	v_lshlrev_b64 v[28:29], 2, v[30:31]
	v_mov_b32_e32 v31, s5
	v_add_co_u32_e32 v28, vcc, s4, v28
	v_addc_co_u32_e32 v29, vcc, v31, v29, vcc
	global_load_dword v53, v[20:21], off
	global_load_dword v51, v[22:23], off
	;; [unrolled: 1-line block ×5, first 2 shown]
	v_add_u32_e32 v32, s17, v30
	v_add_u32_e32 v34, s17, v32
	v_add_u32_e32 v36, s17, v34
	v_add_u32_e32 v38, s17, v36
	v_add_u32_e32 v40, s17, v38
	v_add_u32_e32 v42, s17, v40
	v_add_u32_e32 v44, s17, v42
	v_add_u32_e32 v46, s17, v44
	v_add_u32_e32 v48, s17, v46
	v_add_u32_e32 v50, s17, v48
	v_add_u32_e32 v52, s17, v50
	v_add_u32_e32 v54, s17, v52
	v_add_u32_e32 v56, s17, v54
	v_add_u32_e32 v58, s17, v56
	v_add_u32_e32 v60, s17, v58
	v_add_u32_e32 v62, s17, v60
	v_add_u32_e32 v64, s17, v62
	v_add_u32_e32 v66, s17, v64
	v_add_u32_e32 v68, s17, v66
	v_add_u32_e32 v70, s17, v68
	v_add_u32_e32 v72, s17, v70
	v_add_u32_e32 v74, s17, v72
	v_add_u32_e32 v76, s17, v74
	v_add_u32_e32 v78, s17, v76
	v_add_u32_e32 v80, s17, v78
	v_add_u32_e32 v82, s17, v80
	v_add_u32_e32 v84, s17, v82
	v_add_u32_e32 v86, s17, v84
	v_add_u32_e32 v88, s17, v86
	v_add_u32_e32 v90, s17, v88
	v_add_u32_e32 v92, s17, v90
	v_add_u32_e32 v94, s17, v92
	v_add_u32_e32 v96, s17, v94
	v_add_u32_e32 v98, s17, v96
	v_add_u32_e32 v100, s17, v98
	v_add_u32_e32 v102, s17, v100
	v_add_u32_e32 v104, s17, v102
	v_add_u32_e32 v106, s17, v104
	v_add_u32_e32 v108, s17, v106
	v_add_u32_e32 v110, s17, v108
	v_add_u32_e32 v112, s17, v110
	v_add_u32_e32 v114, s17, v112
	v_add_u32_e32 v116, s17, v114
	v_add_u32_e32 v118, s17, v116
	v_add_u32_e32 v30, s17, v118
	v_ashrrev_i32_e32 v31, 31, v30
	v_lshlrev_b64 v[30:31], 2, v[30:31]
	v_mov_b32_e32 v61, s5
	v_add_co_u32_e32 v30, vcc, s4, v30
	v_addc_co_u32_e32 v31, vcc, v61, v31, vcc
	global_load_dword v120, v[30:31], off
	s_waitcnt vmcnt(14)
	buffer_store_dword v33, off, s[0:3], 0
	s_waitcnt vmcnt(14)
	buffer_store_dword v37, off, s[0:3], 0 offset:4
	s_waitcnt vmcnt(13)
	buffer_store_dword v49, off, s[0:3], 0 offset:12
	buffer_store_dword v35, off, s[0:3], 0 offset:8
	s_waitcnt vmcnt(14)
	buffer_store_dword v39, off, s[0:3], 0 offset:16
	s_waitcnt vmcnt(14)
	;; [unrolled: 2-line block ×5, first 2 shown]
	buffer_store_dword v47, off, s[0:3], 0 offset:32
	v_ashrrev_i32_e32 v33, 31, v32
	v_lshlrev_b64 v[32:33], 2, v[32:33]
	v_mov_b32_e32 v35, s5
	v_add_co_u32_e32 v32, vcc, s4, v32
	v_addc_co_u32_e32 v33, vcc, v35, v33, vcc
	v_ashrrev_i32_e32 v35, 31, v34
	v_lshlrev_b64 v[34:35], 2, v[34:35]
	v_mov_b32_e32 v37, s5
	v_add_co_u32_e32 v34, vcc, s4, v34
	v_addc_co_u32_e32 v35, vcc, v37, v35, vcc
	;; [unrolled: 5-line block ×8, first 2 shown]
	v_ashrrev_i32_e32 v49, 31, v48
	v_lshlrev_b64 v[48:49], 2, v[48:49]
	global_load_dword v121, v[32:33], off
	global_load_dword v122, v[34:35], off
	;; [unrolled: 1-line block ×3, first 2 shown]
	s_waitcnt vmcnt(17)
	buffer_store_dword v53, off, s[0:3], 0 offset:36
	s_waitcnt vmcnt(16)
	buffer_store_dword v59, off, s[0:3], 0 offset:44
	buffer_store_dword v51, off, s[0:3], 0 offset:40
	s_waitcnt vmcnt(17)
	buffer_store_dword v55, off, s[0:3], 0 offset:48
	s_waitcnt vmcnt(17)
	buffer_store_dword v57, off, s[0:3], 0 offset:52
	v_mov_b32_e32 v51, s5
	v_add_co_u32_e32 v48, vcc, s4, v48
	v_addc_co_u32_e32 v49, vcc, v51, v49, vcc
	v_ashrrev_i32_e32 v51, 31, v50
	v_lshlrev_b64 v[50:51], 2, v[50:51]
	v_mov_b32_e32 v53, s5
	v_add_co_u32_e32 v50, vcc, s4, v50
	v_addc_co_u32_e32 v51, vcc, v53, v51, vcc
	v_ashrrev_i32_e32 v53, 31, v52
	v_lshlrev_b64 v[52:53], 2, v[52:53]
	;; [unrolled: 5-line block ×5, first 2 shown]
	v_add_co_u32_e32 v58, vcc, s4, v58
	v_addc_co_u32_e32 v59, vcc, v61, v59, vcc
	v_ashrrev_i32_e32 v61, 31, v60
	v_lshlrev_b64 v[60:61], 2, v[60:61]
	v_mov_b32_e32 v63, s5
	v_add_co_u32_e32 v60, vcc, s4, v60
	v_addc_co_u32_e32 v61, vcc, v63, v61, vcc
	v_ashrrev_i32_e32 v63, 31, v62
	v_lshlrev_b64 v[62:63], 2, v[62:63]
	v_mov_b32_e32 v65, s5
	;; [unrolled: 5-line block ×30, first 2 shown]
	v_add_co_u32_e32 v118, vcc, s4, v118
	global_load_dword v124, v[38:39], off
	global_load_dword v125, v[40:41], off
	;; [unrolled: 1-line block ×32, first 2 shown]
	v_addc_co_u32_e32 v119, vcc, v149, v119, vcc
	global_load_dword v157, v[102:103], off
	global_load_dword v158, v[104:105], off
	;; [unrolled: 1-line block ×8, first 2 shown]
	s_cmpk_lg_i32 s13, 0x84
	s_waitcnt vmcnt(47)
	buffer_store_dword v121, off, s[0:3], 0 offset:56
	global_load_dword v121, v[116:117], off
	v_mov_b32_e32 v149, 0
	s_waitcnt vmcnt(48)
	buffer_store_dword v122, off, s[0:3], 0 offset:60
	s_waitcnt vmcnt(48)
	buffer_store_dword v123, off, s[0:3], 0 offset:64
	;; [unrolled: 2-line block ×6, first 2 shown]
	buffer_store_dword v127, off, s[0:3], 0 offset:80
	s_waitcnt vmcnt(42)
	buffer_store_dword v130, off, s[0:3], 0 offset:92
	buffer_store_dword v129, off, s[0:3], 0 offset:88
	s_waitcnt vmcnt(42)
	buffer_store_dword v132, off, s[0:3], 0 offset:100
	;; [unrolled: 3-line block ×18, first 2 shown]
	s_waitcnt vmcnt(42)
	buffer_store_dword v121, off, s[0:3], 0 offset:224
	buffer_store_dword v120, off, s[0:3], 0 offset:232
	s_cselect_b64 s[10:11], -1, 0
	s_cmpk_eq_i32 s13, 0x84
	v_mov_b32_e32 v120, -1.0
	s_cbranch_scc1 .LBB58_3
; %bb.2:
	v_lshl_add_u32 v120, v0, 2, v149
	buffer_load_dword v121, v120, s[0:3], 0 offen
	s_waitcnt vmcnt(0)
	v_div_scale_f32 v122, s[4:5], v121, v121, 1.0
	v_rcp_f32_e32 v123, v122
	v_div_scale_f32 v124, vcc, 1.0, v121, 1.0
	v_fma_f32 v125, -v122, v123, 1.0
	v_fmac_f32_e32 v123, v125, v123
	v_mul_f32_e32 v125, v124, v123
	v_fma_f32 v126, -v122, v125, v124
	v_fmac_f32_e32 v125, v126, v123
	v_fma_f32 v122, -v122, v125, v124
	v_div_fmas_f32 v122, v122, v123, v125
	v_div_fixup_f32 v121, v122, v121, 1.0
	buffer_store_dword v121, v120, s[0:3], 0 offen
	v_xor_b32_e32 v120, 0x80000000, v121
.LBB58_3:
	ds_write_b32 v1, v120
	s_cmpk_eq_i32 s12, 0x79
	v_add_u32_e32 v120, 0xf0, v1
	v_add_u32_e32 v121, 0, v1
	s_mov_b64 s[4:5], -1
	s_cbranch_scc1 .LBB58_577
; %bb.4:
	buffer_load_dword v122, off, s[0:3], 0 offset:228
	v_cmp_eq_u32_e64 s[4:5], 58, v0
	s_waitcnt vmcnt(0)
	ds_write_b32 v120, v122
	s_waitcnt lgkmcnt(0)
	; wave barrier
	s_waitcnt lgkmcnt(0)
	s_and_saveexec_b64 s[6:7], s[4:5]
	s_cbranch_execz .LBB58_10
; %bb.5:
	s_and_b64 vcc, exec, s[10:11]
	s_cbranch_vccz .LBB58_7
; %bb.6:
	buffer_load_dword v122, v121, s[0:3], 0 offen
	ds_read_b32 v123, v120
	s_waitcnt vmcnt(0) lgkmcnt(0)
	v_mul_f32_e32 v122, v122, v123
	s_cbranch_execz .LBB58_8
	s_branch .LBB58_9
.LBB58_7:
                                        ; implicit-def: $vgpr122
.LBB58_8:
	ds_read_b32 v122, v120
.LBB58_9:
	v_mov_b32_e32 v123, 0
	ds_read_b32 v123, v123 offset:228
	s_waitcnt lgkmcnt(0)
	v_mul_f32_e32 v122, v122, v123
	buffer_store_dword v122, off, s[0:3], 0 offset:228
.LBB58_10:
	s_or_b64 exec, exec, s[6:7]
	buffer_load_dword v150, off, s[0:3], 0 offset:224
	v_or_b32_e32 v122, 8, v149
	v_add_u32_e32 v123, 16, v149
	v_add_u32_e32 v124, 24, v149
	;; [unrolled: 1-line block ×27, first 2 shown]
	v_cmp_lt_u32_e64 s[8:9], 56, v0
	s_waitcnt vmcnt(0)
	ds_write_b32 v120, v150
	s_waitcnt lgkmcnt(0)
	; wave barrier
	s_waitcnt lgkmcnt(0)
	s_and_saveexec_b64 s[6:7], s[8:9]
	s_cbranch_execz .LBB58_16
; %bb.11:
	s_andn2_b64 vcc, exec, s[10:11]
	s_cbranch_vccnz .LBB58_13
; %bb.12:
	buffer_load_dword v150, v121, s[0:3], 0 offen
	ds_read_b32 v151, v120
	s_waitcnt vmcnt(0) lgkmcnt(0)
	v_mul_f32_e32 v150, v150, v151
	s_cbranch_execz .LBB58_14
	s_branch .LBB58_15
.LBB58_13:
                                        ; implicit-def: $vgpr150
.LBB58_14:
	ds_read_b32 v150, v120
.LBB58_15:
	buffer_load_dword v151, off, s[0:3], 0 offset:228
	v_mov_b32_e32 v152, 0
	ds_read2_b32 v[152:153], v152 offset0:56 offset1:117
	s_waitcnt vmcnt(0) lgkmcnt(0)
	v_fma_f32 v151, v151, v153, v150
	v_cndmask_b32_e64 v150, v150, v151, s[4:5]
	v_mul_f32_e32 v150, v150, v152
	buffer_store_dword v150, off, s[0:3], 0 offset:224
.LBB58_16:
	s_or_b64 exec, exec, s[6:7]
	buffer_load_dword v150, off, s[0:3], 0 offset:220
	v_cmp_lt_u32_e64 s[6:7], 55, v0
	s_waitcnt vmcnt(0)
	ds_write_b32 v120, v150
	s_waitcnt lgkmcnt(0)
	; wave barrier
	s_waitcnt lgkmcnt(0)
	s_and_saveexec_b64 s[4:5], s[6:7]
	s_cbranch_execz .LBB58_26
; %bb.17:
	s_andn2_b64 vcc, exec, s[10:11]
	s_cbranch_vccnz .LBB58_19
; %bb.18:
	buffer_load_dword v150, v121, s[0:3], 0 offen
	ds_read_b32 v151, v120
	s_waitcnt vmcnt(0) lgkmcnt(0)
	v_mul_f32_e32 v150, v150, v151
	s_cbranch_execz .LBB58_20
	s_branch .LBB58_21
.LBB58_19:
                                        ; implicit-def: $vgpr150
.LBB58_20:
	ds_read_b32 v150, v120
.LBB58_21:
	s_and_saveexec_b64 s[12:13], s[8:9]
	s_cbranch_execz .LBB58_25
; %bb.22:
	v_subrev_u32_e32 v151, 56, v0
	s_movk_i32 s14, 0x1d0
	s_mov_b64 s[8:9], 0
.LBB58_23:                              ; =>This Inner Loop Header: Depth=1
	buffer_load_dword v152, v149, s[0:3], 0 offen
	v_mov_b32_e32 v153, s14
	ds_read_b32 v153, v153
	v_add_u32_e32 v151, -1, v151
	s_add_i32 s14, s14, 4
	v_cmp_eq_u32_e32 vcc, 0, v151
	v_add_u32_e32 v149, 4, v149
	s_or_b64 s[8:9], vcc, s[8:9]
	s_waitcnt vmcnt(0) lgkmcnt(0)
	v_fmac_f32_e32 v150, v152, v153
	s_andn2_b64 exec, exec, s[8:9]
	s_cbranch_execnz .LBB58_23
; %bb.24:
	s_or_b64 exec, exec, s[8:9]
.LBB58_25:
	s_or_b64 exec, exec, s[12:13]
	v_mov_b32_e32 v149, 0
	ds_read_b32 v149, v149 offset:220
	s_waitcnt lgkmcnt(0)
	v_mul_f32_e32 v149, v150, v149
	buffer_store_dword v149, off, s[0:3], 0 offset:220
.LBB58_26:
	s_or_b64 exec, exec, s[4:5]
	buffer_load_dword v149, off, s[0:3], 0 offset:216
	v_cmp_lt_u32_e64 s[4:5], 54, v0
	s_waitcnt vmcnt(0)
	ds_write_b32 v120, v149
	s_waitcnt lgkmcnt(0)
	; wave barrier
	s_waitcnt lgkmcnt(0)
	s_and_saveexec_b64 s[8:9], s[4:5]
	s_cbranch_execz .LBB58_36
; %bb.27:
	s_andn2_b64 vcc, exec, s[10:11]
	s_cbranch_vccnz .LBB58_29
; %bb.28:
	buffer_load_dword v149, v121, s[0:3], 0 offen
	ds_read_b32 v150, v120
	s_waitcnt vmcnt(0) lgkmcnt(0)
	v_mul_f32_e32 v149, v149, v150
	s_cbranch_execz .LBB58_30
	s_branch .LBB58_31
.LBB58_29:
                                        ; implicit-def: $vgpr149
.LBB58_30:
	ds_read_b32 v149, v120
.LBB58_31:
	s_and_saveexec_b64 s[12:13], s[6:7]
	s_cbranch_execz .LBB58_35
; %bb.32:
	v_mov_b32_e32 v150, 0
	v_add_u32_e32 v150, 0xdc, v150
	v_subrev_u32_e32 v151, 55, v0
	s_movk_i32 s14, 0x1cc
	s_mov_b64 s[6:7], 0
.LBB58_33:                              ; =>This Inner Loop Header: Depth=1
	buffer_load_dword v152, v150, s[0:3], 0 offen
	v_mov_b32_e32 v153, s14
	ds_read_b32 v153, v153
	v_add_u32_e32 v151, -1, v151
	s_add_i32 s14, s14, 4
	v_cmp_eq_u32_e32 vcc, 0, v151
	v_add_u32_e32 v150, 4, v150
	s_or_b64 s[6:7], vcc, s[6:7]
	s_waitcnt vmcnt(0) lgkmcnt(0)
	v_fmac_f32_e32 v149, v152, v153
	s_andn2_b64 exec, exec, s[6:7]
	s_cbranch_execnz .LBB58_33
; %bb.34:
	s_or_b64 exec, exec, s[6:7]
.LBB58_35:
	s_or_b64 exec, exec, s[12:13]
	v_mov_b32_e32 v150, 0
	ds_read_b32 v150, v150 offset:216
	s_waitcnt lgkmcnt(0)
	v_mul_f32_e32 v149, v149, v150
	buffer_store_dword v149, off, s[0:3], 0 offset:216
.LBB58_36:
	s_or_b64 exec, exec, s[8:9]
	buffer_load_dword v149, off, s[0:3], 0 offset:212
	v_cmp_lt_u32_e64 s[6:7], 53, v0
	s_waitcnt vmcnt(0)
	ds_write_b32 v120, v149
	s_waitcnt lgkmcnt(0)
	; wave barrier
	s_waitcnt lgkmcnt(0)
	s_and_saveexec_b64 s[8:9], s[6:7]
	s_cbranch_execz .LBB58_46
; %bb.37:
	s_andn2_b64 vcc, exec, s[10:11]
	s_cbranch_vccnz .LBB58_39
; %bb.38:
	buffer_load_dword v149, v121, s[0:3], 0 offen
	ds_read_b32 v150, v120
	s_waitcnt vmcnt(0) lgkmcnt(0)
	v_mul_f32_e32 v149, v149, v150
	s_cbranch_execz .LBB58_40
	s_branch .LBB58_41
.LBB58_39:
                                        ; implicit-def: $vgpr149
.LBB58_40:
	ds_read_b32 v149, v120
.LBB58_41:
	s_and_saveexec_b64 s[12:13], s[4:5]
	s_cbranch_execz .LBB58_45
; %bb.42:
	v_subrev_u32_e32 v150, 54, v0
	s_movk_i32 s14, 0x1c8
	s_mov_b64 s[4:5], 0
.LBB58_43:                              ; =>This Inner Loop Header: Depth=1
	buffer_load_dword v151, v148, s[0:3], 0 offen
	v_mov_b32_e32 v152, s14
	ds_read_b32 v152, v152
	v_add_u32_e32 v150, -1, v150
	s_add_i32 s14, s14, 4
	v_cmp_eq_u32_e32 vcc, 0, v150
	v_add_u32_e32 v148, 4, v148
	s_or_b64 s[4:5], vcc, s[4:5]
	s_waitcnt vmcnt(0) lgkmcnt(0)
	v_fmac_f32_e32 v149, v151, v152
	s_andn2_b64 exec, exec, s[4:5]
	s_cbranch_execnz .LBB58_43
; %bb.44:
	s_or_b64 exec, exec, s[4:5]
.LBB58_45:
	s_or_b64 exec, exec, s[12:13]
	v_mov_b32_e32 v148, 0
	ds_read_b32 v148, v148 offset:212
	s_waitcnt lgkmcnt(0)
	v_mul_f32_e32 v148, v149, v148
	buffer_store_dword v148, off, s[0:3], 0 offset:212
.LBB58_46:
	s_or_b64 exec, exec, s[8:9]
	buffer_load_dword v148, off, s[0:3], 0 offset:208
	v_cmp_lt_u32_e64 s[4:5], 52, v0
	s_waitcnt vmcnt(0)
	ds_write_b32 v120, v148
	s_waitcnt lgkmcnt(0)
	; wave barrier
	s_waitcnt lgkmcnt(0)
	s_and_saveexec_b64 s[8:9], s[4:5]
	s_cbranch_execz .LBB58_56
; %bb.47:
	s_andn2_b64 vcc, exec, s[10:11]
	s_cbranch_vccnz .LBB58_49
; %bb.48:
	buffer_load_dword v148, v121, s[0:3], 0 offen
	ds_read_b32 v149, v120
	s_waitcnt vmcnt(0) lgkmcnt(0)
	v_mul_f32_e32 v148, v148, v149
	s_cbranch_execz .LBB58_50
	s_branch .LBB58_51
.LBB58_49:
                                        ; implicit-def: $vgpr148
.LBB58_50:
	ds_read_b32 v148, v120
.LBB58_51:
	s_and_saveexec_b64 s[12:13], s[6:7]
	s_cbranch_execz .LBB58_55
; %bb.52:
	v_mov_b32_e32 v149, 0
	v_add_u32_e32 v149, 0xd4, v149
	v_subrev_u32_e32 v150, 53, v0
	s_movk_i32 s14, 0x1c4
	s_mov_b64 s[6:7], 0
.LBB58_53:                              ; =>This Inner Loop Header: Depth=1
	buffer_load_dword v151, v149, s[0:3], 0 offen
	v_mov_b32_e32 v152, s14
	ds_read_b32 v152, v152
	v_add_u32_e32 v150, -1, v150
	s_add_i32 s14, s14, 4
	v_cmp_eq_u32_e32 vcc, 0, v150
	v_add_u32_e32 v149, 4, v149
	s_or_b64 s[6:7], vcc, s[6:7]
	s_waitcnt vmcnt(0) lgkmcnt(0)
	v_fmac_f32_e32 v148, v151, v152
	s_andn2_b64 exec, exec, s[6:7]
	s_cbranch_execnz .LBB58_53
; %bb.54:
	s_or_b64 exec, exec, s[6:7]
.LBB58_55:
	s_or_b64 exec, exec, s[12:13]
	v_mov_b32_e32 v149, 0
	ds_read_b32 v149, v149 offset:208
	s_waitcnt lgkmcnt(0)
	v_mul_f32_e32 v148, v148, v149
	buffer_store_dword v148, off, s[0:3], 0 offset:208
.LBB58_56:
	s_or_b64 exec, exec, s[8:9]
	buffer_load_dword v148, off, s[0:3], 0 offset:204
	v_cmp_lt_u32_e64 s[6:7], 51, v0
	s_waitcnt vmcnt(0)
	ds_write_b32 v120, v148
	s_waitcnt lgkmcnt(0)
	; wave barrier
	s_waitcnt lgkmcnt(0)
	s_and_saveexec_b64 s[8:9], s[6:7]
	s_cbranch_execz .LBB58_66
; %bb.57:
	s_andn2_b64 vcc, exec, s[10:11]
	s_cbranch_vccnz .LBB58_59
; %bb.58:
	buffer_load_dword v148, v121, s[0:3], 0 offen
	ds_read_b32 v149, v120
	s_waitcnt vmcnt(0) lgkmcnt(0)
	v_mul_f32_e32 v148, v148, v149
	s_cbranch_execz .LBB58_60
	s_branch .LBB58_61
.LBB58_59:
                                        ; implicit-def: $vgpr148
.LBB58_60:
	ds_read_b32 v148, v120
.LBB58_61:
	s_and_saveexec_b64 s[12:13], s[4:5]
	s_cbranch_execz .LBB58_65
; %bb.62:
	v_subrev_u32_e32 v149, 52, v0
	s_movk_i32 s14, 0x1c0
	s_mov_b64 s[4:5], 0
.LBB58_63:                              ; =>This Inner Loop Header: Depth=1
	buffer_load_dword v150, v147, s[0:3], 0 offen
	v_mov_b32_e32 v151, s14
	ds_read_b32 v151, v151
	v_add_u32_e32 v149, -1, v149
	s_add_i32 s14, s14, 4
	v_cmp_eq_u32_e32 vcc, 0, v149
	v_add_u32_e32 v147, 4, v147
	s_or_b64 s[4:5], vcc, s[4:5]
	s_waitcnt vmcnt(0) lgkmcnt(0)
	v_fmac_f32_e32 v148, v150, v151
	s_andn2_b64 exec, exec, s[4:5]
	s_cbranch_execnz .LBB58_63
; %bb.64:
	s_or_b64 exec, exec, s[4:5]
.LBB58_65:
	s_or_b64 exec, exec, s[12:13]
	v_mov_b32_e32 v147, 0
	ds_read_b32 v147, v147 offset:204
	s_waitcnt lgkmcnt(0)
	v_mul_f32_e32 v147, v148, v147
	buffer_store_dword v147, off, s[0:3], 0 offset:204
.LBB58_66:
	s_or_b64 exec, exec, s[8:9]
	buffer_load_dword v147, off, s[0:3], 0 offset:200
	v_cmp_lt_u32_e64 s[4:5], 50, v0
	s_waitcnt vmcnt(0)
	ds_write_b32 v120, v147
	s_waitcnt lgkmcnt(0)
	; wave barrier
	s_waitcnt lgkmcnt(0)
	s_and_saveexec_b64 s[8:9], s[4:5]
	s_cbranch_execz .LBB58_76
; %bb.67:
	s_andn2_b64 vcc, exec, s[10:11]
	s_cbranch_vccnz .LBB58_69
; %bb.68:
	buffer_load_dword v147, v121, s[0:3], 0 offen
	ds_read_b32 v148, v120
	s_waitcnt vmcnt(0) lgkmcnt(0)
	v_mul_f32_e32 v147, v147, v148
	s_cbranch_execz .LBB58_70
	s_branch .LBB58_71
.LBB58_69:
                                        ; implicit-def: $vgpr147
.LBB58_70:
	ds_read_b32 v147, v120
.LBB58_71:
	s_and_saveexec_b64 s[12:13], s[6:7]
	s_cbranch_execz .LBB58_75
; %bb.72:
	v_mov_b32_e32 v148, 0
	v_add_u32_e32 v148, 0xcc, v148
	v_subrev_u32_e32 v149, 51, v0
	s_movk_i32 s14, 0x1bc
	s_mov_b64 s[6:7], 0
.LBB58_73:                              ; =>This Inner Loop Header: Depth=1
	buffer_load_dword v150, v148, s[0:3], 0 offen
	v_mov_b32_e32 v151, s14
	ds_read_b32 v151, v151
	v_add_u32_e32 v149, -1, v149
	s_add_i32 s14, s14, 4
	v_cmp_eq_u32_e32 vcc, 0, v149
	v_add_u32_e32 v148, 4, v148
	s_or_b64 s[6:7], vcc, s[6:7]
	s_waitcnt vmcnt(0) lgkmcnt(0)
	v_fmac_f32_e32 v147, v150, v151
	s_andn2_b64 exec, exec, s[6:7]
	s_cbranch_execnz .LBB58_73
; %bb.74:
	s_or_b64 exec, exec, s[6:7]
.LBB58_75:
	s_or_b64 exec, exec, s[12:13]
	v_mov_b32_e32 v148, 0
	ds_read_b32 v148, v148 offset:200
	s_waitcnt lgkmcnt(0)
	v_mul_f32_e32 v147, v147, v148
	buffer_store_dword v147, off, s[0:3], 0 offset:200
.LBB58_76:
	s_or_b64 exec, exec, s[8:9]
	buffer_load_dword v147, off, s[0:3], 0 offset:196
	v_cmp_lt_u32_e64 s[6:7], 49, v0
	s_waitcnt vmcnt(0)
	ds_write_b32 v120, v147
	s_waitcnt lgkmcnt(0)
	; wave barrier
	s_waitcnt lgkmcnt(0)
	s_and_saveexec_b64 s[8:9], s[6:7]
	s_cbranch_execz .LBB58_86
; %bb.77:
	s_andn2_b64 vcc, exec, s[10:11]
	s_cbranch_vccnz .LBB58_79
; %bb.78:
	buffer_load_dword v147, v121, s[0:3], 0 offen
	ds_read_b32 v148, v120
	s_waitcnt vmcnt(0) lgkmcnt(0)
	v_mul_f32_e32 v147, v147, v148
	s_cbranch_execz .LBB58_80
	s_branch .LBB58_81
.LBB58_79:
                                        ; implicit-def: $vgpr147
.LBB58_80:
	ds_read_b32 v147, v120
.LBB58_81:
	s_and_saveexec_b64 s[12:13], s[4:5]
	s_cbranch_execz .LBB58_85
; %bb.82:
	v_subrev_u32_e32 v148, 50, v0
	s_movk_i32 s14, 0x1b8
	s_mov_b64 s[4:5], 0
.LBB58_83:                              ; =>This Inner Loop Header: Depth=1
	buffer_load_dword v149, v146, s[0:3], 0 offen
	v_mov_b32_e32 v150, s14
	ds_read_b32 v150, v150
	v_add_u32_e32 v148, -1, v148
	s_add_i32 s14, s14, 4
	v_cmp_eq_u32_e32 vcc, 0, v148
	v_add_u32_e32 v146, 4, v146
	s_or_b64 s[4:5], vcc, s[4:5]
	s_waitcnt vmcnt(0) lgkmcnt(0)
	v_fmac_f32_e32 v147, v149, v150
	s_andn2_b64 exec, exec, s[4:5]
	s_cbranch_execnz .LBB58_83
; %bb.84:
	s_or_b64 exec, exec, s[4:5]
.LBB58_85:
	s_or_b64 exec, exec, s[12:13]
	v_mov_b32_e32 v146, 0
	ds_read_b32 v146, v146 offset:196
	s_waitcnt lgkmcnt(0)
	v_mul_f32_e32 v146, v147, v146
	buffer_store_dword v146, off, s[0:3], 0 offset:196
.LBB58_86:
	s_or_b64 exec, exec, s[8:9]
	buffer_load_dword v146, off, s[0:3], 0 offset:192
	v_cmp_lt_u32_e64 s[4:5], 48, v0
	s_waitcnt vmcnt(0)
	ds_write_b32 v120, v146
	s_waitcnt lgkmcnt(0)
	; wave barrier
	s_waitcnt lgkmcnt(0)
	s_and_saveexec_b64 s[8:9], s[4:5]
	s_cbranch_execz .LBB58_96
; %bb.87:
	s_andn2_b64 vcc, exec, s[10:11]
	s_cbranch_vccnz .LBB58_89
; %bb.88:
	buffer_load_dword v146, v121, s[0:3], 0 offen
	ds_read_b32 v147, v120
	s_waitcnt vmcnt(0) lgkmcnt(0)
	v_mul_f32_e32 v146, v146, v147
	s_cbranch_execz .LBB58_90
	s_branch .LBB58_91
.LBB58_89:
                                        ; implicit-def: $vgpr146
.LBB58_90:
	ds_read_b32 v146, v120
.LBB58_91:
	s_and_saveexec_b64 s[12:13], s[6:7]
	s_cbranch_execz .LBB58_95
; %bb.92:
	v_mov_b32_e32 v147, 0
	v_add_u32_e32 v147, 0xc4, v147
	v_subrev_u32_e32 v148, 49, v0
	s_movk_i32 s14, 0x1b4
	s_mov_b64 s[6:7], 0
.LBB58_93:                              ; =>This Inner Loop Header: Depth=1
	buffer_load_dword v149, v147, s[0:3], 0 offen
	v_mov_b32_e32 v150, s14
	ds_read_b32 v150, v150
	v_add_u32_e32 v148, -1, v148
	s_add_i32 s14, s14, 4
	v_cmp_eq_u32_e32 vcc, 0, v148
	v_add_u32_e32 v147, 4, v147
	s_or_b64 s[6:7], vcc, s[6:7]
	s_waitcnt vmcnt(0) lgkmcnt(0)
	v_fmac_f32_e32 v146, v149, v150
	s_andn2_b64 exec, exec, s[6:7]
	s_cbranch_execnz .LBB58_93
; %bb.94:
	s_or_b64 exec, exec, s[6:7]
.LBB58_95:
	s_or_b64 exec, exec, s[12:13]
	v_mov_b32_e32 v147, 0
	ds_read_b32 v147, v147 offset:192
	s_waitcnt lgkmcnt(0)
	v_mul_f32_e32 v146, v146, v147
	buffer_store_dword v146, off, s[0:3], 0 offset:192
.LBB58_96:
	s_or_b64 exec, exec, s[8:9]
	buffer_load_dword v146, off, s[0:3], 0 offset:188
	v_cmp_lt_u32_e64 s[6:7], 47, v0
	s_waitcnt vmcnt(0)
	ds_write_b32 v120, v146
	s_waitcnt lgkmcnt(0)
	; wave barrier
	s_waitcnt lgkmcnt(0)
	s_and_saveexec_b64 s[8:9], s[6:7]
	s_cbranch_execz .LBB58_106
; %bb.97:
	s_andn2_b64 vcc, exec, s[10:11]
	s_cbranch_vccnz .LBB58_99
; %bb.98:
	buffer_load_dword v146, v121, s[0:3], 0 offen
	ds_read_b32 v147, v120
	s_waitcnt vmcnt(0) lgkmcnt(0)
	v_mul_f32_e32 v146, v146, v147
	s_cbranch_execz .LBB58_100
	s_branch .LBB58_101
.LBB58_99:
                                        ; implicit-def: $vgpr146
.LBB58_100:
	ds_read_b32 v146, v120
.LBB58_101:
	s_and_saveexec_b64 s[12:13], s[4:5]
	s_cbranch_execz .LBB58_105
; %bb.102:
	v_subrev_u32_e32 v147, 48, v0
	s_movk_i32 s14, 0x1b0
	s_mov_b64 s[4:5], 0
.LBB58_103:                             ; =>This Inner Loop Header: Depth=1
	buffer_load_dword v148, v145, s[0:3], 0 offen
	v_mov_b32_e32 v149, s14
	ds_read_b32 v149, v149
	v_add_u32_e32 v147, -1, v147
	s_add_i32 s14, s14, 4
	v_cmp_eq_u32_e32 vcc, 0, v147
	v_add_u32_e32 v145, 4, v145
	s_or_b64 s[4:5], vcc, s[4:5]
	s_waitcnt vmcnt(0) lgkmcnt(0)
	v_fmac_f32_e32 v146, v148, v149
	s_andn2_b64 exec, exec, s[4:5]
	s_cbranch_execnz .LBB58_103
; %bb.104:
	s_or_b64 exec, exec, s[4:5]
.LBB58_105:
	s_or_b64 exec, exec, s[12:13]
	v_mov_b32_e32 v145, 0
	ds_read_b32 v145, v145 offset:188
	s_waitcnt lgkmcnt(0)
	v_mul_f32_e32 v145, v146, v145
	buffer_store_dword v145, off, s[0:3], 0 offset:188
.LBB58_106:
	s_or_b64 exec, exec, s[8:9]
	buffer_load_dword v145, off, s[0:3], 0 offset:184
	v_cmp_lt_u32_e64 s[4:5], 46, v0
	s_waitcnt vmcnt(0)
	ds_write_b32 v120, v145
	s_waitcnt lgkmcnt(0)
	; wave barrier
	s_waitcnt lgkmcnt(0)
	s_and_saveexec_b64 s[8:9], s[4:5]
	s_cbranch_execz .LBB58_116
; %bb.107:
	s_andn2_b64 vcc, exec, s[10:11]
	s_cbranch_vccnz .LBB58_109
; %bb.108:
	buffer_load_dword v145, v121, s[0:3], 0 offen
	ds_read_b32 v146, v120
	s_waitcnt vmcnt(0) lgkmcnt(0)
	v_mul_f32_e32 v145, v145, v146
	s_cbranch_execz .LBB58_110
	s_branch .LBB58_111
.LBB58_109:
                                        ; implicit-def: $vgpr145
.LBB58_110:
	ds_read_b32 v145, v120
.LBB58_111:
	s_and_saveexec_b64 s[12:13], s[6:7]
	s_cbranch_execz .LBB58_115
; %bb.112:
	v_mov_b32_e32 v146, 0
	v_add_u32_e32 v146, 0xbc, v146
	v_subrev_u32_e32 v147, 47, v0
	s_movk_i32 s14, 0x1ac
	s_mov_b64 s[6:7], 0
.LBB58_113:                             ; =>This Inner Loop Header: Depth=1
	buffer_load_dword v148, v146, s[0:3], 0 offen
	v_mov_b32_e32 v149, s14
	ds_read_b32 v149, v149
	v_add_u32_e32 v147, -1, v147
	s_add_i32 s14, s14, 4
	v_cmp_eq_u32_e32 vcc, 0, v147
	v_add_u32_e32 v146, 4, v146
	s_or_b64 s[6:7], vcc, s[6:7]
	s_waitcnt vmcnt(0) lgkmcnt(0)
	v_fmac_f32_e32 v145, v148, v149
	s_andn2_b64 exec, exec, s[6:7]
	s_cbranch_execnz .LBB58_113
; %bb.114:
	s_or_b64 exec, exec, s[6:7]
.LBB58_115:
	s_or_b64 exec, exec, s[12:13]
	v_mov_b32_e32 v146, 0
	ds_read_b32 v146, v146 offset:184
	s_waitcnt lgkmcnt(0)
	v_mul_f32_e32 v145, v145, v146
	buffer_store_dword v145, off, s[0:3], 0 offset:184
.LBB58_116:
	s_or_b64 exec, exec, s[8:9]
	buffer_load_dword v145, off, s[0:3], 0 offset:180
	v_cmp_lt_u32_e64 s[6:7], 45, v0
	s_waitcnt vmcnt(0)
	ds_write_b32 v120, v145
	s_waitcnt lgkmcnt(0)
	; wave barrier
	s_waitcnt lgkmcnt(0)
	s_and_saveexec_b64 s[8:9], s[6:7]
	s_cbranch_execz .LBB58_126
; %bb.117:
	s_andn2_b64 vcc, exec, s[10:11]
	s_cbranch_vccnz .LBB58_119
; %bb.118:
	buffer_load_dword v145, v121, s[0:3], 0 offen
	ds_read_b32 v146, v120
	s_waitcnt vmcnt(0) lgkmcnt(0)
	v_mul_f32_e32 v145, v145, v146
	s_cbranch_execz .LBB58_120
	s_branch .LBB58_121
.LBB58_119:
                                        ; implicit-def: $vgpr145
.LBB58_120:
	ds_read_b32 v145, v120
.LBB58_121:
	s_and_saveexec_b64 s[12:13], s[4:5]
	s_cbranch_execz .LBB58_125
; %bb.122:
	v_subrev_u32_e32 v146, 46, v0
	s_movk_i32 s14, 0x1a8
	s_mov_b64 s[4:5], 0
.LBB58_123:                             ; =>This Inner Loop Header: Depth=1
	buffer_load_dword v147, v144, s[0:3], 0 offen
	v_mov_b32_e32 v148, s14
	ds_read_b32 v148, v148
	v_add_u32_e32 v146, -1, v146
	s_add_i32 s14, s14, 4
	v_cmp_eq_u32_e32 vcc, 0, v146
	v_add_u32_e32 v144, 4, v144
	s_or_b64 s[4:5], vcc, s[4:5]
	s_waitcnt vmcnt(0) lgkmcnt(0)
	v_fmac_f32_e32 v145, v147, v148
	s_andn2_b64 exec, exec, s[4:5]
	s_cbranch_execnz .LBB58_123
; %bb.124:
	s_or_b64 exec, exec, s[4:5]
.LBB58_125:
	s_or_b64 exec, exec, s[12:13]
	v_mov_b32_e32 v144, 0
	ds_read_b32 v144, v144 offset:180
	s_waitcnt lgkmcnt(0)
	v_mul_f32_e32 v144, v145, v144
	buffer_store_dword v144, off, s[0:3], 0 offset:180
.LBB58_126:
	s_or_b64 exec, exec, s[8:9]
	buffer_load_dword v144, off, s[0:3], 0 offset:176
	v_cmp_lt_u32_e64 s[4:5], 44, v0
	s_waitcnt vmcnt(0)
	ds_write_b32 v120, v144
	s_waitcnt lgkmcnt(0)
	; wave barrier
	s_waitcnt lgkmcnt(0)
	s_and_saveexec_b64 s[8:9], s[4:5]
	s_cbranch_execz .LBB58_136
; %bb.127:
	s_andn2_b64 vcc, exec, s[10:11]
	s_cbranch_vccnz .LBB58_129
; %bb.128:
	buffer_load_dword v144, v121, s[0:3], 0 offen
	ds_read_b32 v145, v120
	s_waitcnt vmcnt(0) lgkmcnt(0)
	v_mul_f32_e32 v144, v144, v145
	s_cbranch_execz .LBB58_130
	s_branch .LBB58_131
.LBB58_129:
                                        ; implicit-def: $vgpr144
.LBB58_130:
	ds_read_b32 v144, v120
.LBB58_131:
	s_and_saveexec_b64 s[12:13], s[6:7]
	s_cbranch_execz .LBB58_135
; %bb.132:
	v_mov_b32_e32 v145, 0
	v_add_u32_e32 v145, 0xb4, v145
	v_subrev_u32_e32 v146, 45, v0
	s_movk_i32 s14, 0x1a4
	s_mov_b64 s[6:7], 0
.LBB58_133:                             ; =>This Inner Loop Header: Depth=1
	buffer_load_dword v147, v145, s[0:3], 0 offen
	v_mov_b32_e32 v148, s14
	ds_read_b32 v148, v148
	v_add_u32_e32 v146, -1, v146
	s_add_i32 s14, s14, 4
	v_cmp_eq_u32_e32 vcc, 0, v146
	v_add_u32_e32 v145, 4, v145
	s_or_b64 s[6:7], vcc, s[6:7]
	s_waitcnt vmcnt(0) lgkmcnt(0)
	v_fmac_f32_e32 v144, v147, v148
	s_andn2_b64 exec, exec, s[6:7]
	s_cbranch_execnz .LBB58_133
; %bb.134:
	s_or_b64 exec, exec, s[6:7]
.LBB58_135:
	s_or_b64 exec, exec, s[12:13]
	v_mov_b32_e32 v145, 0
	ds_read_b32 v145, v145 offset:176
	s_waitcnt lgkmcnt(0)
	v_mul_f32_e32 v144, v144, v145
	buffer_store_dword v144, off, s[0:3], 0 offset:176
.LBB58_136:
	s_or_b64 exec, exec, s[8:9]
	buffer_load_dword v144, off, s[0:3], 0 offset:172
	v_cmp_lt_u32_e64 s[6:7], 43, v0
	s_waitcnt vmcnt(0)
	ds_write_b32 v120, v144
	s_waitcnt lgkmcnt(0)
	; wave barrier
	s_waitcnt lgkmcnt(0)
	s_and_saveexec_b64 s[8:9], s[6:7]
	s_cbranch_execz .LBB58_146
; %bb.137:
	s_andn2_b64 vcc, exec, s[10:11]
	s_cbranch_vccnz .LBB58_139
; %bb.138:
	buffer_load_dword v144, v121, s[0:3], 0 offen
	ds_read_b32 v145, v120
	s_waitcnt vmcnt(0) lgkmcnt(0)
	v_mul_f32_e32 v144, v144, v145
	s_cbranch_execz .LBB58_140
	s_branch .LBB58_141
.LBB58_139:
                                        ; implicit-def: $vgpr144
.LBB58_140:
	ds_read_b32 v144, v120
.LBB58_141:
	s_and_saveexec_b64 s[12:13], s[4:5]
	s_cbranch_execz .LBB58_145
; %bb.142:
	v_subrev_u32_e32 v145, 44, v0
	s_movk_i32 s14, 0x1a0
	s_mov_b64 s[4:5], 0
.LBB58_143:                             ; =>This Inner Loop Header: Depth=1
	buffer_load_dword v146, v143, s[0:3], 0 offen
	v_mov_b32_e32 v147, s14
	ds_read_b32 v147, v147
	v_add_u32_e32 v145, -1, v145
	s_add_i32 s14, s14, 4
	v_cmp_eq_u32_e32 vcc, 0, v145
	v_add_u32_e32 v143, 4, v143
	s_or_b64 s[4:5], vcc, s[4:5]
	s_waitcnt vmcnt(0) lgkmcnt(0)
	v_fmac_f32_e32 v144, v146, v147
	s_andn2_b64 exec, exec, s[4:5]
	s_cbranch_execnz .LBB58_143
; %bb.144:
	s_or_b64 exec, exec, s[4:5]
.LBB58_145:
	s_or_b64 exec, exec, s[12:13]
	v_mov_b32_e32 v143, 0
	ds_read_b32 v143, v143 offset:172
	s_waitcnt lgkmcnt(0)
	v_mul_f32_e32 v143, v144, v143
	buffer_store_dword v143, off, s[0:3], 0 offset:172
.LBB58_146:
	s_or_b64 exec, exec, s[8:9]
	buffer_load_dword v143, off, s[0:3], 0 offset:168
	v_cmp_lt_u32_e64 s[4:5], 42, v0
	s_waitcnt vmcnt(0)
	ds_write_b32 v120, v143
	s_waitcnt lgkmcnt(0)
	; wave barrier
	s_waitcnt lgkmcnt(0)
	s_and_saveexec_b64 s[8:9], s[4:5]
	s_cbranch_execz .LBB58_156
; %bb.147:
	s_andn2_b64 vcc, exec, s[10:11]
	s_cbranch_vccnz .LBB58_149
; %bb.148:
	buffer_load_dword v143, v121, s[0:3], 0 offen
	ds_read_b32 v144, v120
	s_waitcnt vmcnt(0) lgkmcnt(0)
	v_mul_f32_e32 v143, v143, v144
	s_cbranch_execz .LBB58_150
	s_branch .LBB58_151
.LBB58_149:
                                        ; implicit-def: $vgpr143
.LBB58_150:
	ds_read_b32 v143, v120
.LBB58_151:
	s_and_saveexec_b64 s[12:13], s[6:7]
	s_cbranch_execz .LBB58_155
; %bb.152:
	v_mov_b32_e32 v144, 0
	v_add_u32_e32 v144, 0xac, v144
	v_subrev_u32_e32 v145, 43, v0
	s_movk_i32 s14, 0x19c
	s_mov_b64 s[6:7], 0
.LBB58_153:                             ; =>This Inner Loop Header: Depth=1
	buffer_load_dword v146, v144, s[0:3], 0 offen
	v_mov_b32_e32 v147, s14
	ds_read_b32 v147, v147
	v_add_u32_e32 v145, -1, v145
	s_add_i32 s14, s14, 4
	v_cmp_eq_u32_e32 vcc, 0, v145
	v_add_u32_e32 v144, 4, v144
	s_or_b64 s[6:7], vcc, s[6:7]
	s_waitcnt vmcnt(0) lgkmcnt(0)
	v_fmac_f32_e32 v143, v146, v147
	s_andn2_b64 exec, exec, s[6:7]
	s_cbranch_execnz .LBB58_153
; %bb.154:
	s_or_b64 exec, exec, s[6:7]
.LBB58_155:
	s_or_b64 exec, exec, s[12:13]
	v_mov_b32_e32 v144, 0
	ds_read_b32 v144, v144 offset:168
	s_waitcnt lgkmcnt(0)
	v_mul_f32_e32 v143, v143, v144
	buffer_store_dword v143, off, s[0:3], 0 offset:168
.LBB58_156:
	s_or_b64 exec, exec, s[8:9]
	buffer_load_dword v143, off, s[0:3], 0 offset:164
	v_cmp_lt_u32_e64 s[6:7], 41, v0
	s_waitcnt vmcnt(0)
	ds_write_b32 v120, v143
	s_waitcnt lgkmcnt(0)
	; wave barrier
	s_waitcnt lgkmcnt(0)
	s_and_saveexec_b64 s[8:9], s[6:7]
	s_cbranch_execz .LBB58_166
; %bb.157:
	s_andn2_b64 vcc, exec, s[10:11]
	s_cbranch_vccnz .LBB58_159
; %bb.158:
	buffer_load_dword v143, v121, s[0:3], 0 offen
	ds_read_b32 v144, v120
	s_waitcnt vmcnt(0) lgkmcnt(0)
	v_mul_f32_e32 v143, v143, v144
	s_cbranch_execz .LBB58_160
	s_branch .LBB58_161
.LBB58_159:
                                        ; implicit-def: $vgpr143
.LBB58_160:
	ds_read_b32 v143, v120
.LBB58_161:
	s_and_saveexec_b64 s[12:13], s[4:5]
	s_cbranch_execz .LBB58_165
; %bb.162:
	v_subrev_u32_e32 v144, 42, v0
	s_movk_i32 s14, 0x198
	s_mov_b64 s[4:5], 0
.LBB58_163:                             ; =>This Inner Loop Header: Depth=1
	buffer_load_dword v145, v142, s[0:3], 0 offen
	v_mov_b32_e32 v146, s14
	ds_read_b32 v146, v146
	v_add_u32_e32 v144, -1, v144
	s_add_i32 s14, s14, 4
	v_cmp_eq_u32_e32 vcc, 0, v144
	v_add_u32_e32 v142, 4, v142
	s_or_b64 s[4:5], vcc, s[4:5]
	s_waitcnt vmcnt(0) lgkmcnt(0)
	v_fmac_f32_e32 v143, v145, v146
	s_andn2_b64 exec, exec, s[4:5]
	s_cbranch_execnz .LBB58_163
; %bb.164:
	s_or_b64 exec, exec, s[4:5]
.LBB58_165:
	s_or_b64 exec, exec, s[12:13]
	v_mov_b32_e32 v142, 0
	ds_read_b32 v142, v142 offset:164
	s_waitcnt lgkmcnt(0)
	v_mul_f32_e32 v142, v143, v142
	buffer_store_dword v142, off, s[0:3], 0 offset:164
.LBB58_166:
	s_or_b64 exec, exec, s[8:9]
	buffer_load_dword v142, off, s[0:3], 0 offset:160
	v_cmp_lt_u32_e64 s[4:5], 40, v0
	s_waitcnt vmcnt(0)
	ds_write_b32 v120, v142
	s_waitcnt lgkmcnt(0)
	; wave barrier
	s_waitcnt lgkmcnt(0)
	s_and_saveexec_b64 s[8:9], s[4:5]
	s_cbranch_execz .LBB58_176
; %bb.167:
	s_andn2_b64 vcc, exec, s[10:11]
	s_cbranch_vccnz .LBB58_169
; %bb.168:
	buffer_load_dword v142, v121, s[0:3], 0 offen
	ds_read_b32 v143, v120
	s_waitcnt vmcnt(0) lgkmcnt(0)
	v_mul_f32_e32 v142, v142, v143
	s_cbranch_execz .LBB58_170
	s_branch .LBB58_171
.LBB58_169:
                                        ; implicit-def: $vgpr142
.LBB58_170:
	ds_read_b32 v142, v120
.LBB58_171:
	s_and_saveexec_b64 s[12:13], s[6:7]
	s_cbranch_execz .LBB58_175
; %bb.172:
	v_mov_b32_e32 v143, 0
	v_add_u32_e32 v143, 0xa4, v143
	v_subrev_u32_e32 v144, 41, v0
	s_movk_i32 s14, 0x194
	s_mov_b64 s[6:7], 0
.LBB58_173:                             ; =>This Inner Loop Header: Depth=1
	buffer_load_dword v145, v143, s[0:3], 0 offen
	v_mov_b32_e32 v146, s14
	ds_read_b32 v146, v146
	v_add_u32_e32 v144, -1, v144
	s_add_i32 s14, s14, 4
	v_cmp_eq_u32_e32 vcc, 0, v144
	v_add_u32_e32 v143, 4, v143
	s_or_b64 s[6:7], vcc, s[6:7]
	s_waitcnt vmcnt(0) lgkmcnt(0)
	v_fmac_f32_e32 v142, v145, v146
	s_andn2_b64 exec, exec, s[6:7]
	s_cbranch_execnz .LBB58_173
; %bb.174:
	s_or_b64 exec, exec, s[6:7]
.LBB58_175:
	s_or_b64 exec, exec, s[12:13]
	v_mov_b32_e32 v143, 0
	ds_read_b32 v143, v143 offset:160
	s_waitcnt lgkmcnt(0)
	v_mul_f32_e32 v142, v142, v143
	buffer_store_dword v142, off, s[0:3], 0 offset:160
.LBB58_176:
	s_or_b64 exec, exec, s[8:9]
	buffer_load_dword v142, off, s[0:3], 0 offset:156
	v_cmp_lt_u32_e64 s[6:7], 39, v0
	s_waitcnt vmcnt(0)
	ds_write_b32 v120, v142
	s_waitcnt lgkmcnt(0)
	; wave barrier
	s_waitcnt lgkmcnt(0)
	s_and_saveexec_b64 s[8:9], s[6:7]
	s_cbranch_execz .LBB58_186
; %bb.177:
	s_andn2_b64 vcc, exec, s[10:11]
	s_cbranch_vccnz .LBB58_179
; %bb.178:
	buffer_load_dword v142, v121, s[0:3], 0 offen
	ds_read_b32 v143, v120
	s_waitcnt vmcnt(0) lgkmcnt(0)
	v_mul_f32_e32 v142, v142, v143
	s_cbranch_execz .LBB58_180
	s_branch .LBB58_181
.LBB58_179:
                                        ; implicit-def: $vgpr142
.LBB58_180:
	ds_read_b32 v142, v120
.LBB58_181:
	s_and_saveexec_b64 s[12:13], s[4:5]
	s_cbranch_execz .LBB58_185
; %bb.182:
	v_subrev_u32_e32 v143, 40, v0
	s_movk_i32 s14, 0x190
	s_mov_b64 s[4:5], 0
.LBB58_183:                             ; =>This Inner Loop Header: Depth=1
	buffer_load_dword v144, v141, s[0:3], 0 offen
	v_mov_b32_e32 v145, s14
	ds_read_b32 v145, v145
	v_add_u32_e32 v143, -1, v143
	s_add_i32 s14, s14, 4
	v_cmp_eq_u32_e32 vcc, 0, v143
	v_add_u32_e32 v141, 4, v141
	s_or_b64 s[4:5], vcc, s[4:5]
	s_waitcnt vmcnt(0) lgkmcnt(0)
	v_fmac_f32_e32 v142, v144, v145
	s_andn2_b64 exec, exec, s[4:5]
	s_cbranch_execnz .LBB58_183
; %bb.184:
	s_or_b64 exec, exec, s[4:5]
.LBB58_185:
	s_or_b64 exec, exec, s[12:13]
	v_mov_b32_e32 v141, 0
	ds_read_b32 v141, v141 offset:156
	s_waitcnt lgkmcnt(0)
	v_mul_f32_e32 v141, v142, v141
	buffer_store_dword v141, off, s[0:3], 0 offset:156
.LBB58_186:
	s_or_b64 exec, exec, s[8:9]
	buffer_load_dword v141, off, s[0:3], 0 offset:152
	v_cmp_lt_u32_e64 s[4:5], 38, v0
	s_waitcnt vmcnt(0)
	ds_write_b32 v120, v141
	s_waitcnt lgkmcnt(0)
	; wave barrier
	s_waitcnt lgkmcnt(0)
	s_and_saveexec_b64 s[8:9], s[4:5]
	s_cbranch_execz .LBB58_196
; %bb.187:
	s_andn2_b64 vcc, exec, s[10:11]
	s_cbranch_vccnz .LBB58_189
; %bb.188:
	buffer_load_dword v141, v121, s[0:3], 0 offen
	ds_read_b32 v142, v120
	s_waitcnt vmcnt(0) lgkmcnt(0)
	v_mul_f32_e32 v141, v141, v142
	s_cbranch_execz .LBB58_190
	s_branch .LBB58_191
.LBB58_189:
                                        ; implicit-def: $vgpr141
.LBB58_190:
	ds_read_b32 v141, v120
.LBB58_191:
	s_and_saveexec_b64 s[12:13], s[6:7]
	s_cbranch_execz .LBB58_195
; %bb.192:
	v_mov_b32_e32 v142, 0
	v_add_u32_e32 v142, 0x9c, v142
	v_subrev_u32_e32 v143, 39, v0
	s_movk_i32 s14, 0x18c
	s_mov_b64 s[6:7], 0
.LBB58_193:                             ; =>This Inner Loop Header: Depth=1
	buffer_load_dword v144, v142, s[0:3], 0 offen
	v_mov_b32_e32 v145, s14
	ds_read_b32 v145, v145
	v_add_u32_e32 v143, -1, v143
	s_add_i32 s14, s14, 4
	v_cmp_eq_u32_e32 vcc, 0, v143
	v_add_u32_e32 v142, 4, v142
	s_or_b64 s[6:7], vcc, s[6:7]
	s_waitcnt vmcnt(0) lgkmcnt(0)
	v_fmac_f32_e32 v141, v144, v145
	s_andn2_b64 exec, exec, s[6:7]
	s_cbranch_execnz .LBB58_193
; %bb.194:
	s_or_b64 exec, exec, s[6:7]
.LBB58_195:
	s_or_b64 exec, exec, s[12:13]
	v_mov_b32_e32 v142, 0
	ds_read_b32 v142, v142 offset:152
	s_waitcnt lgkmcnt(0)
	v_mul_f32_e32 v141, v141, v142
	buffer_store_dword v141, off, s[0:3], 0 offset:152
.LBB58_196:
	s_or_b64 exec, exec, s[8:9]
	buffer_load_dword v141, off, s[0:3], 0 offset:148
	v_cmp_lt_u32_e64 s[6:7], 37, v0
	s_waitcnt vmcnt(0)
	ds_write_b32 v120, v141
	s_waitcnt lgkmcnt(0)
	; wave barrier
	s_waitcnt lgkmcnt(0)
	s_and_saveexec_b64 s[8:9], s[6:7]
	s_cbranch_execz .LBB58_206
; %bb.197:
	s_andn2_b64 vcc, exec, s[10:11]
	s_cbranch_vccnz .LBB58_199
; %bb.198:
	buffer_load_dword v141, v121, s[0:3], 0 offen
	ds_read_b32 v142, v120
	s_waitcnt vmcnt(0) lgkmcnt(0)
	v_mul_f32_e32 v141, v141, v142
	s_cbranch_execz .LBB58_200
	s_branch .LBB58_201
.LBB58_199:
                                        ; implicit-def: $vgpr141
.LBB58_200:
	ds_read_b32 v141, v120
.LBB58_201:
	s_and_saveexec_b64 s[12:13], s[4:5]
	s_cbranch_execz .LBB58_205
; %bb.202:
	v_subrev_u32_e32 v142, 38, v0
	s_movk_i32 s14, 0x188
	s_mov_b64 s[4:5], 0
.LBB58_203:                             ; =>This Inner Loop Header: Depth=1
	buffer_load_dword v143, v140, s[0:3], 0 offen
	v_mov_b32_e32 v144, s14
	ds_read_b32 v144, v144
	v_add_u32_e32 v142, -1, v142
	s_add_i32 s14, s14, 4
	v_cmp_eq_u32_e32 vcc, 0, v142
	v_add_u32_e32 v140, 4, v140
	s_or_b64 s[4:5], vcc, s[4:5]
	s_waitcnt vmcnt(0) lgkmcnt(0)
	v_fmac_f32_e32 v141, v143, v144
	s_andn2_b64 exec, exec, s[4:5]
	s_cbranch_execnz .LBB58_203
; %bb.204:
	s_or_b64 exec, exec, s[4:5]
.LBB58_205:
	s_or_b64 exec, exec, s[12:13]
	v_mov_b32_e32 v140, 0
	ds_read_b32 v140, v140 offset:148
	s_waitcnt lgkmcnt(0)
	v_mul_f32_e32 v140, v141, v140
	buffer_store_dword v140, off, s[0:3], 0 offset:148
.LBB58_206:
	s_or_b64 exec, exec, s[8:9]
	buffer_load_dword v140, off, s[0:3], 0 offset:144
	v_cmp_lt_u32_e64 s[4:5], 36, v0
	s_waitcnt vmcnt(0)
	ds_write_b32 v120, v140
	s_waitcnt lgkmcnt(0)
	; wave barrier
	s_waitcnt lgkmcnt(0)
	s_and_saveexec_b64 s[8:9], s[4:5]
	s_cbranch_execz .LBB58_216
; %bb.207:
	s_andn2_b64 vcc, exec, s[10:11]
	s_cbranch_vccnz .LBB58_209
; %bb.208:
	buffer_load_dword v140, v121, s[0:3], 0 offen
	ds_read_b32 v141, v120
	s_waitcnt vmcnt(0) lgkmcnt(0)
	v_mul_f32_e32 v140, v140, v141
	s_cbranch_execz .LBB58_210
	s_branch .LBB58_211
.LBB58_209:
                                        ; implicit-def: $vgpr140
.LBB58_210:
	ds_read_b32 v140, v120
.LBB58_211:
	s_and_saveexec_b64 s[12:13], s[6:7]
	s_cbranch_execz .LBB58_215
; %bb.212:
	v_mov_b32_e32 v141, 0
	v_add_u32_e32 v141, 0x94, v141
	v_subrev_u32_e32 v142, 37, v0
	s_movk_i32 s14, 0x184
	s_mov_b64 s[6:7], 0
.LBB58_213:                             ; =>This Inner Loop Header: Depth=1
	buffer_load_dword v143, v141, s[0:3], 0 offen
	v_mov_b32_e32 v144, s14
	ds_read_b32 v144, v144
	v_add_u32_e32 v142, -1, v142
	s_add_i32 s14, s14, 4
	v_cmp_eq_u32_e32 vcc, 0, v142
	v_add_u32_e32 v141, 4, v141
	s_or_b64 s[6:7], vcc, s[6:7]
	s_waitcnt vmcnt(0) lgkmcnt(0)
	v_fmac_f32_e32 v140, v143, v144
	s_andn2_b64 exec, exec, s[6:7]
	s_cbranch_execnz .LBB58_213
; %bb.214:
	s_or_b64 exec, exec, s[6:7]
.LBB58_215:
	s_or_b64 exec, exec, s[12:13]
	v_mov_b32_e32 v141, 0
	ds_read_b32 v141, v141 offset:144
	s_waitcnt lgkmcnt(0)
	v_mul_f32_e32 v140, v140, v141
	buffer_store_dword v140, off, s[0:3], 0 offset:144
.LBB58_216:
	s_or_b64 exec, exec, s[8:9]
	buffer_load_dword v140, off, s[0:3], 0 offset:140
	v_cmp_lt_u32_e64 s[6:7], 35, v0
	s_waitcnt vmcnt(0)
	ds_write_b32 v120, v140
	s_waitcnt lgkmcnt(0)
	; wave barrier
	s_waitcnt lgkmcnt(0)
	s_and_saveexec_b64 s[8:9], s[6:7]
	s_cbranch_execz .LBB58_226
; %bb.217:
	s_andn2_b64 vcc, exec, s[10:11]
	s_cbranch_vccnz .LBB58_219
; %bb.218:
	buffer_load_dword v140, v121, s[0:3], 0 offen
	ds_read_b32 v141, v120
	s_waitcnt vmcnt(0) lgkmcnt(0)
	v_mul_f32_e32 v140, v140, v141
	s_cbranch_execz .LBB58_220
	s_branch .LBB58_221
.LBB58_219:
                                        ; implicit-def: $vgpr140
.LBB58_220:
	ds_read_b32 v140, v120
.LBB58_221:
	s_and_saveexec_b64 s[12:13], s[4:5]
	s_cbranch_execz .LBB58_225
; %bb.222:
	v_subrev_u32_e32 v141, 36, v0
	s_movk_i32 s14, 0x180
	s_mov_b64 s[4:5], 0
.LBB58_223:                             ; =>This Inner Loop Header: Depth=1
	buffer_load_dword v142, v139, s[0:3], 0 offen
	v_mov_b32_e32 v143, s14
	ds_read_b32 v143, v143
	v_add_u32_e32 v141, -1, v141
	s_add_i32 s14, s14, 4
	v_cmp_eq_u32_e32 vcc, 0, v141
	v_add_u32_e32 v139, 4, v139
	s_or_b64 s[4:5], vcc, s[4:5]
	s_waitcnt vmcnt(0) lgkmcnt(0)
	v_fmac_f32_e32 v140, v142, v143
	s_andn2_b64 exec, exec, s[4:5]
	s_cbranch_execnz .LBB58_223
; %bb.224:
	s_or_b64 exec, exec, s[4:5]
.LBB58_225:
	s_or_b64 exec, exec, s[12:13]
	v_mov_b32_e32 v139, 0
	ds_read_b32 v139, v139 offset:140
	s_waitcnt lgkmcnt(0)
	v_mul_f32_e32 v139, v140, v139
	buffer_store_dword v139, off, s[0:3], 0 offset:140
.LBB58_226:
	s_or_b64 exec, exec, s[8:9]
	buffer_load_dword v139, off, s[0:3], 0 offset:136
	v_cmp_lt_u32_e64 s[4:5], 34, v0
	s_waitcnt vmcnt(0)
	ds_write_b32 v120, v139
	s_waitcnt lgkmcnt(0)
	; wave barrier
	s_waitcnt lgkmcnt(0)
	s_and_saveexec_b64 s[8:9], s[4:5]
	s_cbranch_execz .LBB58_236
; %bb.227:
	s_andn2_b64 vcc, exec, s[10:11]
	s_cbranch_vccnz .LBB58_229
; %bb.228:
	buffer_load_dword v139, v121, s[0:3], 0 offen
	ds_read_b32 v140, v120
	s_waitcnt vmcnt(0) lgkmcnt(0)
	v_mul_f32_e32 v139, v139, v140
	s_cbranch_execz .LBB58_230
	s_branch .LBB58_231
.LBB58_229:
                                        ; implicit-def: $vgpr139
.LBB58_230:
	ds_read_b32 v139, v120
.LBB58_231:
	s_and_saveexec_b64 s[12:13], s[6:7]
	s_cbranch_execz .LBB58_235
; %bb.232:
	v_mov_b32_e32 v140, 0
	v_add_u32_e32 v140, 0x8c, v140
	v_subrev_u32_e32 v141, 35, v0
	s_movk_i32 s14, 0x17c
	s_mov_b64 s[6:7], 0
.LBB58_233:                             ; =>This Inner Loop Header: Depth=1
	buffer_load_dword v142, v140, s[0:3], 0 offen
	v_mov_b32_e32 v143, s14
	ds_read_b32 v143, v143
	v_add_u32_e32 v141, -1, v141
	s_add_i32 s14, s14, 4
	v_cmp_eq_u32_e32 vcc, 0, v141
	v_add_u32_e32 v140, 4, v140
	s_or_b64 s[6:7], vcc, s[6:7]
	s_waitcnt vmcnt(0) lgkmcnt(0)
	v_fmac_f32_e32 v139, v142, v143
	s_andn2_b64 exec, exec, s[6:7]
	s_cbranch_execnz .LBB58_233
; %bb.234:
	s_or_b64 exec, exec, s[6:7]
.LBB58_235:
	s_or_b64 exec, exec, s[12:13]
	v_mov_b32_e32 v140, 0
	ds_read_b32 v140, v140 offset:136
	s_waitcnt lgkmcnt(0)
	v_mul_f32_e32 v139, v139, v140
	buffer_store_dword v139, off, s[0:3], 0 offset:136
.LBB58_236:
	s_or_b64 exec, exec, s[8:9]
	buffer_load_dword v139, off, s[0:3], 0 offset:132
	v_cmp_lt_u32_e64 s[6:7], 33, v0
	s_waitcnt vmcnt(0)
	ds_write_b32 v120, v139
	s_waitcnt lgkmcnt(0)
	; wave barrier
	s_waitcnt lgkmcnt(0)
	s_and_saveexec_b64 s[8:9], s[6:7]
	s_cbranch_execz .LBB58_246
; %bb.237:
	s_andn2_b64 vcc, exec, s[10:11]
	s_cbranch_vccnz .LBB58_239
; %bb.238:
	buffer_load_dword v139, v121, s[0:3], 0 offen
	ds_read_b32 v140, v120
	s_waitcnt vmcnt(0) lgkmcnt(0)
	v_mul_f32_e32 v139, v139, v140
	s_cbranch_execz .LBB58_240
	s_branch .LBB58_241
.LBB58_239:
                                        ; implicit-def: $vgpr139
.LBB58_240:
	ds_read_b32 v139, v120
.LBB58_241:
	s_and_saveexec_b64 s[12:13], s[4:5]
	s_cbranch_execz .LBB58_245
; %bb.242:
	v_subrev_u32_e32 v140, 34, v0
	s_movk_i32 s14, 0x178
	s_mov_b64 s[4:5], 0
.LBB58_243:                             ; =>This Inner Loop Header: Depth=1
	buffer_load_dword v141, v138, s[0:3], 0 offen
	v_mov_b32_e32 v142, s14
	ds_read_b32 v142, v142
	v_add_u32_e32 v140, -1, v140
	s_add_i32 s14, s14, 4
	v_cmp_eq_u32_e32 vcc, 0, v140
	v_add_u32_e32 v138, 4, v138
	s_or_b64 s[4:5], vcc, s[4:5]
	s_waitcnt vmcnt(0) lgkmcnt(0)
	v_fmac_f32_e32 v139, v141, v142
	s_andn2_b64 exec, exec, s[4:5]
	s_cbranch_execnz .LBB58_243
; %bb.244:
	s_or_b64 exec, exec, s[4:5]
.LBB58_245:
	s_or_b64 exec, exec, s[12:13]
	v_mov_b32_e32 v138, 0
	ds_read_b32 v138, v138 offset:132
	s_waitcnt lgkmcnt(0)
	v_mul_f32_e32 v138, v139, v138
	buffer_store_dword v138, off, s[0:3], 0 offset:132
.LBB58_246:
	s_or_b64 exec, exec, s[8:9]
	buffer_load_dword v138, off, s[0:3], 0 offset:128
	v_cmp_lt_u32_e64 s[4:5], 32, v0
	s_waitcnt vmcnt(0)
	ds_write_b32 v120, v138
	s_waitcnt lgkmcnt(0)
	; wave barrier
	s_waitcnt lgkmcnt(0)
	s_and_saveexec_b64 s[8:9], s[4:5]
	s_cbranch_execz .LBB58_256
; %bb.247:
	s_andn2_b64 vcc, exec, s[10:11]
	s_cbranch_vccnz .LBB58_249
; %bb.248:
	buffer_load_dword v138, v121, s[0:3], 0 offen
	ds_read_b32 v139, v120
	s_waitcnt vmcnt(0) lgkmcnt(0)
	v_mul_f32_e32 v138, v138, v139
	s_cbranch_execz .LBB58_250
	s_branch .LBB58_251
.LBB58_249:
                                        ; implicit-def: $vgpr138
.LBB58_250:
	ds_read_b32 v138, v120
.LBB58_251:
	s_and_saveexec_b64 s[12:13], s[6:7]
	s_cbranch_execz .LBB58_255
; %bb.252:
	v_mov_b32_e32 v139, 0
	v_add_u32_e32 v139, 0x84, v139
	v_subrev_u32_e32 v140, 33, v0
	s_movk_i32 s14, 0x174
	s_mov_b64 s[6:7], 0
.LBB58_253:                             ; =>This Inner Loop Header: Depth=1
	buffer_load_dword v141, v139, s[0:3], 0 offen
	v_mov_b32_e32 v142, s14
	ds_read_b32 v142, v142
	v_add_u32_e32 v140, -1, v140
	s_add_i32 s14, s14, 4
	v_cmp_eq_u32_e32 vcc, 0, v140
	v_add_u32_e32 v139, 4, v139
	s_or_b64 s[6:7], vcc, s[6:7]
	s_waitcnt vmcnt(0) lgkmcnt(0)
	v_fmac_f32_e32 v138, v141, v142
	s_andn2_b64 exec, exec, s[6:7]
	s_cbranch_execnz .LBB58_253
; %bb.254:
	s_or_b64 exec, exec, s[6:7]
.LBB58_255:
	s_or_b64 exec, exec, s[12:13]
	v_mov_b32_e32 v139, 0
	ds_read_b32 v139, v139 offset:128
	s_waitcnt lgkmcnt(0)
	v_mul_f32_e32 v138, v138, v139
	buffer_store_dword v138, off, s[0:3], 0 offset:128
.LBB58_256:
	s_or_b64 exec, exec, s[8:9]
	buffer_load_dword v138, off, s[0:3], 0 offset:124
	v_cmp_lt_u32_e64 s[6:7], 31, v0
	s_waitcnt vmcnt(0)
	ds_write_b32 v120, v138
	s_waitcnt lgkmcnt(0)
	; wave barrier
	s_waitcnt lgkmcnt(0)
	s_and_saveexec_b64 s[8:9], s[6:7]
	s_cbranch_execz .LBB58_266
; %bb.257:
	s_andn2_b64 vcc, exec, s[10:11]
	s_cbranch_vccnz .LBB58_259
; %bb.258:
	buffer_load_dword v138, v121, s[0:3], 0 offen
	ds_read_b32 v139, v120
	s_waitcnt vmcnt(0) lgkmcnt(0)
	v_mul_f32_e32 v138, v138, v139
	s_cbranch_execz .LBB58_260
	s_branch .LBB58_261
.LBB58_259:
                                        ; implicit-def: $vgpr138
.LBB58_260:
	ds_read_b32 v138, v120
.LBB58_261:
	s_and_saveexec_b64 s[12:13], s[4:5]
	s_cbranch_execz .LBB58_265
; %bb.262:
	v_subrev_u32_e32 v139, 32, v0
	s_movk_i32 s14, 0x170
	s_mov_b64 s[4:5], 0
.LBB58_263:                             ; =>This Inner Loop Header: Depth=1
	buffer_load_dword v140, v137, s[0:3], 0 offen
	v_mov_b32_e32 v141, s14
	ds_read_b32 v141, v141
	v_add_u32_e32 v139, -1, v139
	s_add_i32 s14, s14, 4
	v_cmp_eq_u32_e32 vcc, 0, v139
	v_add_u32_e32 v137, 4, v137
	s_or_b64 s[4:5], vcc, s[4:5]
	s_waitcnt vmcnt(0) lgkmcnt(0)
	v_fmac_f32_e32 v138, v140, v141
	s_andn2_b64 exec, exec, s[4:5]
	s_cbranch_execnz .LBB58_263
; %bb.264:
	s_or_b64 exec, exec, s[4:5]
.LBB58_265:
	s_or_b64 exec, exec, s[12:13]
	v_mov_b32_e32 v137, 0
	ds_read_b32 v137, v137 offset:124
	s_waitcnt lgkmcnt(0)
	v_mul_f32_e32 v137, v138, v137
	buffer_store_dword v137, off, s[0:3], 0 offset:124
.LBB58_266:
	s_or_b64 exec, exec, s[8:9]
	buffer_load_dword v137, off, s[0:3], 0 offset:120
	v_cmp_lt_u32_e64 s[4:5], 30, v0
	s_waitcnt vmcnt(0)
	ds_write_b32 v120, v137
	s_waitcnt lgkmcnt(0)
	; wave barrier
	s_waitcnt lgkmcnt(0)
	s_and_saveexec_b64 s[8:9], s[4:5]
	s_cbranch_execz .LBB58_276
; %bb.267:
	s_andn2_b64 vcc, exec, s[10:11]
	s_cbranch_vccnz .LBB58_269
; %bb.268:
	buffer_load_dword v137, v121, s[0:3], 0 offen
	ds_read_b32 v138, v120
	s_waitcnt vmcnt(0) lgkmcnt(0)
	v_mul_f32_e32 v137, v137, v138
	s_cbranch_execz .LBB58_270
	s_branch .LBB58_271
.LBB58_269:
                                        ; implicit-def: $vgpr137
.LBB58_270:
	ds_read_b32 v137, v120
.LBB58_271:
	s_and_saveexec_b64 s[12:13], s[6:7]
	s_cbranch_execz .LBB58_275
; %bb.272:
	v_mov_b32_e32 v138, 0
	v_add_u32_e32 v138, 0x7c, v138
	v_subrev_u32_e32 v139, 31, v0
	s_movk_i32 s14, 0x16c
	s_mov_b64 s[6:7], 0
.LBB58_273:                             ; =>This Inner Loop Header: Depth=1
	buffer_load_dword v140, v138, s[0:3], 0 offen
	v_mov_b32_e32 v141, s14
	ds_read_b32 v141, v141
	v_add_u32_e32 v139, -1, v139
	s_add_i32 s14, s14, 4
	v_cmp_eq_u32_e32 vcc, 0, v139
	v_add_u32_e32 v138, 4, v138
	s_or_b64 s[6:7], vcc, s[6:7]
	s_waitcnt vmcnt(0) lgkmcnt(0)
	v_fmac_f32_e32 v137, v140, v141
	s_andn2_b64 exec, exec, s[6:7]
	s_cbranch_execnz .LBB58_273
; %bb.274:
	s_or_b64 exec, exec, s[6:7]
.LBB58_275:
	s_or_b64 exec, exec, s[12:13]
	v_mov_b32_e32 v138, 0
	ds_read_b32 v138, v138 offset:120
	s_waitcnt lgkmcnt(0)
	v_mul_f32_e32 v137, v137, v138
	buffer_store_dword v137, off, s[0:3], 0 offset:120
.LBB58_276:
	s_or_b64 exec, exec, s[8:9]
	buffer_load_dword v137, off, s[0:3], 0 offset:116
	v_cmp_lt_u32_e64 s[6:7], 29, v0
	s_waitcnt vmcnt(0)
	ds_write_b32 v120, v137
	s_waitcnt lgkmcnt(0)
	; wave barrier
	s_waitcnt lgkmcnt(0)
	s_and_saveexec_b64 s[8:9], s[6:7]
	s_cbranch_execz .LBB58_286
; %bb.277:
	s_andn2_b64 vcc, exec, s[10:11]
	s_cbranch_vccnz .LBB58_279
; %bb.278:
	buffer_load_dword v137, v121, s[0:3], 0 offen
	ds_read_b32 v138, v120
	s_waitcnt vmcnt(0) lgkmcnt(0)
	v_mul_f32_e32 v137, v137, v138
	s_cbranch_execz .LBB58_280
	s_branch .LBB58_281
.LBB58_279:
                                        ; implicit-def: $vgpr137
.LBB58_280:
	ds_read_b32 v137, v120
.LBB58_281:
	s_and_saveexec_b64 s[12:13], s[4:5]
	s_cbranch_execz .LBB58_285
; %bb.282:
	v_subrev_u32_e32 v138, 30, v0
	s_movk_i32 s14, 0x168
	s_mov_b64 s[4:5], 0
.LBB58_283:                             ; =>This Inner Loop Header: Depth=1
	buffer_load_dword v139, v136, s[0:3], 0 offen
	v_mov_b32_e32 v140, s14
	ds_read_b32 v140, v140
	v_add_u32_e32 v138, -1, v138
	s_add_i32 s14, s14, 4
	v_cmp_eq_u32_e32 vcc, 0, v138
	v_add_u32_e32 v136, 4, v136
	s_or_b64 s[4:5], vcc, s[4:5]
	s_waitcnt vmcnt(0) lgkmcnt(0)
	v_fmac_f32_e32 v137, v139, v140
	s_andn2_b64 exec, exec, s[4:5]
	s_cbranch_execnz .LBB58_283
; %bb.284:
	s_or_b64 exec, exec, s[4:5]
.LBB58_285:
	s_or_b64 exec, exec, s[12:13]
	v_mov_b32_e32 v136, 0
	ds_read_b32 v136, v136 offset:116
	s_waitcnt lgkmcnt(0)
	v_mul_f32_e32 v136, v137, v136
	buffer_store_dword v136, off, s[0:3], 0 offset:116
.LBB58_286:
	s_or_b64 exec, exec, s[8:9]
	buffer_load_dword v136, off, s[0:3], 0 offset:112
	v_cmp_lt_u32_e64 s[4:5], 28, v0
	s_waitcnt vmcnt(0)
	ds_write_b32 v120, v136
	s_waitcnt lgkmcnt(0)
	; wave barrier
	s_waitcnt lgkmcnt(0)
	s_and_saveexec_b64 s[8:9], s[4:5]
	s_cbranch_execz .LBB58_296
; %bb.287:
	s_andn2_b64 vcc, exec, s[10:11]
	s_cbranch_vccnz .LBB58_289
; %bb.288:
	buffer_load_dword v136, v121, s[0:3], 0 offen
	ds_read_b32 v137, v120
	s_waitcnt vmcnt(0) lgkmcnt(0)
	v_mul_f32_e32 v136, v136, v137
	s_cbranch_execz .LBB58_290
	s_branch .LBB58_291
.LBB58_289:
                                        ; implicit-def: $vgpr136
.LBB58_290:
	ds_read_b32 v136, v120
.LBB58_291:
	s_and_saveexec_b64 s[12:13], s[6:7]
	s_cbranch_execz .LBB58_295
; %bb.292:
	v_mov_b32_e32 v137, 0
	v_add_u32_e32 v137, 0x74, v137
	v_subrev_u32_e32 v138, 29, v0
	s_movk_i32 s14, 0x164
	s_mov_b64 s[6:7], 0
.LBB58_293:                             ; =>This Inner Loop Header: Depth=1
	buffer_load_dword v139, v137, s[0:3], 0 offen
	v_mov_b32_e32 v140, s14
	ds_read_b32 v140, v140
	v_add_u32_e32 v138, -1, v138
	s_add_i32 s14, s14, 4
	v_cmp_eq_u32_e32 vcc, 0, v138
	v_add_u32_e32 v137, 4, v137
	s_or_b64 s[6:7], vcc, s[6:7]
	s_waitcnt vmcnt(0) lgkmcnt(0)
	v_fmac_f32_e32 v136, v139, v140
	s_andn2_b64 exec, exec, s[6:7]
	s_cbranch_execnz .LBB58_293
; %bb.294:
	s_or_b64 exec, exec, s[6:7]
.LBB58_295:
	s_or_b64 exec, exec, s[12:13]
	v_mov_b32_e32 v137, 0
	ds_read_b32 v137, v137 offset:112
	s_waitcnt lgkmcnt(0)
	v_mul_f32_e32 v136, v136, v137
	buffer_store_dword v136, off, s[0:3], 0 offset:112
.LBB58_296:
	s_or_b64 exec, exec, s[8:9]
	buffer_load_dword v136, off, s[0:3], 0 offset:108
	v_cmp_lt_u32_e64 s[6:7], 27, v0
	s_waitcnt vmcnt(0)
	ds_write_b32 v120, v136
	s_waitcnt lgkmcnt(0)
	; wave barrier
	s_waitcnt lgkmcnt(0)
	s_and_saveexec_b64 s[8:9], s[6:7]
	s_cbranch_execz .LBB58_306
; %bb.297:
	s_andn2_b64 vcc, exec, s[10:11]
	s_cbranch_vccnz .LBB58_299
; %bb.298:
	buffer_load_dword v136, v121, s[0:3], 0 offen
	ds_read_b32 v137, v120
	s_waitcnt vmcnt(0) lgkmcnt(0)
	v_mul_f32_e32 v136, v136, v137
	s_cbranch_execz .LBB58_300
	s_branch .LBB58_301
.LBB58_299:
                                        ; implicit-def: $vgpr136
.LBB58_300:
	ds_read_b32 v136, v120
.LBB58_301:
	s_and_saveexec_b64 s[12:13], s[4:5]
	s_cbranch_execz .LBB58_305
; %bb.302:
	v_subrev_u32_e32 v137, 28, v0
	s_movk_i32 s14, 0x160
	s_mov_b64 s[4:5], 0
.LBB58_303:                             ; =>This Inner Loop Header: Depth=1
	buffer_load_dword v138, v135, s[0:3], 0 offen
	v_mov_b32_e32 v139, s14
	ds_read_b32 v139, v139
	v_add_u32_e32 v137, -1, v137
	s_add_i32 s14, s14, 4
	v_cmp_eq_u32_e32 vcc, 0, v137
	v_add_u32_e32 v135, 4, v135
	s_or_b64 s[4:5], vcc, s[4:5]
	s_waitcnt vmcnt(0) lgkmcnt(0)
	v_fmac_f32_e32 v136, v138, v139
	s_andn2_b64 exec, exec, s[4:5]
	s_cbranch_execnz .LBB58_303
; %bb.304:
	s_or_b64 exec, exec, s[4:5]
.LBB58_305:
	s_or_b64 exec, exec, s[12:13]
	v_mov_b32_e32 v135, 0
	ds_read_b32 v135, v135 offset:108
	s_waitcnt lgkmcnt(0)
	v_mul_f32_e32 v135, v136, v135
	buffer_store_dword v135, off, s[0:3], 0 offset:108
.LBB58_306:
	s_or_b64 exec, exec, s[8:9]
	buffer_load_dword v135, off, s[0:3], 0 offset:104
	v_cmp_lt_u32_e64 s[4:5], 26, v0
	s_waitcnt vmcnt(0)
	ds_write_b32 v120, v135
	s_waitcnt lgkmcnt(0)
	; wave barrier
	s_waitcnt lgkmcnt(0)
	s_and_saveexec_b64 s[8:9], s[4:5]
	s_cbranch_execz .LBB58_316
; %bb.307:
	s_andn2_b64 vcc, exec, s[10:11]
	s_cbranch_vccnz .LBB58_309
; %bb.308:
	buffer_load_dword v135, v121, s[0:3], 0 offen
	ds_read_b32 v136, v120
	s_waitcnt vmcnt(0) lgkmcnt(0)
	v_mul_f32_e32 v135, v135, v136
	s_cbranch_execz .LBB58_310
	s_branch .LBB58_311
.LBB58_309:
                                        ; implicit-def: $vgpr135
.LBB58_310:
	ds_read_b32 v135, v120
.LBB58_311:
	s_and_saveexec_b64 s[12:13], s[6:7]
	s_cbranch_execz .LBB58_315
; %bb.312:
	v_mov_b32_e32 v136, 0
	v_add_u32_e32 v136, 0x6c, v136
	v_subrev_u32_e32 v137, 27, v0
	s_movk_i32 s14, 0x15c
	s_mov_b64 s[6:7], 0
.LBB58_313:                             ; =>This Inner Loop Header: Depth=1
	buffer_load_dword v138, v136, s[0:3], 0 offen
	v_mov_b32_e32 v139, s14
	ds_read_b32 v139, v139
	v_add_u32_e32 v137, -1, v137
	s_add_i32 s14, s14, 4
	v_cmp_eq_u32_e32 vcc, 0, v137
	v_add_u32_e32 v136, 4, v136
	s_or_b64 s[6:7], vcc, s[6:7]
	s_waitcnt vmcnt(0) lgkmcnt(0)
	v_fmac_f32_e32 v135, v138, v139
	s_andn2_b64 exec, exec, s[6:7]
	s_cbranch_execnz .LBB58_313
; %bb.314:
	s_or_b64 exec, exec, s[6:7]
.LBB58_315:
	s_or_b64 exec, exec, s[12:13]
	v_mov_b32_e32 v136, 0
	ds_read_b32 v136, v136 offset:104
	s_waitcnt lgkmcnt(0)
	v_mul_f32_e32 v135, v135, v136
	buffer_store_dword v135, off, s[0:3], 0 offset:104
.LBB58_316:
	s_or_b64 exec, exec, s[8:9]
	buffer_load_dword v135, off, s[0:3], 0 offset:100
	v_cmp_lt_u32_e64 s[6:7], 25, v0
	s_waitcnt vmcnt(0)
	ds_write_b32 v120, v135
	s_waitcnt lgkmcnt(0)
	; wave barrier
	s_waitcnt lgkmcnt(0)
	s_and_saveexec_b64 s[8:9], s[6:7]
	s_cbranch_execz .LBB58_326
; %bb.317:
	s_andn2_b64 vcc, exec, s[10:11]
	s_cbranch_vccnz .LBB58_319
; %bb.318:
	buffer_load_dword v135, v121, s[0:3], 0 offen
	ds_read_b32 v136, v120
	s_waitcnt vmcnt(0) lgkmcnt(0)
	v_mul_f32_e32 v135, v135, v136
	s_cbranch_execz .LBB58_320
	s_branch .LBB58_321
.LBB58_319:
                                        ; implicit-def: $vgpr135
.LBB58_320:
	ds_read_b32 v135, v120
.LBB58_321:
	s_and_saveexec_b64 s[12:13], s[4:5]
	s_cbranch_execz .LBB58_325
; %bb.322:
	v_subrev_u32_e32 v136, 26, v0
	s_movk_i32 s14, 0x158
	s_mov_b64 s[4:5], 0
.LBB58_323:                             ; =>This Inner Loop Header: Depth=1
	buffer_load_dword v137, v134, s[0:3], 0 offen
	v_mov_b32_e32 v138, s14
	ds_read_b32 v138, v138
	v_add_u32_e32 v136, -1, v136
	s_add_i32 s14, s14, 4
	v_cmp_eq_u32_e32 vcc, 0, v136
	v_add_u32_e32 v134, 4, v134
	s_or_b64 s[4:5], vcc, s[4:5]
	s_waitcnt vmcnt(0) lgkmcnt(0)
	v_fmac_f32_e32 v135, v137, v138
	s_andn2_b64 exec, exec, s[4:5]
	s_cbranch_execnz .LBB58_323
; %bb.324:
	s_or_b64 exec, exec, s[4:5]
.LBB58_325:
	s_or_b64 exec, exec, s[12:13]
	v_mov_b32_e32 v134, 0
	ds_read_b32 v134, v134 offset:100
	s_waitcnt lgkmcnt(0)
	v_mul_f32_e32 v134, v135, v134
	buffer_store_dword v134, off, s[0:3], 0 offset:100
.LBB58_326:
	s_or_b64 exec, exec, s[8:9]
	buffer_load_dword v134, off, s[0:3], 0 offset:96
	v_cmp_lt_u32_e64 s[4:5], 24, v0
	s_waitcnt vmcnt(0)
	ds_write_b32 v120, v134
	s_waitcnt lgkmcnt(0)
	; wave barrier
	s_waitcnt lgkmcnt(0)
	s_and_saveexec_b64 s[8:9], s[4:5]
	s_cbranch_execz .LBB58_336
; %bb.327:
	s_andn2_b64 vcc, exec, s[10:11]
	s_cbranch_vccnz .LBB58_329
; %bb.328:
	buffer_load_dword v134, v121, s[0:3], 0 offen
	ds_read_b32 v135, v120
	s_waitcnt vmcnt(0) lgkmcnt(0)
	v_mul_f32_e32 v134, v134, v135
	s_cbranch_execz .LBB58_330
	s_branch .LBB58_331
.LBB58_329:
                                        ; implicit-def: $vgpr134
.LBB58_330:
	ds_read_b32 v134, v120
.LBB58_331:
	s_and_saveexec_b64 s[12:13], s[6:7]
	s_cbranch_execz .LBB58_335
; %bb.332:
	v_mov_b32_e32 v135, 0
	v_add_u32_e32 v135, 0x64, v135
	v_subrev_u32_e32 v136, 25, v0
	s_movk_i32 s14, 0x154
	s_mov_b64 s[6:7], 0
.LBB58_333:                             ; =>This Inner Loop Header: Depth=1
	buffer_load_dword v137, v135, s[0:3], 0 offen
	v_mov_b32_e32 v138, s14
	ds_read_b32 v138, v138
	v_add_u32_e32 v136, -1, v136
	s_add_i32 s14, s14, 4
	v_cmp_eq_u32_e32 vcc, 0, v136
	v_add_u32_e32 v135, 4, v135
	s_or_b64 s[6:7], vcc, s[6:7]
	s_waitcnt vmcnt(0) lgkmcnt(0)
	v_fmac_f32_e32 v134, v137, v138
	s_andn2_b64 exec, exec, s[6:7]
	s_cbranch_execnz .LBB58_333
; %bb.334:
	s_or_b64 exec, exec, s[6:7]
.LBB58_335:
	s_or_b64 exec, exec, s[12:13]
	v_mov_b32_e32 v135, 0
	ds_read_b32 v135, v135 offset:96
	s_waitcnt lgkmcnt(0)
	v_mul_f32_e32 v134, v134, v135
	buffer_store_dword v134, off, s[0:3], 0 offset:96
.LBB58_336:
	s_or_b64 exec, exec, s[8:9]
	buffer_load_dword v134, off, s[0:3], 0 offset:92
	v_cmp_lt_u32_e64 s[6:7], 23, v0
	s_waitcnt vmcnt(0)
	ds_write_b32 v120, v134
	s_waitcnt lgkmcnt(0)
	; wave barrier
	s_waitcnt lgkmcnt(0)
	s_and_saveexec_b64 s[8:9], s[6:7]
	s_cbranch_execz .LBB58_346
; %bb.337:
	s_andn2_b64 vcc, exec, s[10:11]
	s_cbranch_vccnz .LBB58_339
; %bb.338:
	buffer_load_dword v134, v121, s[0:3], 0 offen
	ds_read_b32 v135, v120
	s_waitcnt vmcnt(0) lgkmcnt(0)
	v_mul_f32_e32 v134, v134, v135
	s_cbranch_execz .LBB58_340
	s_branch .LBB58_341
.LBB58_339:
                                        ; implicit-def: $vgpr134
.LBB58_340:
	ds_read_b32 v134, v120
.LBB58_341:
	s_and_saveexec_b64 s[12:13], s[4:5]
	s_cbranch_execz .LBB58_345
; %bb.342:
	v_subrev_u32_e32 v135, 24, v0
	s_movk_i32 s14, 0x150
	s_mov_b64 s[4:5], 0
.LBB58_343:                             ; =>This Inner Loop Header: Depth=1
	buffer_load_dword v136, v133, s[0:3], 0 offen
	v_mov_b32_e32 v137, s14
	ds_read_b32 v137, v137
	v_add_u32_e32 v135, -1, v135
	s_add_i32 s14, s14, 4
	v_cmp_eq_u32_e32 vcc, 0, v135
	v_add_u32_e32 v133, 4, v133
	s_or_b64 s[4:5], vcc, s[4:5]
	s_waitcnt vmcnt(0) lgkmcnt(0)
	v_fmac_f32_e32 v134, v136, v137
	s_andn2_b64 exec, exec, s[4:5]
	s_cbranch_execnz .LBB58_343
; %bb.344:
	s_or_b64 exec, exec, s[4:5]
.LBB58_345:
	s_or_b64 exec, exec, s[12:13]
	v_mov_b32_e32 v133, 0
	ds_read_b32 v133, v133 offset:92
	s_waitcnt lgkmcnt(0)
	v_mul_f32_e32 v133, v134, v133
	buffer_store_dword v133, off, s[0:3], 0 offset:92
.LBB58_346:
	s_or_b64 exec, exec, s[8:9]
	buffer_load_dword v133, off, s[0:3], 0 offset:88
	v_cmp_lt_u32_e64 s[4:5], 22, v0
	s_waitcnt vmcnt(0)
	ds_write_b32 v120, v133
	s_waitcnt lgkmcnt(0)
	; wave barrier
	s_waitcnt lgkmcnt(0)
	s_and_saveexec_b64 s[8:9], s[4:5]
	s_cbranch_execz .LBB58_356
; %bb.347:
	s_andn2_b64 vcc, exec, s[10:11]
	s_cbranch_vccnz .LBB58_349
; %bb.348:
	buffer_load_dword v133, v121, s[0:3], 0 offen
	ds_read_b32 v134, v120
	s_waitcnt vmcnt(0) lgkmcnt(0)
	v_mul_f32_e32 v133, v133, v134
	s_cbranch_execz .LBB58_350
	s_branch .LBB58_351
.LBB58_349:
                                        ; implicit-def: $vgpr133
.LBB58_350:
	ds_read_b32 v133, v120
.LBB58_351:
	s_and_saveexec_b64 s[12:13], s[6:7]
	s_cbranch_execz .LBB58_355
; %bb.352:
	v_mov_b32_e32 v134, 0
	v_add_u32_e32 v134, 0x5c, v134
	v_subrev_u32_e32 v135, 23, v0
	s_movk_i32 s14, 0x14c
	s_mov_b64 s[6:7], 0
.LBB58_353:                             ; =>This Inner Loop Header: Depth=1
	buffer_load_dword v136, v134, s[0:3], 0 offen
	v_mov_b32_e32 v137, s14
	ds_read_b32 v137, v137
	v_add_u32_e32 v135, -1, v135
	s_add_i32 s14, s14, 4
	v_cmp_eq_u32_e32 vcc, 0, v135
	v_add_u32_e32 v134, 4, v134
	s_or_b64 s[6:7], vcc, s[6:7]
	s_waitcnt vmcnt(0) lgkmcnt(0)
	v_fmac_f32_e32 v133, v136, v137
	s_andn2_b64 exec, exec, s[6:7]
	s_cbranch_execnz .LBB58_353
; %bb.354:
	s_or_b64 exec, exec, s[6:7]
.LBB58_355:
	s_or_b64 exec, exec, s[12:13]
	v_mov_b32_e32 v134, 0
	ds_read_b32 v134, v134 offset:88
	s_waitcnt lgkmcnt(0)
	v_mul_f32_e32 v133, v133, v134
	buffer_store_dword v133, off, s[0:3], 0 offset:88
.LBB58_356:
	s_or_b64 exec, exec, s[8:9]
	buffer_load_dword v133, off, s[0:3], 0 offset:84
	v_cmp_lt_u32_e64 s[6:7], 21, v0
	s_waitcnt vmcnt(0)
	ds_write_b32 v120, v133
	s_waitcnt lgkmcnt(0)
	; wave barrier
	s_waitcnt lgkmcnt(0)
	s_and_saveexec_b64 s[8:9], s[6:7]
	s_cbranch_execz .LBB58_366
; %bb.357:
	s_andn2_b64 vcc, exec, s[10:11]
	s_cbranch_vccnz .LBB58_359
; %bb.358:
	buffer_load_dword v133, v121, s[0:3], 0 offen
	ds_read_b32 v134, v120
	s_waitcnt vmcnt(0) lgkmcnt(0)
	v_mul_f32_e32 v133, v133, v134
	s_cbranch_execz .LBB58_360
	s_branch .LBB58_361
.LBB58_359:
                                        ; implicit-def: $vgpr133
.LBB58_360:
	ds_read_b32 v133, v120
.LBB58_361:
	s_and_saveexec_b64 s[12:13], s[4:5]
	s_cbranch_execz .LBB58_365
; %bb.362:
	v_subrev_u32_e32 v134, 22, v0
	s_movk_i32 s14, 0x148
	s_mov_b64 s[4:5], 0
.LBB58_363:                             ; =>This Inner Loop Header: Depth=1
	buffer_load_dword v135, v132, s[0:3], 0 offen
	v_mov_b32_e32 v136, s14
	ds_read_b32 v136, v136
	v_add_u32_e32 v134, -1, v134
	s_add_i32 s14, s14, 4
	v_cmp_eq_u32_e32 vcc, 0, v134
	v_add_u32_e32 v132, 4, v132
	s_or_b64 s[4:5], vcc, s[4:5]
	s_waitcnt vmcnt(0) lgkmcnt(0)
	v_fmac_f32_e32 v133, v135, v136
	s_andn2_b64 exec, exec, s[4:5]
	s_cbranch_execnz .LBB58_363
; %bb.364:
	s_or_b64 exec, exec, s[4:5]
.LBB58_365:
	s_or_b64 exec, exec, s[12:13]
	v_mov_b32_e32 v132, 0
	ds_read_b32 v132, v132 offset:84
	s_waitcnt lgkmcnt(0)
	v_mul_f32_e32 v132, v133, v132
	buffer_store_dword v132, off, s[0:3], 0 offset:84
.LBB58_366:
	s_or_b64 exec, exec, s[8:9]
	buffer_load_dword v132, off, s[0:3], 0 offset:80
	v_cmp_lt_u32_e64 s[4:5], 20, v0
	s_waitcnt vmcnt(0)
	ds_write_b32 v120, v132
	s_waitcnt lgkmcnt(0)
	; wave barrier
	s_waitcnt lgkmcnt(0)
	s_and_saveexec_b64 s[8:9], s[4:5]
	s_cbranch_execz .LBB58_376
; %bb.367:
	s_andn2_b64 vcc, exec, s[10:11]
	s_cbranch_vccnz .LBB58_369
; %bb.368:
	buffer_load_dword v132, v121, s[0:3], 0 offen
	ds_read_b32 v133, v120
	s_waitcnt vmcnt(0) lgkmcnt(0)
	v_mul_f32_e32 v132, v132, v133
	s_cbranch_execz .LBB58_370
	s_branch .LBB58_371
.LBB58_369:
                                        ; implicit-def: $vgpr132
.LBB58_370:
	ds_read_b32 v132, v120
.LBB58_371:
	s_and_saveexec_b64 s[12:13], s[6:7]
	s_cbranch_execz .LBB58_375
; %bb.372:
	v_mov_b32_e32 v133, 0
	v_add_u32_e32 v133, 0x54, v133
	v_subrev_u32_e32 v134, 21, v0
	s_movk_i32 s14, 0x144
	s_mov_b64 s[6:7], 0
.LBB58_373:                             ; =>This Inner Loop Header: Depth=1
	buffer_load_dword v135, v133, s[0:3], 0 offen
	v_mov_b32_e32 v136, s14
	ds_read_b32 v136, v136
	v_add_u32_e32 v134, -1, v134
	s_add_i32 s14, s14, 4
	v_cmp_eq_u32_e32 vcc, 0, v134
	v_add_u32_e32 v133, 4, v133
	s_or_b64 s[6:7], vcc, s[6:7]
	s_waitcnt vmcnt(0) lgkmcnt(0)
	v_fmac_f32_e32 v132, v135, v136
	s_andn2_b64 exec, exec, s[6:7]
	s_cbranch_execnz .LBB58_373
; %bb.374:
	s_or_b64 exec, exec, s[6:7]
.LBB58_375:
	s_or_b64 exec, exec, s[12:13]
	v_mov_b32_e32 v133, 0
	ds_read_b32 v133, v133 offset:80
	s_waitcnt lgkmcnt(0)
	v_mul_f32_e32 v132, v132, v133
	buffer_store_dword v132, off, s[0:3], 0 offset:80
.LBB58_376:
	s_or_b64 exec, exec, s[8:9]
	buffer_load_dword v132, off, s[0:3], 0 offset:76
	v_cmp_lt_u32_e64 s[6:7], 19, v0
	s_waitcnt vmcnt(0)
	ds_write_b32 v120, v132
	s_waitcnt lgkmcnt(0)
	; wave barrier
	s_waitcnt lgkmcnt(0)
	s_and_saveexec_b64 s[8:9], s[6:7]
	s_cbranch_execz .LBB58_386
; %bb.377:
	s_andn2_b64 vcc, exec, s[10:11]
	s_cbranch_vccnz .LBB58_379
; %bb.378:
	buffer_load_dword v132, v121, s[0:3], 0 offen
	ds_read_b32 v133, v120
	s_waitcnt vmcnt(0) lgkmcnt(0)
	v_mul_f32_e32 v132, v132, v133
	s_cbranch_execz .LBB58_380
	s_branch .LBB58_381
.LBB58_379:
                                        ; implicit-def: $vgpr132
.LBB58_380:
	ds_read_b32 v132, v120
.LBB58_381:
	s_and_saveexec_b64 s[12:13], s[4:5]
	s_cbranch_execz .LBB58_385
; %bb.382:
	v_subrev_u32_e32 v133, 20, v0
	s_movk_i32 s14, 0x140
	s_mov_b64 s[4:5], 0
.LBB58_383:                             ; =>This Inner Loop Header: Depth=1
	buffer_load_dword v134, v131, s[0:3], 0 offen
	v_mov_b32_e32 v135, s14
	ds_read_b32 v135, v135
	v_add_u32_e32 v133, -1, v133
	s_add_i32 s14, s14, 4
	v_cmp_eq_u32_e32 vcc, 0, v133
	v_add_u32_e32 v131, 4, v131
	s_or_b64 s[4:5], vcc, s[4:5]
	s_waitcnt vmcnt(0) lgkmcnt(0)
	v_fmac_f32_e32 v132, v134, v135
	s_andn2_b64 exec, exec, s[4:5]
	s_cbranch_execnz .LBB58_383
; %bb.384:
	s_or_b64 exec, exec, s[4:5]
.LBB58_385:
	s_or_b64 exec, exec, s[12:13]
	v_mov_b32_e32 v131, 0
	ds_read_b32 v131, v131 offset:76
	s_waitcnt lgkmcnt(0)
	v_mul_f32_e32 v131, v132, v131
	buffer_store_dword v131, off, s[0:3], 0 offset:76
.LBB58_386:
	s_or_b64 exec, exec, s[8:9]
	buffer_load_dword v131, off, s[0:3], 0 offset:72
	v_cmp_lt_u32_e64 s[4:5], 18, v0
	s_waitcnt vmcnt(0)
	ds_write_b32 v120, v131
	s_waitcnt lgkmcnt(0)
	; wave barrier
	s_waitcnt lgkmcnt(0)
	s_and_saveexec_b64 s[8:9], s[4:5]
	s_cbranch_execz .LBB58_396
; %bb.387:
	s_andn2_b64 vcc, exec, s[10:11]
	s_cbranch_vccnz .LBB58_389
; %bb.388:
	buffer_load_dword v131, v121, s[0:3], 0 offen
	ds_read_b32 v132, v120
	s_waitcnt vmcnt(0) lgkmcnt(0)
	v_mul_f32_e32 v131, v131, v132
	s_cbranch_execz .LBB58_390
	s_branch .LBB58_391
.LBB58_389:
                                        ; implicit-def: $vgpr131
.LBB58_390:
	ds_read_b32 v131, v120
.LBB58_391:
	s_and_saveexec_b64 s[12:13], s[6:7]
	s_cbranch_execz .LBB58_395
; %bb.392:
	v_mov_b32_e32 v132, 0
	v_add_u32_e32 v132, 0x4c, v132
	v_subrev_u32_e32 v133, 19, v0
	s_movk_i32 s14, 0x13c
	s_mov_b64 s[6:7], 0
.LBB58_393:                             ; =>This Inner Loop Header: Depth=1
	buffer_load_dword v134, v132, s[0:3], 0 offen
	v_mov_b32_e32 v135, s14
	ds_read_b32 v135, v135
	v_add_u32_e32 v133, -1, v133
	s_add_i32 s14, s14, 4
	v_cmp_eq_u32_e32 vcc, 0, v133
	v_add_u32_e32 v132, 4, v132
	s_or_b64 s[6:7], vcc, s[6:7]
	s_waitcnt vmcnt(0) lgkmcnt(0)
	v_fmac_f32_e32 v131, v134, v135
	s_andn2_b64 exec, exec, s[6:7]
	s_cbranch_execnz .LBB58_393
; %bb.394:
	s_or_b64 exec, exec, s[6:7]
.LBB58_395:
	s_or_b64 exec, exec, s[12:13]
	v_mov_b32_e32 v132, 0
	ds_read_b32 v132, v132 offset:72
	s_waitcnt lgkmcnt(0)
	v_mul_f32_e32 v131, v131, v132
	buffer_store_dword v131, off, s[0:3], 0 offset:72
.LBB58_396:
	s_or_b64 exec, exec, s[8:9]
	buffer_load_dword v131, off, s[0:3], 0 offset:68
	v_cmp_lt_u32_e64 s[6:7], 17, v0
	s_waitcnt vmcnt(0)
	ds_write_b32 v120, v131
	s_waitcnt lgkmcnt(0)
	; wave barrier
	s_waitcnt lgkmcnt(0)
	s_and_saveexec_b64 s[8:9], s[6:7]
	s_cbranch_execz .LBB58_406
; %bb.397:
	s_andn2_b64 vcc, exec, s[10:11]
	s_cbranch_vccnz .LBB58_399
; %bb.398:
	buffer_load_dword v131, v121, s[0:3], 0 offen
	ds_read_b32 v132, v120
	s_waitcnt vmcnt(0) lgkmcnt(0)
	v_mul_f32_e32 v131, v131, v132
	s_cbranch_execz .LBB58_400
	s_branch .LBB58_401
.LBB58_399:
                                        ; implicit-def: $vgpr131
.LBB58_400:
	ds_read_b32 v131, v120
.LBB58_401:
	s_and_saveexec_b64 s[12:13], s[4:5]
	s_cbranch_execz .LBB58_405
; %bb.402:
	v_subrev_u32_e32 v132, 18, v0
	s_movk_i32 s14, 0x138
	s_mov_b64 s[4:5], 0
.LBB58_403:                             ; =>This Inner Loop Header: Depth=1
	buffer_load_dword v133, v130, s[0:3], 0 offen
	v_mov_b32_e32 v134, s14
	ds_read_b32 v134, v134
	v_add_u32_e32 v132, -1, v132
	s_add_i32 s14, s14, 4
	v_cmp_eq_u32_e32 vcc, 0, v132
	v_add_u32_e32 v130, 4, v130
	s_or_b64 s[4:5], vcc, s[4:5]
	s_waitcnt vmcnt(0) lgkmcnt(0)
	v_fmac_f32_e32 v131, v133, v134
	s_andn2_b64 exec, exec, s[4:5]
	s_cbranch_execnz .LBB58_403
; %bb.404:
	s_or_b64 exec, exec, s[4:5]
.LBB58_405:
	s_or_b64 exec, exec, s[12:13]
	v_mov_b32_e32 v130, 0
	ds_read_b32 v130, v130 offset:68
	s_waitcnt lgkmcnt(0)
	v_mul_f32_e32 v130, v131, v130
	buffer_store_dword v130, off, s[0:3], 0 offset:68
.LBB58_406:
	s_or_b64 exec, exec, s[8:9]
	buffer_load_dword v130, off, s[0:3], 0 offset:64
	v_cmp_lt_u32_e64 s[4:5], 16, v0
	s_waitcnt vmcnt(0)
	ds_write_b32 v120, v130
	s_waitcnt lgkmcnt(0)
	; wave barrier
	s_waitcnt lgkmcnt(0)
	s_and_saveexec_b64 s[8:9], s[4:5]
	s_cbranch_execz .LBB58_416
; %bb.407:
	s_andn2_b64 vcc, exec, s[10:11]
	s_cbranch_vccnz .LBB58_409
; %bb.408:
	buffer_load_dword v130, v121, s[0:3], 0 offen
	ds_read_b32 v131, v120
	s_waitcnt vmcnt(0) lgkmcnt(0)
	v_mul_f32_e32 v130, v130, v131
	s_cbranch_execz .LBB58_410
	s_branch .LBB58_411
.LBB58_409:
                                        ; implicit-def: $vgpr130
.LBB58_410:
	ds_read_b32 v130, v120
.LBB58_411:
	s_and_saveexec_b64 s[12:13], s[6:7]
	s_cbranch_execz .LBB58_415
; %bb.412:
	v_mov_b32_e32 v131, 0
	v_add_u32_e32 v131, 0x44, v131
	v_subrev_u32_e32 v132, 17, v0
	s_movk_i32 s14, 0x134
	s_mov_b64 s[6:7], 0
.LBB58_413:                             ; =>This Inner Loop Header: Depth=1
	buffer_load_dword v133, v131, s[0:3], 0 offen
	v_mov_b32_e32 v134, s14
	ds_read_b32 v134, v134
	v_add_u32_e32 v132, -1, v132
	s_add_i32 s14, s14, 4
	v_cmp_eq_u32_e32 vcc, 0, v132
	v_add_u32_e32 v131, 4, v131
	s_or_b64 s[6:7], vcc, s[6:7]
	s_waitcnt vmcnt(0) lgkmcnt(0)
	v_fmac_f32_e32 v130, v133, v134
	s_andn2_b64 exec, exec, s[6:7]
	s_cbranch_execnz .LBB58_413
; %bb.414:
	s_or_b64 exec, exec, s[6:7]
.LBB58_415:
	s_or_b64 exec, exec, s[12:13]
	v_mov_b32_e32 v131, 0
	ds_read_b32 v131, v131 offset:64
	s_waitcnt lgkmcnt(0)
	v_mul_f32_e32 v130, v130, v131
	buffer_store_dword v130, off, s[0:3], 0 offset:64
.LBB58_416:
	s_or_b64 exec, exec, s[8:9]
	buffer_load_dword v130, off, s[0:3], 0 offset:60
	v_cmp_lt_u32_e64 s[6:7], 15, v0
	s_waitcnt vmcnt(0)
	ds_write_b32 v120, v130
	s_waitcnt lgkmcnt(0)
	; wave barrier
	s_waitcnt lgkmcnt(0)
	s_and_saveexec_b64 s[8:9], s[6:7]
	s_cbranch_execz .LBB58_426
; %bb.417:
	s_andn2_b64 vcc, exec, s[10:11]
	s_cbranch_vccnz .LBB58_419
; %bb.418:
	buffer_load_dword v130, v121, s[0:3], 0 offen
	ds_read_b32 v131, v120
	s_waitcnt vmcnt(0) lgkmcnt(0)
	v_mul_f32_e32 v130, v130, v131
	s_cbranch_execz .LBB58_420
	s_branch .LBB58_421
.LBB58_419:
                                        ; implicit-def: $vgpr130
.LBB58_420:
	ds_read_b32 v130, v120
.LBB58_421:
	s_and_saveexec_b64 s[12:13], s[4:5]
	s_cbranch_execz .LBB58_425
; %bb.422:
	v_add_u32_e32 v131, -16, v0
	s_movk_i32 s14, 0x130
	s_mov_b64 s[4:5], 0
.LBB58_423:                             ; =>This Inner Loop Header: Depth=1
	buffer_load_dword v132, v129, s[0:3], 0 offen
	v_mov_b32_e32 v133, s14
	ds_read_b32 v133, v133
	v_add_u32_e32 v131, -1, v131
	s_add_i32 s14, s14, 4
	v_cmp_eq_u32_e32 vcc, 0, v131
	v_add_u32_e32 v129, 4, v129
	s_or_b64 s[4:5], vcc, s[4:5]
	s_waitcnt vmcnt(0) lgkmcnt(0)
	v_fmac_f32_e32 v130, v132, v133
	s_andn2_b64 exec, exec, s[4:5]
	s_cbranch_execnz .LBB58_423
; %bb.424:
	s_or_b64 exec, exec, s[4:5]
.LBB58_425:
	s_or_b64 exec, exec, s[12:13]
	v_mov_b32_e32 v129, 0
	ds_read_b32 v129, v129 offset:60
	s_waitcnt lgkmcnt(0)
	v_mul_f32_e32 v129, v130, v129
	buffer_store_dword v129, off, s[0:3], 0 offset:60
.LBB58_426:
	s_or_b64 exec, exec, s[8:9]
	buffer_load_dword v129, off, s[0:3], 0 offset:56
	v_cmp_lt_u32_e64 s[4:5], 14, v0
	s_waitcnt vmcnt(0)
	ds_write_b32 v120, v129
	s_waitcnt lgkmcnt(0)
	; wave barrier
	s_waitcnt lgkmcnt(0)
	s_and_saveexec_b64 s[8:9], s[4:5]
	s_cbranch_execz .LBB58_436
; %bb.427:
	s_andn2_b64 vcc, exec, s[10:11]
	s_cbranch_vccnz .LBB58_429
; %bb.428:
	buffer_load_dword v129, v121, s[0:3], 0 offen
	ds_read_b32 v130, v120
	s_waitcnt vmcnt(0) lgkmcnt(0)
	v_mul_f32_e32 v129, v129, v130
	s_cbranch_execz .LBB58_430
	s_branch .LBB58_431
.LBB58_429:
                                        ; implicit-def: $vgpr129
.LBB58_430:
	ds_read_b32 v129, v120
.LBB58_431:
	s_and_saveexec_b64 s[12:13], s[6:7]
	s_cbranch_execz .LBB58_435
; %bb.432:
	v_mov_b32_e32 v130, 0
	v_add_u32_e32 v130, 60, v130
	v_add_u32_e32 v131, -15, v0
	s_movk_i32 s14, 0x12c
	s_mov_b64 s[6:7], 0
.LBB58_433:                             ; =>This Inner Loop Header: Depth=1
	buffer_load_dword v132, v130, s[0:3], 0 offen
	v_mov_b32_e32 v133, s14
	ds_read_b32 v133, v133
	v_add_u32_e32 v131, -1, v131
	s_add_i32 s14, s14, 4
	v_cmp_eq_u32_e32 vcc, 0, v131
	v_add_u32_e32 v130, 4, v130
	s_or_b64 s[6:7], vcc, s[6:7]
	s_waitcnt vmcnt(0) lgkmcnt(0)
	v_fmac_f32_e32 v129, v132, v133
	s_andn2_b64 exec, exec, s[6:7]
	s_cbranch_execnz .LBB58_433
; %bb.434:
	s_or_b64 exec, exec, s[6:7]
.LBB58_435:
	s_or_b64 exec, exec, s[12:13]
	v_mov_b32_e32 v130, 0
	ds_read_b32 v130, v130 offset:56
	s_waitcnt lgkmcnt(0)
	v_mul_f32_e32 v129, v129, v130
	buffer_store_dword v129, off, s[0:3], 0 offset:56
.LBB58_436:
	s_or_b64 exec, exec, s[8:9]
	buffer_load_dword v129, off, s[0:3], 0 offset:52
	v_cmp_lt_u32_e64 s[6:7], 13, v0
	s_waitcnt vmcnt(0)
	ds_write_b32 v120, v129
	s_waitcnt lgkmcnt(0)
	; wave barrier
	s_waitcnt lgkmcnt(0)
	s_and_saveexec_b64 s[8:9], s[6:7]
	s_cbranch_execz .LBB58_446
; %bb.437:
	s_andn2_b64 vcc, exec, s[10:11]
	s_cbranch_vccnz .LBB58_439
; %bb.438:
	buffer_load_dword v129, v121, s[0:3], 0 offen
	ds_read_b32 v130, v120
	s_waitcnt vmcnt(0) lgkmcnt(0)
	v_mul_f32_e32 v129, v129, v130
	s_cbranch_execz .LBB58_440
	s_branch .LBB58_441
.LBB58_439:
                                        ; implicit-def: $vgpr129
.LBB58_440:
	ds_read_b32 v129, v120
.LBB58_441:
	s_and_saveexec_b64 s[12:13], s[4:5]
	s_cbranch_execz .LBB58_445
; %bb.442:
	v_add_u32_e32 v130, -14, v0
	s_movk_i32 s14, 0x128
	s_mov_b64 s[4:5], 0
.LBB58_443:                             ; =>This Inner Loop Header: Depth=1
	buffer_load_dword v131, v128, s[0:3], 0 offen
	v_mov_b32_e32 v132, s14
	ds_read_b32 v132, v132
	v_add_u32_e32 v130, -1, v130
	s_add_i32 s14, s14, 4
	v_cmp_eq_u32_e32 vcc, 0, v130
	v_add_u32_e32 v128, 4, v128
	s_or_b64 s[4:5], vcc, s[4:5]
	s_waitcnt vmcnt(0) lgkmcnt(0)
	v_fmac_f32_e32 v129, v131, v132
	s_andn2_b64 exec, exec, s[4:5]
	s_cbranch_execnz .LBB58_443
; %bb.444:
	s_or_b64 exec, exec, s[4:5]
.LBB58_445:
	s_or_b64 exec, exec, s[12:13]
	v_mov_b32_e32 v128, 0
	ds_read_b32 v128, v128 offset:52
	s_waitcnt lgkmcnt(0)
	v_mul_f32_e32 v128, v129, v128
	buffer_store_dword v128, off, s[0:3], 0 offset:52
.LBB58_446:
	s_or_b64 exec, exec, s[8:9]
	buffer_load_dword v128, off, s[0:3], 0 offset:48
	v_cmp_lt_u32_e64 s[4:5], 12, v0
	s_waitcnt vmcnt(0)
	ds_write_b32 v120, v128
	s_waitcnt lgkmcnt(0)
	; wave barrier
	s_waitcnt lgkmcnt(0)
	s_and_saveexec_b64 s[8:9], s[4:5]
	s_cbranch_execz .LBB58_456
; %bb.447:
	s_andn2_b64 vcc, exec, s[10:11]
	s_cbranch_vccnz .LBB58_449
; %bb.448:
	buffer_load_dword v128, v121, s[0:3], 0 offen
	ds_read_b32 v129, v120
	s_waitcnt vmcnt(0) lgkmcnt(0)
	v_mul_f32_e32 v128, v128, v129
	s_cbranch_execz .LBB58_450
	s_branch .LBB58_451
.LBB58_449:
                                        ; implicit-def: $vgpr128
.LBB58_450:
	ds_read_b32 v128, v120
.LBB58_451:
	s_and_saveexec_b64 s[12:13], s[6:7]
	s_cbranch_execz .LBB58_455
; %bb.452:
	v_mov_b32_e32 v129, 0
	v_add_u32_e32 v129, 52, v129
	v_add_u32_e32 v130, -13, v0
	s_movk_i32 s14, 0x124
	s_mov_b64 s[6:7], 0
.LBB58_453:                             ; =>This Inner Loop Header: Depth=1
	buffer_load_dword v131, v129, s[0:3], 0 offen
	v_mov_b32_e32 v132, s14
	ds_read_b32 v132, v132
	v_add_u32_e32 v130, -1, v130
	s_add_i32 s14, s14, 4
	v_cmp_eq_u32_e32 vcc, 0, v130
	v_add_u32_e32 v129, 4, v129
	s_or_b64 s[6:7], vcc, s[6:7]
	s_waitcnt vmcnt(0) lgkmcnt(0)
	v_fmac_f32_e32 v128, v131, v132
	s_andn2_b64 exec, exec, s[6:7]
	s_cbranch_execnz .LBB58_453
; %bb.454:
	s_or_b64 exec, exec, s[6:7]
.LBB58_455:
	s_or_b64 exec, exec, s[12:13]
	v_mov_b32_e32 v129, 0
	ds_read_b32 v129, v129 offset:48
	s_waitcnt lgkmcnt(0)
	v_mul_f32_e32 v128, v128, v129
	buffer_store_dword v128, off, s[0:3], 0 offset:48
.LBB58_456:
	s_or_b64 exec, exec, s[8:9]
	buffer_load_dword v128, off, s[0:3], 0 offset:44
	v_cmp_lt_u32_e64 s[6:7], 11, v0
	s_waitcnt vmcnt(0)
	ds_write_b32 v120, v128
	s_waitcnt lgkmcnt(0)
	; wave barrier
	s_waitcnt lgkmcnt(0)
	s_and_saveexec_b64 s[8:9], s[6:7]
	s_cbranch_execz .LBB58_466
; %bb.457:
	s_andn2_b64 vcc, exec, s[10:11]
	s_cbranch_vccnz .LBB58_459
; %bb.458:
	buffer_load_dword v128, v121, s[0:3], 0 offen
	ds_read_b32 v129, v120
	s_waitcnt vmcnt(0) lgkmcnt(0)
	v_mul_f32_e32 v128, v128, v129
	s_cbranch_execz .LBB58_460
	s_branch .LBB58_461
.LBB58_459:
                                        ; implicit-def: $vgpr128
.LBB58_460:
	ds_read_b32 v128, v120
.LBB58_461:
	s_and_saveexec_b64 s[12:13], s[4:5]
	s_cbranch_execz .LBB58_465
; %bb.462:
	v_add_u32_e32 v129, -12, v0
	s_movk_i32 s14, 0x120
	s_mov_b64 s[4:5], 0
.LBB58_463:                             ; =>This Inner Loop Header: Depth=1
	buffer_load_dword v130, v127, s[0:3], 0 offen
	v_mov_b32_e32 v131, s14
	ds_read_b32 v131, v131
	v_add_u32_e32 v129, -1, v129
	s_add_i32 s14, s14, 4
	v_cmp_eq_u32_e32 vcc, 0, v129
	v_add_u32_e32 v127, 4, v127
	s_or_b64 s[4:5], vcc, s[4:5]
	s_waitcnt vmcnt(0) lgkmcnt(0)
	v_fmac_f32_e32 v128, v130, v131
	s_andn2_b64 exec, exec, s[4:5]
	s_cbranch_execnz .LBB58_463
; %bb.464:
	s_or_b64 exec, exec, s[4:5]
.LBB58_465:
	s_or_b64 exec, exec, s[12:13]
	v_mov_b32_e32 v127, 0
	ds_read_b32 v127, v127 offset:44
	s_waitcnt lgkmcnt(0)
	v_mul_f32_e32 v127, v128, v127
	buffer_store_dword v127, off, s[0:3], 0 offset:44
.LBB58_466:
	s_or_b64 exec, exec, s[8:9]
	buffer_load_dword v127, off, s[0:3], 0 offset:40
	v_cmp_lt_u32_e64 s[4:5], 10, v0
	s_waitcnt vmcnt(0)
	ds_write_b32 v120, v127
	s_waitcnt lgkmcnt(0)
	; wave barrier
	s_waitcnt lgkmcnt(0)
	s_and_saveexec_b64 s[8:9], s[4:5]
	s_cbranch_execz .LBB58_476
; %bb.467:
	s_andn2_b64 vcc, exec, s[10:11]
	s_cbranch_vccnz .LBB58_469
; %bb.468:
	buffer_load_dword v127, v121, s[0:3], 0 offen
	ds_read_b32 v128, v120
	s_waitcnt vmcnt(0) lgkmcnt(0)
	v_mul_f32_e32 v127, v127, v128
	s_cbranch_execz .LBB58_470
	s_branch .LBB58_471
.LBB58_469:
                                        ; implicit-def: $vgpr127
.LBB58_470:
	ds_read_b32 v127, v120
.LBB58_471:
	s_and_saveexec_b64 s[12:13], s[6:7]
	s_cbranch_execz .LBB58_475
; %bb.472:
	v_mov_b32_e32 v128, 0
	v_add_u32_e32 v128, 44, v128
	v_add_u32_e32 v129, -11, v0
	s_movk_i32 s14, 0x11c
	s_mov_b64 s[6:7], 0
.LBB58_473:                             ; =>This Inner Loop Header: Depth=1
	buffer_load_dword v130, v128, s[0:3], 0 offen
	v_mov_b32_e32 v131, s14
	ds_read_b32 v131, v131
	v_add_u32_e32 v129, -1, v129
	s_add_i32 s14, s14, 4
	v_cmp_eq_u32_e32 vcc, 0, v129
	v_add_u32_e32 v128, 4, v128
	s_or_b64 s[6:7], vcc, s[6:7]
	s_waitcnt vmcnt(0) lgkmcnt(0)
	v_fmac_f32_e32 v127, v130, v131
	s_andn2_b64 exec, exec, s[6:7]
	s_cbranch_execnz .LBB58_473
; %bb.474:
	s_or_b64 exec, exec, s[6:7]
.LBB58_475:
	s_or_b64 exec, exec, s[12:13]
	v_mov_b32_e32 v128, 0
	ds_read_b32 v128, v128 offset:40
	s_waitcnt lgkmcnt(0)
	v_mul_f32_e32 v127, v127, v128
	buffer_store_dword v127, off, s[0:3], 0 offset:40
.LBB58_476:
	s_or_b64 exec, exec, s[8:9]
	buffer_load_dword v127, off, s[0:3], 0 offset:36
	v_cmp_lt_u32_e64 s[6:7], 9, v0
	s_waitcnt vmcnt(0)
	ds_write_b32 v120, v127
	s_waitcnt lgkmcnt(0)
	; wave barrier
	s_waitcnt lgkmcnt(0)
	s_and_saveexec_b64 s[8:9], s[6:7]
	s_cbranch_execz .LBB58_486
; %bb.477:
	s_andn2_b64 vcc, exec, s[10:11]
	s_cbranch_vccnz .LBB58_479
; %bb.478:
	buffer_load_dword v127, v121, s[0:3], 0 offen
	ds_read_b32 v128, v120
	s_waitcnt vmcnt(0) lgkmcnt(0)
	v_mul_f32_e32 v127, v127, v128
	s_cbranch_execz .LBB58_480
	s_branch .LBB58_481
.LBB58_479:
                                        ; implicit-def: $vgpr127
.LBB58_480:
	ds_read_b32 v127, v120
.LBB58_481:
	s_and_saveexec_b64 s[12:13], s[4:5]
	s_cbranch_execz .LBB58_485
; %bb.482:
	v_add_u32_e32 v128, -10, v0
	s_movk_i32 s14, 0x118
	s_mov_b64 s[4:5], 0
.LBB58_483:                             ; =>This Inner Loop Header: Depth=1
	buffer_load_dword v129, v126, s[0:3], 0 offen
	v_mov_b32_e32 v130, s14
	ds_read_b32 v130, v130
	v_add_u32_e32 v128, -1, v128
	s_add_i32 s14, s14, 4
	v_cmp_eq_u32_e32 vcc, 0, v128
	v_add_u32_e32 v126, 4, v126
	s_or_b64 s[4:5], vcc, s[4:5]
	s_waitcnt vmcnt(0) lgkmcnt(0)
	v_fmac_f32_e32 v127, v129, v130
	s_andn2_b64 exec, exec, s[4:5]
	s_cbranch_execnz .LBB58_483
; %bb.484:
	s_or_b64 exec, exec, s[4:5]
.LBB58_485:
	s_or_b64 exec, exec, s[12:13]
	v_mov_b32_e32 v126, 0
	ds_read_b32 v126, v126 offset:36
	s_waitcnt lgkmcnt(0)
	v_mul_f32_e32 v126, v127, v126
	buffer_store_dword v126, off, s[0:3], 0 offset:36
.LBB58_486:
	s_or_b64 exec, exec, s[8:9]
	buffer_load_dword v126, off, s[0:3], 0 offset:32
	v_cmp_lt_u32_e64 s[4:5], 8, v0
	s_waitcnt vmcnt(0)
	ds_write_b32 v120, v126
	s_waitcnt lgkmcnt(0)
	; wave barrier
	s_waitcnt lgkmcnt(0)
	s_and_saveexec_b64 s[8:9], s[4:5]
	s_cbranch_execz .LBB58_496
; %bb.487:
	s_andn2_b64 vcc, exec, s[10:11]
	s_cbranch_vccnz .LBB58_489
; %bb.488:
	buffer_load_dword v126, v121, s[0:3], 0 offen
	ds_read_b32 v127, v120
	s_waitcnt vmcnt(0) lgkmcnt(0)
	v_mul_f32_e32 v126, v126, v127
	s_cbranch_execz .LBB58_490
	s_branch .LBB58_491
.LBB58_489:
                                        ; implicit-def: $vgpr126
.LBB58_490:
	ds_read_b32 v126, v120
.LBB58_491:
	s_and_saveexec_b64 s[12:13], s[6:7]
	s_cbranch_execz .LBB58_495
; %bb.492:
	v_mov_b32_e32 v127, 0
	v_add_u32_e32 v127, 36, v127
	v_add_u32_e32 v128, -9, v0
	s_movk_i32 s14, 0x114
	s_mov_b64 s[6:7], 0
.LBB58_493:                             ; =>This Inner Loop Header: Depth=1
	buffer_load_dword v129, v127, s[0:3], 0 offen
	v_mov_b32_e32 v130, s14
	ds_read_b32 v130, v130
	v_add_u32_e32 v128, -1, v128
	s_add_i32 s14, s14, 4
	v_cmp_eq_u32_e32 vcc, 0, v128
	v_add_u32_e32 v127, 4, v127
	s_or_b64 s[6:7], vcc, s[6:7]
	s_waitcnt vmcnt(0) lgkmcnt(0)
	v_fmac_f32_e32 v126, v129, v130
	s_andn2_b64 exec, exec, s[6:7]
	s_cbranch_execnz .LBB58_493
; %bb.494:
	s_or_b64 exec, exec, s[6:7]
.LBB58_495:
	s_or_b64 exec, exec, s[12:13]
	v_mov_b32_e32 v127, 0
	ds_read_b32 v127, v127 offset:32
	s_waitcnt lgkmcnt(0)
	v_mul_f32_e32 v126, v126, v127
	buffer_store_dword v126, off, s[0:3], 0 offset:32
.LBB58_496:
	s_or_b64 exec, exec, s[8:9]
	buffer_load_dword v126, off, s[0:3], 0 offset:28
	v_cmp_lt_u32_e64 s[6:7], 7, v0
	s_waitcnt vmcnt(0)
	ds_write_b32 v120, v126
	s_waitcnt lgkmcnt(0)
	; wave barrier
	s_waitcnt lgkmcnt(0)
	s_and_saveexec_b64 s[8:9], s[6:7]
	s_cbranch_execz .LBB58_506
; %bb.497:
	s_andn2_b64 vcc, exec, s[10:11]
	s_cbranch_vccnz .LBB58_499
; %bb.498:
	buffer_load_dword v126, v121, s[0:3], 0 offen
	ds_read_b32 v127, v120
	s_waitcnt vmcnt(0) lgkmcnt(0)
	v_mul_f32_e32 v126, v126, v127
	s_cbranch_execz .LBB58_500
	s_branch .LBB58_501
.LBB58_499:
                                        ; implicit-def: $vgpr126
.LBB58_500:
	ds_read_b32 v126, v120
.LBB58_501:
	s_and_saveexec_b64 s[12:13], s[4:5]
	s_cbranch_execz .LBB58_505
; %bb.502:
	v_add_u32_e32 v127, -8, v0
	s_movk_i32 s14, 0x110
	s_mov_b64 s[4:5], 0
.LBB58_503:                             ; =>This Inner Loop Header: Depth=1
	buffer_load_dword v128, v125, s[0:3], 0 offen
	v_mov_b32_e32 v129, s14
	ds_read_b32 v129, v129
	v_add_u32_e32 v127, -1, v127
	s_add_i32 s14, s14, 4
	v_cmp_eq_u32_e32 vcc, 0, v127
	v_add_u32_e32 v125, 4, v125
	s_or_b64 s[4:5], vcc, s[4:5]
	s_waitcnt vmcnt(0) lgkmcnt(0)
	v_fmac_f32_e32 v126, v128, v129
	s_andn2_b64 exec, exec, s[4:5]
	s_cbranch_execnz .LBB58_503
; %bb.504:
	s_or_b64 exec, exec, s[4:5]
.LBB58_505:
	s_or_b64 exec, exec, s[12:13]
	v_mov_b32_e32 v125, 0
	ds_read_b32 v125, v125 offset:28
	s_waitcnt lgkmcnt(0)
	v_mul_f32_e32 v125, v126, v125
	buffer_store_dword v125, off, s[0:3], 0 offset:28
.LBB58_506:
	s_or_b64 exec, exec, s[8:9]
	buffer_load_dword v125, off, s[0:3], 0 offset:24
	v_cmp_lt_u32_e64 s[4:5], 6, v0
	s_waitcnt vmcnt(0)
	ds_write_b32 v120, v125
	s_waitcnt lgkmcnt(0)
	; wave barrier
	s_waitcnt lgkmcnt(0)
	s_and_saveexec_b64 s[8:9], s[4:5]
	s_cbranch_execz .LBB58_516
; %bb.507:
	s_andn2_b64 vcc, exec, s[10:11]
	s_cbranch_vccnz .LBB58_509
; %bb.508:
	buffer_load_dword v125, v121, s[0:3], 0 offen
	ds_read_b32 v126, v120
	s_waitcnt vmcnt(0) lgkmcnt(0)
	v_mul_f32_e32 v125, v125, v126
	s_cbranch_execz .LBB58_510
	s_branch .LBB58_511
.LBB58_509:
                                        ; implicit-def: $vgpr125
.LBB58_510:
	ds_read_b32 v125, v120
.LBB58_511:
	s_and_saveexec_b64 s[12:13], s[6:7]
	s_cbranch_execz .LBB58_515
; %bb.512:
	v_mov_b32_e32 v126, 0
	v_add_u32_e32 v126, 28, v126
	v_add_u32_e32 v127, -7, v0
	s_movk_i32 s14, 0x10c
	s_mov_b64 s[6:7], 0
.LBB58_513:                             ; =>This Inner Loop Header: Depth=1
	buffer_load_dword v128, v126, s[0:3], 0 offen
	v_mov_b32_e32 v129, s14
	ds_read_b32 v129, v129
	v_add_u32_e32 v127, -1, v127
	s_add_i32 s14, s14, 4
	v_cmp_eq_u32_e32 vcc, 0, v127
	v_add_u32_e32 v126, 4, v126
	s_or_b64 s[6:7], vcc, s[6:7]
	s_waitcnt vmcnt(0) lgkmcnt(0)
	v_fmac_f32_e32 v125, v128, v129
	s_andn2_b64 exec, exec, s[6:7]
	s_cbranch_execnz .LBB58_513
; %bb.514:
	s_or_b64 exec, exec, s[6:7]
.LBB58_515:
	s_or_b64 exec, exec, s[12:13]
	v_mov_b32_e32 v126, 0
	ds_read_b32 v126, v126 offset:24
	s_waitcnt lgkmcnt(0)
	v_mul_f32_e32 v125, v125, v126
	buffer_store_dword v125, off, s[0:3], 0 offset:24
.LBB58_516:
	s_or_b64 exec, exec, s[8:9]
	buffer_load_dword v125, off, s[0:3], 0 offset:20
	v_cmp_lt_u32_e64 s[6:7], 5, v0
	s_waitcnt vmcnt(0)
	ds_write_b32 v120, v125
	s_waitcnt lgkmcnt(0)
	; wave barrier
	s_waitcnt lgkmcnt(0)
	s_and_saveexec_b64 s[8:9], s[6:7]
	s_cbranch_execz .LBB58_526
; %bb.517:
	s_andn2_b64 vcc, exec, s[10:11]
	s_cbranch_vccnz .LBB58_519
; %bb.518:
	buffer_load_dword v125, v121, s[0:3], 0 offen
	ds_read_b32 v126, v120
	s_waitcnt vmcnt(0) lgkmcnt(0)
	v_mul_f32_e32 v125, v125, v126
	s_cbranch_execz .LBB58_520
	s_branch .LBB58_521
.LBB58_519:
                                        ; implicit-def: $vgpr125
.LBB58_520:
	ds_read_b32 v125, v120
.LBB58_521:
	s_and_saveexec_b64 s[12:13], s[4:5]
	s_cbranch_execz .LBB58_525
; %bb.522:
	v_add_u32_e32 v126, -6, v0
	s_movk_i32 s14, 0x108
	s_mov_b64 s[4:5], 0
.LBB58_523:                             ; =>This Inner Loop Header: Depth=1
	buffer_load_dword v127, v124, s[0:3], 0 offen
	v_mov_b32_e32 v128, s14
	ds_read_b32 v128, v128
	v_add_u32_e32 v126, -1, v126
	s_add_i32 s14, s14, 4
	v_cmp_eq_u32_e32 vcc, 0, v126
	v_add_u32_e32 v124, 4, v124
	s_or_b64 s[4:5], vcc, s[4:5]
	s_waitcnt vmcnt(0) lgkmcnt(0)
	v_fmac_f32_e32 v125, v127, v128
	s_andn2_b64 exec, exec, s[4:5]
	s_cbranch_execnz .LBB58_523
; %bb.524:
	s_or_b64 exec, exec, s[4:5]
.LBB58_525:
	s_or_b64 exec, exec, s[12:13]
	v_mov_b32_e32 v124, 0
	ds_read_b32 v124, v124 offset:20
	s_waitcnt lgkmcnt(0)
	v_mul_f32_e32 v124, v125, v124
	buffer_store_dword v124, off, s[0:3], 0 offset:20
.LBB58_526:
	s_or_b64 exec, exec, s[8:9]
	buffer_load_dword v124, off, s[0:3], 0 offset:16
	v_cmp_lt_u32_e64 s[4:5], 4, v0
	s_waitcnt vmcnt(0)
	ds_write_b32 v120, v124
	s_waitcnt lgkmcnt(0)
	; wave barrier
	s_waitcnt lgkmcnt(0)
	s_and_saveexec_b64 s[8:9], s[4:5]
	s_cbranch_execz .LBB58_536
; %bb.527:
	s_andn2_b64 vcc, exec, s[10:11]
	s_cbranch_vccnz .LBB58_529
; %bb.528:
	buffer_load_dword v124, v121, s[0:3], 0 offen
	ds_read_b32 v125, v120
	s_waitcnt vmcnt(0) lgkmcnt(0)
	v_mul_f32_e32 v124, v124, v125
	s_cbranch_execz .LBB58_530
	s_branch .LBB58_531
.LBB58_529:
                                        ; implicit-def: $vgpr124
.LBB58_530:
	ds_read_b32 v124, v120
.LBB58_531:
	s_and_saveexec_b64 s[12:13], s[6:7]
	s_cbranch_execz .LBB58_535
; %bb.532:
	v_mov_b32_e32 v125, 0
	v_add_u32_e32 v125, 20, v125
	v_add_u32_e32 v126, -5, v0
	s_movk_i32 s14, 0x104
	s_mov_b64 s[6:7], 0
.LBB58_533:                             ; =>This Inner Loop Header: Depth=1
	buffer_load_dword v127, v125, s[0:3], 0 offen
	v_mov_b32_e32 v128, s14
	ds_read_b32 v128, v128
	v_add_u32_e32 v126, -1, v126
	s_add_i32 s14, s14, 4
	v_cmp_eq_u32_e32 vcc, 0, v126
	v_add_u32_e32 v125, 4, v125
	s_or_b64 s[6:7], vcc, s[6:7]
	s_waitcnt vmcnt(0) lgkmcnt(0)
	v_fmac_f32_e32 v124, v127, v128
	s_andn2_b64 exec, exec, s[6:7]
	s_cbranch_execnz .LBB58_533
; %bb.534:
	s_or_b64 exec, exec, s[6:7]
.LBB58_535:
	s_or_b64 exec, exec, s[12:13]
	v_mov_b32_e32 v125, 0
	ds_read_b32 v125, v125 offset:16
	s_waitcnt lgkmcnt(0)
	v_mul_f32_e32 v124, v124, v125
	buffer_store_dword v124, off, s[0:3], 0 offset:16
.LBB58_536:
	s_or_b64 exec, exec, s[8:9]
	buffer_load_dword v124, off, s[0:3], 0 offset:12
	v_cmp_lt_u32_e64 s[6:7], 3, v0
	s_waitcnt vmcnt(0)
	ds_write_b32 v120, v124
	s_waitcnt lgkmcnt(0)
	; wave barrier
	s_waitcnt lgkmcnt(0)
	s_and_saveexec_b64 s[8:9], s[6:7]
	s_cbranch_execz .LBB58_546
; %bb.537:
	s_andn2_b64 vcc, exec, s[10:11]
	s_cbranch_vccnz .LBB58_539
; %bb.538:
	buffer_load_dword v124, v121, s[0:3], 0 offen
	ds_read_b32 v125, v120
	s_waitcnt vmcnt(0) lgkmcnt(0)
	v_mul_f32_e32 v124, v124, v125
	s_cbranch_execz .LBB58_540
	s_branch .LBB58_541
.LBB58_539:
                                        ; implicit-def: $vgpr124
.LBB58_540:
	ds_read_b32 v124, v120
.LBB58_541:
	s_and_saveexec_b64 s[12:13], s[4:5]
	s_cbranch_execz .LBB58_545
; %bb.542:
	v_add_u32_e32 v125, -4, v0
	s_movk_i32 s14, 0x100
	s_mov_b64 s[4:5], 0
.LBB58_543:                             ; =>This Inner Loop Header: Depth=1
	buffer_load_dword v126, v123, s[0:3], 0 offen
	v_mov_b32_e32 v127, s14
	ds_read_b32 v127, v127
	v_add_u32_e32 v125, -1, v125
	s_add_i32 s14, s14, 4
	v_cmp_eq_u32_e32 vcc, 0, v125
	v_add_u32_e32 v123, 4, v123
	s_or_b64 s[4:5], vcc, s[4:5]
	s_waitcnt vmcnt(0) lgkmcnt(0)
	v_fmac_f32_e32 v124, v126, v127
	s_andn2_b64 exec, exec, s[4:5]
	s_cbranch_execnz .LBB58_543
; %bb.544:
	s_or_b64 exec, exec, s[4:5]
.LBB58_545:
	s_or_b64 exec, exec, s[12:13]
	v_mov_b32_e32 v123, 0
	ds_read_b32 v123, v123 offset:12
	s_waitcnt lgkmcnt(0)
	v_mul_f32_e32 v123, v124, v123
	buffer_store_dword v123, off, s[0:3], 0 offset:12
.LBB58_546:
	s_or_b64 exec, exec, s[8:9]
	buffer_load_dword v123, off, s[0:3], 0 offset:8
	v_cmp_lt_u32_e64 s[4:5], 2, v0
	s_waitcnt vmcnt(0)
	ds_write_b32 v120, v123
	s_waitcnt lgkmcnt(0)
	; wave barrier
	s_waitcnt lgkmcnt(0)
	s_and_saveexec_b64 s[8:9], s[4:5]
	s_cbranch_execz .LBB58_556
; %bb.547:
	s_andn2_b64 vcc, exec, s[10:11]
	s_cbranch_vccnz .LBB58_549
; %bb.548:
	buffer_load_dword v123, v121, s[0:3], 0 offen
	ds_read_b32 v124, v120
	s_waitcnt vmcnt(0) lgkmcnt(0)
	v_mul_f32_e32 v123, v123, v124
	s_cbranch_execz .LBB58_550
	s_branch .LBB58_551
.LBB58_549:
                                        ; implicit-def: $vgpr123
.LBB58_550:
	ds_read_b32 v123, v120
.LBB58_551:
	s_and_saveexec_b64 s[12:13], s[6:7]
	s_cbranch_execz .LBB58_555
; %bb.552:
	v_mov_b32_e32 v124, 0
	v_or_b32_e32 v124, 12, v124
	v_add_u32_e32 v125, -3, v0
	s_movk_i32 s14, 0xfc
	s_mov_b64 s[6:7], 0
.LBB58_553:                             ; =>This Inner Loop Header: Depth=1
	buffer_load_dword v126, v124, s[0:3], 0 offen
	v_mov_b32_e32 v127, s14
	ds_read_b32 v127, v127
	v_add_u32_e32 v125, -1, v125
	s_add_i32 s14, s14, 4
	v_cmp_eq_u32_e32 vcc, 0, v125
	v_add_u32_e32 v124, 4, v124
	s_or_b64 s[6:7], vcc, s[6:7]
	s_waitcnt vmcnt(0) lgkmcnt(0)
	v_fmac_f32_e32 v123, v126, v127
	s_andn2_b64 exec, exec, s[6:7]
	s_cbranch_execnz .LBB58_553
; %bb.554:
	s_or_b64 exec, exec, s[6:7]
.LBB58_555:
	s_or_b64 exec, exec, s[12:13]
	v_mov_b32_e32 v124, 0
	ds_read_b32 v124, v124 offset:8
	s_waitcnt lgkmcnt(0)
	v_mul_f32_e32 v123, v123, v124
	buffer_store_dword v123, off, s[0:3], 0 offset:8
.LBB58_556:
	s_or_b64 exec, exec, s[8:9]
	buffer_load_dword v123, off, s[0:3], 0 offset:4
	v_cmp_lt_u32_e64 s[6:7], 1, v0
	s_waitcnt vmcnt(0)
	ds_write_b32 v120, v123
	s_waitcnt lgkmcnt(0)
	; wave barrier
	s_waitcnt lgkmcnt(0)
	s_and_saveexec_b64 s[8:9], s[6:7]
	s_cbranch_execz .LBB58_566
; %bb.557:
	s_andn2_b64 vcc, exec, s[10:11]
	s_cbranch_vccnz .LBB58_559
; %bb.558:
	buffer_load_dword v123, v121, s[0:3], 0 offen
	ds_read_b32 v124, v120
	s_waitcnt vmcnt(0) lgkmcnt(0)
	v_mul_f32_e32 v123, v123, v124
	s_cbranch_execz .LBB58_560
	s_branch .LBB58_561
.LBB58_559:
                                        ; implicit-def: $vgpr123
.LBB58_560:
	ds_read_b32 v123, v120
.LBB58_561:
	s_and_saveexec_b64 s[12:13], s[4:5]
	s_cbranch_execz .LBB58_565
; %bb.562:
	v_add_u32_e32 v124, -2, v0
	s_movk_i32 s14, 0xf8
	s_mov_b64 s[4:5], 0
.LBB58_563:                             ; =>This Inner Loop Header: Depth=1
	buffer_load_dword v125, v122, s[0:3], 0 offen
	v_mov_b32_e32 v126, s14
	ds_read_b32 v126, v126
	v_add_u32_e32 v124, -1, v124
	s_add_i32 s14, s14, 4
	v_cmp_eq_u32_e32 vcc, 0, v124
	v_add_u32_e32 v122, 4, v122
	s_or_b64 s[4:5], vcc, s[4:5]
	s_waitcnt vmcnt(0) lgkmcnt(0)
	v_fmac_f32_e32 v123, v125, v126
	s_andn2_b64 exec, exec, s[4:5]
	s_cbranch_execnz .LBB58_563
; %bb.564:
	s_or_b64 exec, exec, s[4:5]
.LBB58_565:
	s_or_b64 exec, exec, s[12:13]
	v_mov_b32_e32 v122, 0
	ds_read_b32 v122, v122 offset:4
	s_waitcnt lgkmcnt(0)
	v_mul_f32_e32 v122, v123, v122
	buffer_store_dword v122, off, s[0:3], 0 offset:4
.LBB58_566:
	s_or_b64 exec, exec, s[8:9]
	buffer_load_dword v122, off, s[0:3], 0
	v_cmp_ne_u32_e32 vcc, 0, v0
	s_waitcnt vmcnt(0)
	ds_write_b32 v120, v122
	s_waitcnt lgkmcnt(0)
	; wave barrier
	s_waitcnt lgkmcnt(0)
	s_and_saveexec_b64 s[4:5], vcc
	s_cbranch_execz .LBB58_576
; %bb.567:
	s_andn2_b64 vcc, exec, s[10:11]
	s_cbranch_vccnz .LBB58_569
; %bb.568:
	buffer_load_dword v122, v121, s[0:3], 0 offen
	ds_read_b32 v123, v120
	s_waitcnt vmcnt(0) lgkmcnt(0)
	v_mul_f32_e32 v122, v122, v123
	s_cbranch_execz .LBB58_570
	s_branch .LBB58_571
.LBB58_569:
                                        ; implicit-def: $vgpr122
.LBB58_570:
	ds_read_b32 v122, v120
.LBB58_571:
	s_and_saveexec_b64 s[8:9], s[6:7]
	s_cbranch_execz .LBB58_575
; %bb.572:
	v_mov_b32_e32 v123, 0
	v_or_b32_e32 v123, 4, v123
	v_add_u32_e32 v124, -1, v0
	s_movk_i32 s12, 0xf4
	s_mov_b64 s[6:7], 0
.LBB58_573:                             ; =>This Inner Loop Header: Depth=1
	buffer_load_dword v125, v123, s[0:3], 0 offen
	v_mov_b32_e32 v126, s12
	ds_read_b32 v126, v126
	v_add_u32_e32 v124, -1, v124
	s_add_i32 s12, s12, 4
	v_cmp_eq_u32_e32 vcc, 0, v124
	v_add_u32_e32 v123, 4, v123
	s_or_b64 s[6:7], vcc, s[6:7]
	s_waitcnt vmcnt(0) lgkmcnt(0)
	v_fmac_f32_e32 v122, v125, v126
	s_andn2_b64 exec, exec, s[6:7]
	s_cbranch_execnz .LBB58_573
; %bb.574:
	s_or_b64 exec, exec, s[6:7]
.LBB58_575:
	s_or_b64 exec, exec, s[8:9]
	v_mov_b32_e32 v123, 0
	ds_read_b32 v123, v123
	s_waitcnt lgkmcnt(0)
	v_mul_f32_e32 v122, v122, v123
	buffer_store_dword v122, off, s[0:3], 0
.LBB58_576:
	s_or_b64 exec, exec, s[4:5]
	s_mov_b64 s[4:5], 0
.LBB58_577:
	s_and_b64 vcc, exec, s[4:5]
	s_cbranch_vccz .LBB58_1151
; %bb.578:
	buffer_load_dword v122, off, s[0:3], 0 offset:4
	v_cmp_eq_u32_e64 s[6:7], 0, v0
	s_waitcnt vmcnt(0)
	ds_write_b32 v120, v122
	s_waitcnt lgkmcnt(0)
	; wave barrier
	s_waitcnt lgkmcnt(0)
	s_and_saveexec_b64 s[4:5], s[6:7]
	s_cbranch_execz .LBB58_584
; %bb.579:
	s_and_b64 vcc, exec, s[10:11]
	s_cbranch_vccz .LBB58_581
; %bb.580:
	buffer_load_dword v122, v121, s[0:3], 0 offen
	ds_read_b32 v123, v120
	s_waitcnt vmcnt(0) lgkmcnt(0)
	v_mul_f32_e32 v122, v122, v123
	s_cbranch_execz .LBB58_582
	s_branch .LBB58_583
.LBB58_581:
                                        ; implicit-def: $vgpr122
.LBB58_582:
	ds_read_b32 v122, v120
.LBB58_583:
	v_mov_b32_e32 v123, 0
	ds_read_b32 v123, v123 offset:4
	s_waitcnt lgkmcnt(0)
	v_mul_f32_e32 v122, v122, v123
	buffer_store_dword v122, off, s[0:3], 0 offset:4
.LBB58_584:
	s_or_b64 exec, exec, s[4:5]
	buffer_load_dword v122, off, s[0:3], 0 offset:8
	v_cndmask_b32_e64 v123, 0, 1, s[10:11]
	v_cmp_gt_u32_e32 vcc, 2, v0
	v_cmp_ne_u32_e64 s[4:5], 1, v123
	s_waitcnt vmcnt(0)
	ds_write_b32 v120, v122
	s_waitcnt lgkmcnt(0)
	; wave barrier
	s_waitcnt lgkmcnt(0)
	s_and_saveexec_b64 s[8:9], vcc
	s_cbranch_execz .LBB58_592
; %bb.585:
	s_and_b64 vcc, exec, s[4:5]
	s_cbranch_vccnz .LBB58_587
; %bb.586:
	buffer_load_dword v122, v121, s[0:3], 0 offen
	ds_read_b32 v123, v120
	s_waitcnt vmcnt(0) lgkmcnt(0)
	v_mul_f32_e32 v122, v122, v123
	s_cbranch_execz .LBB58_588
	s_branch .LBB58_589
.LBB58_587:
                                        ; implicit-def: $vgpr122
.LBB58_588:
	ds_read_b32 v122, v120
.LBB58_589:
	s_and_saveexec_b64 s[10:11], s[6:7]
	s_cbranch_execz .LBB58_591
; %bb.590:
	buffer_load_dword v123, v121, s[0:3], 0 offen offset:4
	ds_read_b32 v124, v120 offset:4
	s_waitcnt vmcnt(0) lgkmcnt(0)
	v_fmac_f32_e32 v122, v123, v124
.LBB58_591:
	s_or_b64 exec, exec, s[10:11]
	v_mov_b32_e32 v123, 0
	ds_read_b32 v123, v123 offset:8
	s_waitcnt lgkmcnt(0)
	v_mul_f32_e32 v122, v122, v123
	buffer_store_dword v122, off, s[0:3], 0 offset:8
.LBB58_592:
	s_or_b64 exec, exec, s[8:9]
	buffer_load_dword v122, off, s[0:3], 0 offset:12
	v_cmp_gt_u32_e32 vcc, 3, v0
	s_waitcnt vmcnt(0)
	ds_write_b32 v120, v122
	s_waitcnt lgkmcnt(0)
	; wave barrier
	s_waitcnt lgkmcnt(0)
	s_and_saveexec_b64 s[8:9], vcc
	s_cbranch_execz .LBB58_600
; %bb.593:
	s_and_b64 vcc, exec, s[4:5]
	s_cbranch_vccnz .LBB58_595
; %bb.594:
	buffer_load_dword v122, v121, s[0:3], 0 offen
	ds_read_b32 v123, v120
	s_waitcnt vmcnt(0) lgkmcnt(0)
	v_mul_f32_e32 v122, v122, v123
	s_cbranch_execz .LBB58_596
	s_branch .LBB58_597
.LBB58_595:
                                        ; implicit-def: $vgpr122
.LBB58_596:
	ds_read_b32 v122, v120
.LBB58_597:
	v_cmp_ne_u32_e32 vcc, 2, v0
	s_and_saveexec_b64 s[10:11], vcc
	s_cbranch_execz .LBB58_599
; %bb.598:
	buffer_load_dword v123, v121, s[0:3], 0 offen offset:4
	buffer_load_dword v124, off, s[0:3], 0 offset:8
	v_mov_b32_e32 v125, 0
	ds_read_b32 v126, v120 offset:4
	ds_read_b32 v125, v125 offset:248
	s_waitcnt vmcnt(1) lgkmcnt(1)
	v_fmac_f32_e32 v122, v123, v126
	s_waitcnt vmcnt(0) lgkmcnt(0)
	v_fma_f32 v123, v124, v125, v122
	v_cndmask_b32_e64 v122, v122, v123, s[6:7]
.LBB58_599:
	s_or_b64 exec, exec, s[10:11]
	v_mov_b32_e32 v123, 0
	ds_read_b32 v123, v123 offset:12
	s_waitcnt lgkmcnt(0)
	v_mul_f32_e32 v122, v122, v123
	buffer_store_dword v122, off, s[0:3], 0 offset:12
.LBB58_600:
	s_or_b64 exec, exec, s[8:9]
	buffer_load_dword v122, off, s[0:3], 0 offset:16
	v_cmp_gt_u32_e32 vcc, 4, v0
	s_waitcnt vmcnt(0)
	ds_write_b32 v120, v122
	s_waitcnt lgkmcnt(0)
	; wave barrier
	s_waitcnt lgkmcnt(0)
	s_and_saveexec_b64 s[6:7], vcc
	s_cbranch_execz .LBB58_610
; %bb.601:
	s_and_b64 vcc, exec, s[4:5]
	s_cbranch_vccnz .LBB58_603
; %bb.602:
	buffer_load_dword v122, v121, s[0:3], 0 offen
	ds_read_b32 v123, v120
	s_waitcnt vmcnt(0) lgkmcnt(0)
	v_mul_f32_e32 v122, v122, v123
	s_cbranch_execz .LBB58_604
	s_branch .LBB58_605
.LBB58_603:
                                        ; implicit-def: $vgpr122
.LBB58_604:
	ds_read_b32 v122, v120
.LBB58_605:
	v_cmp_ne_u32_e32 vcc, 3, v0
	s_and_saveexec_b64 s[8:9], vcc
	s_cbranch_execz .LBB58_609
; %bb.606:
	v_mov_b32_e32 v124, 0
	v_add_u32_e32 v123, 0xf4, v1
	v_add3_u32 v124, v1, v124, 4
	s_mov_b64 s[10:11], 0
	v_mov_b32_e32 v125, v0
.LBB58_607:                             ; =>This Inner Loop Header: Depth=1
	buffer_load_dword v126, v124, s[0:3], 0 offen
	ds_read_b32 v127, v123
	v_add_u32_e32 v125, 1, v125
	v_cmp_lt_u32_e32 vcc, 2, v125
	v_add_u32_e32 v123, 4, v123
	v_add_u32_e32 v124, 4, v124
	s_or_b64 s[10:11], vcc, s[10:11]
	s_waitcnt vmcnt(0) lgkmcnt(0)
	v_fmac_f32_e32 v122, v126, v127
	s_andn2_b64 exec, exec, s[10:11]
	s_cbranch_execnz .LBB58_607
; %bb.608:
	s_or_b64 exec, exec, s[10:11]
.LBB58_609:
	s_or_b64 exec, exec, s[8:9]
	v_mov_b32_e32 v123, 0
	ds_read_b32 v123, v123 offset:16
	s_waitcnt lgkmcnt(0)
	v_mul_f32_e32 v122, v122, v123
	buffer_store_dword v122, off, s[0:3], 0 offset:16
.LBB58_610:
	s_or_b64 exec, exec, s[6:7]
	buffer_load_dword v122, off, s[0:3], 0 offset:20
	v_cmp_gt_u32_e32 vcc, 5, v0
	s_waitcnt vmcnt(0)
	ds_write_b32 v120, v122
	s_waitcnt lgkmcnt(0)
	; wave barrier
	s_waitcnt lgkmcnt(0)
	s_and_saveexec_b64 s[6:7], vcc
	s_cbranch_execz .LBB58_620
; %bb.611:
	s_and_b64 vcc, exec, s[4:5]
	s_cbranch_vccnz .LBB58_613
; %bb.612:
	buffer_load_dword v122, v121, s[0:3], 0 offen
	ds_read_b32 v123, v120
	s_waitcnt vmcnt(0) lgkmcnt(0)
	v_mul_f32_e32 v122, v122, v123
	s_cbranch_execz .LBB58_614
	s_branch .LBB58_615
.LBB58_613:
                                        ; implicit-def: $vgpr122
.LBB58_614:
	ds_read_b32 v122, v120
.LBB58_615:
	v_cmp_ne_u32_e32 vcc, 4, v0
	s_and_saveexec_b64 s[8:9], vcc
	s_cbranch_execz .LBB58_619
; %bb.616:
	v_mov_b32_e32 v124, 0
	v_add_u32_e32 v123, 0xf4, v1
	v_add3_u32 v124, v1, v124, 4
	s_mov_b64 s[10:11], 0
	v_mov_b32_e32 v125, v0
.LBB58_617:                             ; =>This Inner Loop Header: Depth=1
	buffer_load_dword v126, v124, s[0:3], 0 offen
	ds_read_b32 v127, v123
	v_add_u32_e32 v125, 1, v125
	v_cmp_lt_u32_e32 vcc, 3, v125
	v_add_u32_e32 v123, 4, v123
	v_add_u32_e32 v124, 4, v124
	s_or_b64 s[10:11], vcc, s[10:11]
	s_waitcnt vmcnt(0) lgkmcnt(0)
	v_fmac_f32_e32 v122, v126, v127
	s_andn2_b64 exec, exec, s[10:11]
	s_cbranch_execnz .LBB58_617
; %bb.618:
	s_or_b64 exec, exec, s[10:11]
.LBB58_619:
	s_or_b64 exec, exec, s[8:9]
	v_mov_b32_e32 v123, 0
	ds_read_b32 v123, v123 offset:20
	s_waitcnt lgkmcnt(0)
	v_mul_f32_e32 v122, v122, v123
	buffer_store_dword v122, off, s[0:3], 0 offset:20
.LBB58_620:
	;; [unrolled: 56-line block ×40, first 2 shown]
	s_or_b64 exec, exec, s[6:7]
	buffer_load_dword v122, off, s[0:3], 0 offset:176
	v_cmp_gt_u32_e32 vcc, 44, v0
	s_waitcnt vmcnt(0)
	ds_write_b32 v120, v122
	s_waitcnt lgkmcnt(0)
	; wave barrier
	s_waitcnt lgkmcnt(0)
	s_and_saveexec_b64 s[6:7], vcc
	s_cbranch_execz .LBB58_1010
; %bb.1001:
	s_and_b64 vcc, exec, s[4:5]
	s_cbranch_vccnz .LBB58_1003
; %bb.1002:
	buffer_load_dword v122, v121, s[0:3], 0 offen
	ds_read_b32 v123, v120
	s_waitcnt vmcnt(0) lgkmcnt(0)
	v_mul_f32_e32 v122, v122, v123
	s_cbranch_execz .LBB58_1004
	s_branch .LBB58_1005
.LBB58_1003:
                                        ; implicit-def: $vgpr122
.LBB58_1004:
	ds_read_b32 v122, v120
.LBB58_1005:
	v_cmp_ne_u32_e32 vcc, 43, v0
	s_and_saveexec_b64 s[8:9], vcc
	s_cbranch_execz .LBB58_1009
; %bb.1006:
	v_mov_b32_e32 v124, 0
	v_add_u32_e32 v123, 0xf4, v1
	v_add3_u32 v124, v1, v124, 4
	s_mov_b64 s[10:11], 0
	v_mov_b32_e32 v125, v0
.LBB58_1007:                            ; =>This Inner Loop Header: Depth=1
	buffer_load_dword v126, v124, s[0:3], 0 offen
	ds_read_b32 v127, v123
	v_add_u32_e32 v125, 1, v125
	v_cmp_lt_u32_e32 vcc, 42, v125
	v_add_u32_e32 v123, 4, v123
	v_add_u32_e32 v124, 4, v124
	s_or_b64 s[10:11], vcc, s[10:11]
	s_waitcnt vmcnt(0) lgkmcnt(0)
	v_fmac_f32_e32 v122, v126, v127
	s_andn2_b64 exec, exec, s[10:11]
	s_cbranch_execnz .LBB58_1007
; %bb.1008:
	s_or_b64 exec, exec, s[10:11]
.LBB58_1009:
	s_or_b64 exec, exec, s[8:9]
	v_mov_b32_e32 v123, 0
	ds_read_b32 v123, v123 offset:176
	s_waitcnt lgkmcnt(0)
	v_mul_f32_e32 v122, v122, v123
	buffer_store_dword v122, off, s[0:3], 0 offset:176
.LBB58_1010:
	s_or_b64 exec, exec, s[6:7]
	buffer_load_dword v122, off, s[0:3], 0 offset:180
	v_cmp_gt_u32_e32 vcc, 45, v0
	s_waitcnt vmcnt(0)
	ds_write_b32 v120, v122
	s_waitcnt lgkmcnt(0)
	; wave barrier
	s_waitcnt lgkmcnt(0)
	s_and_saveexec_b64 s[6:7], vcc
	s_cbranch_execz .LBB58_1020
; %bb.1011:
	s_and_b64 vcc, exec, s[4:5]
	s_cbranch_vccnz .LBB58_1013
; %bb.1012:
	buffer_load_dword v122, v121, s[0:3], 0 offen
	ds_read_b32 v123, v120
	s_waitcnt vmcnt(0) lgkmcnt(0)
	v_mul_f32_e32 v122, v122, v123
	s_cbranch_execz .LBB58_1014
	s_branch .LBB58_1015
.LBB58_1013:
                                        ; implicit-def: $vgpr122
.LBB58_1014:
	ds_read_b32 v122, v120
.LBB58_1015:
	v_cmp_ne_u32_e32 vcc, 44, v0
	s_and_saveexec_b64 s[8:9], vcc
	s_cbranch_execz .LBB58_1019
; %bb.1016:
	v_mov_b32_e32 v124, 0
	v_add_u32_e32 v123, 0xf4, v1
	v_add3_u32 v124, v1, v124, 4
	s_mov_b64 s[10:11], 0
	v_mov_b32_e32 v125, v0
.LBB58_1017:                            ; =>This Inner Loop Header: Depth=1
	buffer_load_dword v126, v124, s[0:3], 0 offen
	ds_read_b32 v127, v123
	v_add_u32_e32 v125, 1, v125
	v_cmp_lt_u32_e32 vcc, 43, v125
	v_add_u32_e32 v123, 4, v123
	v_add_u32_e32 v124, 4, v124
	s_or_b64 s[10:11], vcc, s[10:11]
	s_waitcnt vmcnt(0) lgkmcnt(0)
	v_fmac_f32_e32 v122, v126, v127
	s_andn2_b64 exec, exec, s[10:11]
	s_cbranch_execnz .LBB58_1017
; %bb.1018:
	s_or_b64 exec, exec, s[10:11]
.LBB58_1019:
	s_or_b64 exec, exec, s[8:9]
	v_mov_b32_e32 v123, 0
	ds_read_b32 v123, v123 offset:180
	s_waitcnt lgkmcnt(0)
	v_mul_f32_e32 v122, v122, v123
	buffer_store_dword v122, off, s[0:3], 0 offset:180
.LBB58_1020:
	;; [unrolled: 56-line block ×13, first 2 shown]
	s_or_b64 exec, exec, s[6:7]
	buffer_load_dword v122, off, s[0:3], 0 offset:228
	v_cmp_gt_u32_e64 s[6:7], 57, v0
	s_waitcnt vmcnt(0)
	ds_write_b32 v120, v122
	s_waitcnt lgkmcnt(0)
	; wave barrier
	s_waitcnt lgkmcnt(0)
	s_and_saveexec_b64 s[8:9], s[6:7]
	s_cbranch_execz .LBB58_1140
; %bb.1131:
	s_and_b64 vcc, exec, s[4:5]
	s_cbranch_vccnz .LBB58_1133
; %bb.1132:
	buffer_load_dword v122, v121, s[0:3], 0 offen
	ds_read_b32 v123, v120
	s_waitcnt vmcnt(0) lgkmcnt(0)
	v_mul_f32_e32 v122, v122, v123
	s_cbranch_execz .LBB58_1134
	s_branch .LBB58_1135
.LBB58_1133:
                                        ; implicit-def: $vgpr122
.LBB58_1134:
	ds_read_b32 v122, v120
.LBB58_1135:
	v_cmp_ne_u32_e32 vcc, 56, v0
	s_and_saveexec_b64 s[10:11], vcc
	s_cbranch_execz .LBB58_1139
; %bb.1136:
	v_mov_b32_e32 v124, 0
	v_add_u32_e32 v123, 0xf4, v1
	v_add3_u32 v124, v1, v124, 4
	s_mov_b64 s[12:13], 0
	v_mov_b32_e32 v125, v0
.LBB58_1137:                            ; =>This Inner Loop Header: Depth=1
	buffer_load_dword v126, v124, s[0:3], 0 offen
	ds_read_b32 v127, v123
	v_add_u32_e32 v125, 1, v125
	v_cmp_lt_u32_e32 vcc, 55, v125
	v_add_u32_e32 v123, 4, v123
	v_add_u32_e32 v124, 4, v124
	s_or_b64 s[12:13], vcc, s[12:13]
	s_waitcnt vmcnt(0) lgkmcnt(0)
	v_fmac_f32_e32 v122, v126, v127
	s_andn2_b64 exec, exec, s[12:13]
	s_cbranch_execnz .LBB58_1137
; %bb.1138:
	s_or_b64 exec, exec, s[12:13]
.LBB58_1139:
	s_or_b64 exec, exec, s[10:11]
	v_mov_b32_e32 v123, 0
	ds_read_b32 v123, v123 offset:228
	s_waitcnt lgkmcnt(0)
	v_mul_f32_e32 v122, v122, v123
	buffer_store_dword v122, off, s[0:3], 0 offset:228
.LBB58_1140:
	s_or_b64 exec, exec, s[8:9]
	buffer_load_dword v122, off, s[0:3], 0 offset:232
	v_cmp_ne_u32_e32 vcc, 58, v0
	s_waitcnt vmcnt(0)
	ds_write_b32 v120, v122
	s_waitcnt lgkmcnt(0)
	; wave barrier
	s_waitcnt lgkmcnt(0)
	s_and_saveexec_b64 s[8:9], vcc
	s_cbranch_execz .LBB58_1150
; %bb.1141:
	s_and_b64 vcc, exec, s[4:5]
	s_cbranch_vccnz .LBB58_1143
; %bb.1142:
	buffer_load_dword v121, v121, s[0:3], 0 offen
	ds_read_b32 v122, v120
	s_waitcnt vmcnt(0) lgkmcnt(0)
	v_mul_f32_e32 v121, v121, v122
	s_cbranch_execz .LBB58_1144
	s_branch .LBB58_1145
.LBB58_1143:
                                        ; implicit-def: $vgpr121
.LBB58_1144:
	ds_read_b32 v121, v120
.LBB58_1145:
	s_and_saveexec_b64 s[4:5], s[6:7]
	s_cbranch_execz .LBB58_1149
; %bb.1146:
	v_mov_b32_e32 v122, 0
	v_add_u32_e32 v120, 0xf4, v1
	v_add3_u32 v1, v1, v122, 4
	s_mov_b64 s[6:7], 0
.LBB58_1147:                            ; =>This Inner Loop Header: Depth=1
	buffer_load_dword v122, v1, s[0:3], 0 offen
	ds_read_b32 v123, v120
	v_add_u32_e32 v0, 1, v0
	v_cmp_lt_u32_e32 vcc, 56, v0
	v_add_u32_e32 v120, 4, v120
	v_add_u32_e32 v1, 4, v1
	s_or_b64 s[6:7], vcc, s[6:7]
	s_waitcnt vmcnt(0) lgkmcnt(0)
	v_fmac_f32_e32 v121, v122, v123
	s_andn2_b64 exec, exec, s[6:7]
	s_cbranch_execnz .LBB58_1147
; %bb.1148:
	s_or_b64 exec, exec, s[6:7]
.LBB58_1149:
	s_or_b64 exec, exec, s[4:5]
	v_mov_b32_e32 v0, 0
	ds_read_b32 v0, v0 offset:232
	s_waitcnt lgkmcnt(0)
	v_mul_f32_e32 v0, v121, v0
	buffer_store_dword v0, off, s[0:3], 0 offset:232
.LBB58_1150:
	s_or_b64 exec, exec, s[8:9]
.LBB58_1151:
	buffer_load_dword v0, off, s[0:3], 0
	buffer_load_dword v1, off, s[0:3], 0 offset:4
	buffer_load_dword v120, off, s[0:3], 0 offset:8
	;; [unrolled: 1-line block ×39, first 2 shown]
	s_waitcnt vmcnt(39)
	global_store_dword v[4:5], v0, off
	buffer_load_dword v0, off, s[0:3], 0 offset:160
	s_nop 0
	buffer_load_dword v4, off, s[0:3], 0 offset:164
	buffer_load_dword v5, off, s[0:3], 0 offset:168
	;; [unrolled: 1-line block ×7, first 2 shown]
	s_waitcnt vmcnt(47)
	global_store_dword v[2:3], v1, off
	s_waitcnt vmcnt(47)
	global_store_dword v[6:7], v120, off
	;; [unrolled: 2-line block ×3, first 2 shown]
	buffer_load_dword v1, off, s[0:3], 0 offset:192
	buffer_load_dword v2, off, s[0:3], 0 offset:196
	;; [unrolled: 1-line block ×8, first 2 shown]
	s_waitcnt vmcnt(55)
	global_store_dword v[10:11], v122, off
	buffer_load_dword v10, off, s[0:3], 0 offset:224
	s_nop 0
	buffer_load_dword v11, off, s[0:3], 0 offset:228
	buffer_load_dword v121, off, s[0:3], 0 offset:232
	s_waitcnt vmcnt(58)
	global_store_dword v[12:13], v123, off
	s_waitcnt vmcnt(58)
	global_store_dword v[14:15], v124, off
	;; [unrolled: 2-line block ×54, first 2 shown]
.LBB58_1152:
	s_endpgm
	.section	.rodata,"a",@progbits
	.p2align	6, 0x0
	.amdhsa_kernel _ZN9rocsolver6v33100L18trti2_kernel_smallILi59EfPfEEv13rocblas_fill_17rocblas_diagonal_T1_iil
		.amdhsa_group_segment_fixed_size 476
		.amdhsa_private_segment_fixed_size 240
		.amdhsa_kernarg_size 32
		.amdhsa_user_sgpr_count 8
		.amdhsa_user_sgpr_private_segment_buffer 1
		.amdhsa_user_sgpr_dispatch_ptr 0
		.amdhsa_user_sgpr_queue_ptr 0
		.amdhsa_user_sgpr_kernarg_segment_ptr 1
		.amdhsa_user_sgpr_dispatch_id 0
		.amdhsa_user_sgpr_flat_scratch_init 1
		.amdhsa_user_sgpr_kernarg_preload_length 0
		.amdhsa_user_sgpr_kernarg_preload_offset 0
		.amdhsa_user_sgpr_private_segment_size 0
		.amdhsa_uses_dynamic_stack 0
		.amdhsa_system_sgpr_private_segment_wavefront_offset 1
		.amdhsa_system_sgpr_workgroup_id_x 1
		.amdhsa_system_sgpr_workgroup_id_y 0
		.amdhsa_system_sgpr_workgroup_id_z 0
		.amdhsa_system_sgpr_workgroup_info 0
		.amdhsa_system_vgpr_workitem_id 0
		.amdhsa_next_free_vgpr 165
		.amdhsa_next_free_sgpr 20
		.amdhsa_accum_offset 168
		.amdhsa_reserve_vcc 1
		.amdhsa_reserve_flat_scratch 0
		.amdhsa_float_round_mode_32 0
		.amdhsa_float_round_mode_16_64 0
		.amdhsa_float_denorm_mode_32 3
		.amdhsa_float_denorm_mode_16_64 3
		.amdhsa_dx10_clamp 1
		.amdhsa_ieee_mode 1
		.amdhsa_fp16_overflow 0
		.amdhsa_tg_split 0
		.amdhsa_exception_fp_ieee_invalid_op 0
		.amdhsa_exception_fp_denorm_src 0
		.amdhsa_exception_fp_ieee_div_zero 0
		.amdhsa_exception_fp_ieee_overflow 0
		.amdhsa_exception_fp_ieee_underflow 0
		.amdhsa_exception_fp_ieee_inexact 0
		.amdhsa_exception_int_div_zero 0
	.end_amdhsa_kernel
	.section	.text._ZN9rocsolver6v33100L18trti2_kernel_smallILi59EfPfEEv13rocblas_fill_17rocblas_diagonal_T1_iil,"axG",@progbits,_ZN9rocsolver6v33100L18trti2_kernel_smallILi59EfPfEEv13rocblas_fill_17rocblas_diagonal_T1_iil,comdat
.Lfunc_end58:
	.size	_ZN9rocsolver6v33100L18trti2_kernel_smallILi59EfPfEEv13rocblas_fill_17rocblas_diagonal_T1_iil, .Lfunc_end58-_ZN9rocsolver6v33100L18trti2_kernel_smallILi59EfPfEEv13rocblas_fill_17rocblas_diagonal_T1_iil
                                        ; -- End function
	.section	.AMDGPU.csdata,"",@progbits
; Kernel info:
; codeLenInByte = 29196
; NumSgprs: 24
; NumVgprs: 165
; NumAgprs: 0
; TotalNumVgprs: 165
; ScratchSize: 240
; MemoryBound: 0
; FloatMode: 240
; IeeeMode: 1
; LDSByteSize: 476 bytes/workgroup (compile time only)
; SGPRBlocks: 2
; VGPRBlocks: 20
; NumSGPRsForWavesPerEU: 24
; NumVGPRsForWavesPerEU: 165
; AccumOffset: 168
; Occupancy: 3
; WaveLimiterHint : 0
; COMPUTE_PGM_RSRC2:SCRATCH_EN: 1
; COMPUTE_PGM_RSRC2:USER_SGPR: 8
; COMPUTE_PGM_RSRC2:TRAP_HANDLER: 0
; COMPUTE_PGM_RSRC2:TGID_X_EN: 1
; COMPUTE_PGM_RSRC2:TGID_Y_EN: 0
; COMPUTE_PGM_RSRC2:TGID_Z_EN: 0
; COMPUTE_PGM_RSRC2:TIDIG_COMP_CNT: 0
; COMPUTE_PGM_RSRC3_GFX90A:ACCUM_OFFSET: 41
; COMPUTE_PGM_RSRC3_GFX90A:TG_SPLIT: 0
	.section	.text._ZN9rocsolver6v33100L18trti2_kernel_smallILi60EfPfEEv13rocblas_fill_17rocblas_diagonal_T1_iil,"axG",@progbits,_ZN9rocsolver6v33100L18trti2_kernel_smallILi60EfPfEEv13rocblas_fill_17rocblas_diagonal_T1_iil,comdat
	.globl	_ZN9rocsolver6v33100L18trti2_kernel_smallILi60EfPfEEv13rocblas_fill_17rocblas_diagonal_T1_iil ; -- Begin function _ZN9rocsolver6v33100L18trti2_kernel_smallILi60EfPfEEv13rocblas_fill_17rocblas_diagonal_T1_iil
	.p2align	8
	.type	_ZN9rocsolver6v33100L18trti2_kernel_smallILi60EfPfEEv13rocblas_fill_17rocblas_diagonal_T1_iil,@function
_ZN9rocsolver6v33100L18trti2_kernel_smallILi60EfPfEEv13rocblas_fill_17rocblas_diagonal_T1_iil: ; @_ZN9rocsolver6v33100L18trti2_kernel_smallILi60EfPfEEv13rocblas_fill_17rocblas_diagonal_T1_iil
; %bb.0:
	s_add_u32 s0, s0, s9
	s_addc_u32 s1, s1, 0
	v_cmp_gt_u32_e32 vcc, 60, v0
	s_and_saveexec_b64 s[6:7], vcc
	s_cbranch_execz .LBB59_1172
; %bb.1:
	s_load_dwordx8 s[12:19], s[4:5], 0x0
	s_ashr_i32 s6, s8, 31
	v_lshlrev_b32_e32 v1, 2, v0
	s_waitcnt lgkmcnt(0)
	s_mul_i32 s7, s8, s19
	s_mul_hi_u32 s9, s8, s18
	s_add_i32 s7, s9, s7
	s_mul_i32 s6, s6, s18
	s_add_i32 s7, s7, s6
	s_mul_i32 s6, s8, s18
	s_ashr_i32 s5, s16, 31
	s_lshl_b64 s[6:7], s[6:7], 2
	s_mov_b32 s4, s16
	s_add_u32 s6, s14, s6
	s_addc_u32 s7, s15, s7
	s_lshl_b64 s[4:5], s[4:5], 2
	s_add_u32 s4, s6, s4
	s_addc_u32 s5, s7, s5
	v_mov_b32_e32 v3, s5
	v_add_co_u32_e32 v2, vcc, s4, v1
	s_ashr_i32 s7, s17, 31
	s_mov_b32 s6, s17
	v_addc_co_u32_e32 v3, vcc, 0, v3, vcc
	s_lshl_b64 s[6:7], s[6:7], 2
	v_add_co_u32_e32 v4, vcc, s6, v2
	s_add_i32 s6, s17, s17
	v_add_u32_e32 v8, s6, v0
	v_mov_b32_e32 v5, s7
	v_ashrrev_i32_e32 v9, 31, v8
	v_addc_co_u32_e32 v5, vcc, v3, v5, vcc
	v_lshlrev_b64 v[6:7], 2, v[8:9]
	v_add_u32_e32 v10, s17, v8
	v_mov_b32_e32 v9, s5
	v_add_co_u32_e32 v6, vcc, s4, v6
	v_ashrrev_i32_e32 v11, 31, v10
	v_addc_co_u32_e32 v7, vcc, v9, v7, vcc
	v_lshlrev_b64 v[8:9], 2, v[10:11]
	v_add_u32_e32 v12, s17, v10
	v_mov_b32_e32 v11, s5
	v_add_co_u32_e32 v8, vcc, s4, v8
	;; [unrolled: 6-line block ×6, first 2 shown]
	v_ashrrev_i32_e32 v21, 31, v20
	v_addc_co_u32_e32 v17, vcc, v19, v17, vcc
	v_lshlrev_b64 v[18:19], 2, v[20:21]
	v_mov_b32_e32 v21, s5
	v_add_co_u32_e32 v18, vcc, s4, v18
	global_load_dword v37, v1, s[4:5]
	v_addc_co_u32_e32 v19, vcc, v21, v19, vcc
	global_load_dword v41, v[4:5], off
	global_load_dword v39, v[6:7], off
	;; [unrolled: 1-line block ×8, first 2 shown]
	v_add_u32_e32 v22, s17, v20
	v_ashrrev_i32_e32 v23, 31, v22
	v_lshlrev_b64 v[20:21], 2, v[22:23]
	v_add_u32_e32 v24, s17, v22
	v_mov_b32_e32 v23, s5
	v_add_co_u32_e32 v20, vcc, s4, v20
	v_ashrrev_i32_e32 v25, 31, v24
	v_addc_co_u32_e32 v21, vcc, v23, v21, vcc
	v_lshlrev_b64 v[22:23], 2, v[24:25]
	v_add_u32_e32 v26, s17, v24
	v_mov_b32_e32 v25, s5
	v_add_co_u32_e32 v22, vcc, s4, v22
	v_ashrrev_i32_e32 v27, 31, v26
	v_addc_co_u32_e32 v23, vcc, v25, v23, vcc
	;; [unrolled: 6-line block ×6, first 2 shown]
	v_lshlrev_b64 v[32:33], 2, v[34:35]
	v_mov_b32_e32 v35, s5
	v_add_co_u32_e32 v32, vcc, s4, v32
	global_load_dword v57, v[20:21], off
	global_load_dword v55, v[22:23], off
	;; [unrolled: 1-line block ×3, first 2 shown]
	v_addc_co_u32_e32 v33, vcc, v35, v33, vcc
	global_load_dword v61, v[26:27], off
	global_load_dword v63, v[28:29], off
	;; [unrolled: 1-line block ×4, first 2 shown]
	v_add_u32_e32 v36, s17, v34
	v_add_u32_e32 v38, s17, v36
	;; [unrolled: 1-line block ×44, first 2 shown]
	v_ashrrev_i32_e32 v35, 31, v34
	v_lshlrev_b64 v[34:35], 2, v[34:35]
	v_mov_b32_e32 v69, s5
	v_add_co_u32_e32 v34, vcc, s4, v34
	v_addc_co_u32_e32 v35, vcc, v69, v35, vcc
	global_load_dword v122, v[34:35], off
	s_waitcnt vmcnt(16)
	buffer_store_dword v37, off, s[0:3], 0
	s_waitcnt vmcnt(16)
	buffer_store_dword v41, off, s[0:3], 0 offset:4
	s_waitcnt vmcnt(15)
	buffer_store_dword v53, off, s[0:3], 0 offset:12
	buffer_store_dword v39, off, s[0:3], 0 offset:8
	s_waitcnt vmcnt(16)
	buffer_store_dword v43, off, s[0:3], 0 offset:16
	s_waitcnt vmcnt(16)
	;; [unrolled: 2-line block ×5, first 2 shown]
	buffer_store_dword v51, off, s[0:3], 0 offset:32
	v_ashrrev_i32_e32 v37, 31, v36
	v_lshlrev_b64 v[36:37], 2, v[36:37]
	v_mov_b32_e32 v39, s5
	v_add_co_u32_e32 v36, vcc, s4, v36
	v_addc_co_u32_e32 v37, vcc, v39, v37, vcc
	v_ashrrev_i32_e32 v39, 31, v38
	v_lshlrev_b64 v[38:39], 2, v[38:39]
	v_mov_b32_e32 v41, s5
	v_add_co_u32_e32 v38, vcc, s4, v38
	v_addc_co_u32_e32 v39, vcc, v41, v39, vcc
	;; [unrolled: 5-line block ×8, first 2 shown]
	v_ashrrev_i32_e32 v53, 31, v52
	v_lshlrev_b64 v[52:53], 2, v[52:53]
	global_load_dword v123, v[36:37], off
	s_waitcnt vmcnt(17)
	buffer_store_dword v57, off, s[0:3], 0 offset:36
	s_waitcnt vmcnt(16)
	buffer_store_dword v59, off, s[0:3], 0 offset:44
	buffer_store_dword v55, off, s[0:3], 0 offset:40
	s_waitcnt vmcnt(17)
	buffer_store_dword v61, off, s[0:3], 0 offset:48
	s_waitcnt vmcnt(17)
	buffer_store_dword v63, off, s[0:3], 0 offset:52
	s_waitcnt vmcnt(17)
	buffer_store_dword v65, off, s[0:3], 0 offset:56
	s_waitcnt vmcnt(17)
	buffer_store_dword v67, off, s[0:3], 0 offset:60
	v_mov_b32_e32 v55, s5
	v_add_co_u32_e32 v52, vcc, s4, v52
	v_addc_co_u32_e32 v53, vcc, v55, v53, vcc
	v_ashrrev_i32_e32 v55, 31, v54
	v_lshlrev_b64 v[54:55], 2, v[54:55]
	v_mov_b32_e32 v57, s5
	v_add_co_u32_e32 v54, vcc, s4, v54
	v_addc_co_u32_e32 v55, vcc, v57, v55, vcc
	v_ashrrev_i32_e32 v57, 31, v56
	v_lshlrev_b64 v[56:57], 2, v[56:57]
	;; [unrolled: 5-line block ×7, first 2 shown]
	v_add_co_u32_e32 v66, vcc, s4, v66
	v_addc_co_u32_e32 v67, vcc, v69, v67, vcc
	v_ashrrev_i32_e32 v69, 31, v68
	v_lshlrev_b64 v[68:69], 2, v[68:69]
	v_mov_b32_e32 v71, s5
	v_add_co_u32_e32 v68, vcc, s4, v68
	v_addc_co_u32_e32 v69, vcc, v71, v69, vcc
	v_ashrrev_i32_e32 v71, 31, v70
	v_lshlrev_b64 v[70:71], 2, v[70:71]
	v_mov_b32_e32 v73, s5
	;; [unrolled: 5-line block ×15, first 2 shown]
	v_add_co_u32_e32 v96, vcc, s4, v96
	v_addc_co_u32_e32 v97, vcc, v99, v97, vcc
	v_ashrrev_i32_e32 v99, 31, v98
	global_load_dword v124, v[38:39], off
	global_load_dword v125, v[40:41], off
	;; [unrolled: 1-line block ×8, first 2 shown]
	v_lshlrev_b64 v[98:99], 2, v[98:99]
	v_mov_b32_e32 v101, s5
	v_add_co_u32_e32 v98, vcc, s4, v98
	v_addc_co_u32_e32 v99, vcc, v101, v99, vcc
	v_ashrrev_i32_e32 v101, 31, v100
	v_lshlrev_b64 v[100:101], 2, v[100:101]
	v_mov_b32_e32 v103, s5
	v_add_co_u32_e32 v100, vcc, s4, v100
	v_addc_co_u32_e32 v101, vcc, v103, v101, vcc
	v_ashrrev_i32_e32 v103, 31, v102
	;; [unrolled: 5-line block ×10, first 2 shown]
	v_lshlrev_b64 v[118:119], 2, v[118:119]
	v_mov_b32_e32 v121, s5
	v_add_co_u32_e32 v118, vcc, s4, v118
	global_load_dword v132, v[54:55], off
	global_load_dword v133, v[56:57], off
	;; [unrolled: 1-line block ×24, first 2 shown]
	v_addc_co_u32_e32 v119, vcc, v121, v119, vcc
	global_load_dword v157, v[102:103], off
	global_load_dword v158, v[104:105], off
	;; [unrolled: 1-line block ×7, first 2 shown]
	v_ashrrev_i32_e32 v121, 31, v120
	s_waitcnt vmcnt(46)
	buffer_store_dword v123, off, s[0:3], 0 offset:64
	global_load_dword v123, v[118:119], off
	s_nop 0
	global_load_dword v164, v[116:117], off
	v_lshlrev_b64 v[120:121], 2, v[120:121]
	v_mov_b32_e32 v151, s5
	v_add_co_u32_e32 v120, vcc, s4, v120
	v_addc_co_u32_e32 v121, vcc, v151, v121, vcc
	s_waitcnt vmcnt(41)
	buffer_store_dword v124, off, s[0:3], 0 offset:68
	global_load_dword v124, v[120:121], off
	s_cmpk_lg_i32 s13, 0x84
	s_waitcnt vmcnt(42)
	buffer_store_dword v125, off, s[0:3], 0 offset:72
	v_mov_b32_e32 v151, 0
	s_waitcnt vmcnt(42)
	buffer_store_dword v126, off, s[0:3], 0 offset:76
	s_waitcnt vmcnt(41)
	buffer_store_dword v128, off, s[0:3], 0 offset:84
	buffer_store_dword v127, off, s[0:3], 0 offset:80
	s_waitcnt vmcnt(41)
	buffer_store_dword v130, off, s[0:3], 0 offset:92
	;; [unrolled: 3-line block ×19, first 2 shown]
	s_waitcnt vmcnt(41)
	buffer_store_dword v164, off, s[0:3], 0 offset:224
	buffer_store_dword v122, off, s[0:3], 0 offset:236
	s_waitcnt vmcnt(41)
	buffer_store_dword v124, off, s[0:3], 0 offset:232
	s_cselect_b64 s[8:9], -1, 0
	s_cmpk_eq_i32 s13, 0x84
	v_mov_b32_e32 v122, -1.0
	s_cbranch_scc1 .LBB59_3
; %bb.2:
	v_lshl_add_u32 v122, v0, 2, v151
	buffer_load_dword v123, v122, s[0:3], 0 offen
	s_waitcnt vmcnt(0)
	v_div_scale_f32 v124, s[4:5], v123, v123, 1.0
	v_rcp_f32_e32 v125, v124
	v_div_scale_f32 v126, vcc, 1.0, v123, 1.0
	v_fma_f32 v127, -v124, v125, 1.0
	v_fmac_f32_e32 v125, v127, v125
	v_mul_f32_e32 v127, v126, v125
	v_fma_f32 v128, -v124, v127, v126
	v_fmac_f32_e32 v127, v128, v125
	v_fma_f32 v124, -v124, v127, v126
	v_div_fmas_f32 v124, v124, v125, v127
	v_div_fixup_f32 v123, v124, v123, 1.0
	buffer_store_dword v123, v122, s[0:3], 0 offen
	v_xor_b32_e32 v122, 0x80000000, v123
.LBB59_3:
	ds_write_b32 v1, v122
	s_cmpk_eq_i32 s12, 0x79
	v_add_u32_e32 v122, 0xf0, v1
	v_add_u32_e32 v123, 0, v1
	s_mov_b64 s[4:5], -1
	s_cbranch_scc1 .LBB59_587
; %bb.4:
	buffer_load_dword v124, off, s[0:3], 0 offset:232
	v_cmp_eq_u32_e64 s[4:5], 59, v0
	s_waitcnt vmcnt(0)
	ds_write_b32 v122, v124
	s_waitcnt lgkmcnt(0)
	; wave barrier
	s_waitcnt lgkmcnt(0)
	s_and_saveexec_b64 s[6:7], s[4:5]
	s_cbranch_execz .LBB59_10
; %bb.5:
	s_and_b64 vcc, exec, s[8:9]
	s_cbranch_vccz .LBB59_7
; %bb.6:
	buffer_load_dword v124, v123, s[0:3], 0 offen
	ds_read_b32 v125, v122
	s_waitcnt vmcnt(0) lgkmcnt(0)
	v_mul_f32_e32 v124, v124, v125
	s_cbranch_execz .LBB59_8
	s_branch .LBB59_9
.LBB59_7:
                                        ; implicit-def: $vgpr124
.LBB59_8:
	ds_read_b32 v124, v122
.LBB59_9:
	v_mov_b32_e32 v125, 0
	ds_read_b32 v125, v125 offset:232
	s_waitcnt lgkmcnt(0)
	v_mul_f32_e32 v124, v124, v125
	buffer_store_dword v124, off, s[0:3], 0 offset:232
.LBB59_10:
	s_or_b64 exec, exec, s[6:7]
	buffer_load_dword v152, off, s[0:3], 0 offset:228
	v_or_b32_e32 v124, 8, v151
	v_add_u32_e32 v125, 16, v151
	v_add_u32_e32 v126, 24, v151
	;; [unrolled: 1-line block ×27, first 2 shown]
	v_cmp_lt_u32_e64 s[6:7], 57, v0
	s_waitcnt vmcnt(0)
	ds_write_b32 v122, v152
	s_waitcnt lgkmcnt(0)
	; wave barrier
	s_waitcnt lgkmcnt(0)
	s_and_saveexec_b64 s[10:11], s[6:7]
	s_cbranch_execz .LBB59_16
; %bb.11:
	s_andn2_b64 vcc, exec, s[8:9]
	s_cbranch_vccnz .LBB59_13
; %bb.12:
	buffer_load_dword v152, v123, s[0:3], 0 offen
	ds_read_b32 v153, v122
	s_waitcnt vmcnt(0) lgkmcnt(0)
	v_mul_f32_e32 v152, v152, v153
	s_cbranch_execz .LBB59_14
	s_branch .LBB59_15
.LBB59_13:
                                        ; implicit-def: $vgpr152
.LBB59_14:
	ds_read_b32 v152, v122
.LBB59_15:
	buffer_load_dword v153, off, s[0:3], 0 offset:232
	v_mov_b32_e32 v154, 0
	ds_read2_b32 v[154:155], v154 offset0:57 offset1:118
	s_waitcnt vmcnt(0) lgkmcnt(0)
	v_fma_f32 v153, v153, v155, v152
	v_cndmask_b32_e64 v152, v152, v153, s[4:5]
	v_mul_f32_e32 v152, v152, v154
	buffer_store_dword v152, off, s[0:3], 0 offset:228
.LBB59_16:
	s_or_b64 exec, exec, s[10:11]
	buffer_load_dword v152, off, s[0:3], 0 offset:224
	v_cmp_lt_u32_e64 s[4:5], 56, v0
	s_waitcnt vmcnt(0)
	ds_write_b32 v122, v152
	s_waitcnt lgkmcnt(0)
	; wave barrier
	s_waitcnt lgkmcnt(0)
	s_and_saveexec_b64 s[10:11], s[4:5]
	s_cbranch_execz .LBB59_26
; %bb.17:
	s_andn2_b64 vcc, exec, s[8:9]
	s_cbranch_vccnz .LBB59_19
; %bb.18:
	buffer_load_dword v152, v123, s[0:3], 0 offen
	ds_read_b32 v153, v122
	s_waitcnt vmcnt(0) lgkmcnt(0)
	v_mul_f32_e32 v152, v152, v153
	s_cbranch_execz .LBB59_20
	s_branch .LBB59_21
.LBB59_19:
                                        ; implicit-def: $vgpr152
.LBB59_20:
	ds_read_b32 v152, v122
.LBB59_21:
	s_and_saveexec_b64 s[12:13], s[6:7]
	s_cbranch_execz .LBB59_25
; %bb.22:
	v_mov_b32_e32 v153, 0
	v_add_u32_e32 v153, 0xe4, v153
	v_subrev_u32_e32 v154, 57, v0
	s_movk_i32 s14, 0x1d4
	s_mov_b64 s[6:7], 0
.LBB59_23:                              ; =>This Inner Loop Header: Depth=1
	buffer_load_dword v155, v153, s[0:3], 0 offen
	v_mov_b32_e32 v156, s14
	ds_read_b32 v156, v156
	v_add_u32_e32 v154, -1, v154
	s_add_i32 s14, s14, 4
	v_cmp_eq_u32_e32 vcc, 0, v154
	v_add_u32_e32 v153, 4, v153
	s_or_b64 s[6:7], vcc, s[6:7]
	s_waitcnt vmcnt(0) lgkmcnt(0)
	v_fmac_f32_e32 v152, v155, v156
	s_andn2_b64 exec, exec, s[6:7]
	s_cbranch_execnz .LBB59_23
; %bb.24:
	s_or_b64 exec, exec, s[6:7]
.LBB59_25:
	s_or_b64 exec, exec, s[12:13]
	v_mov_b32_e32 v153, 0
	ds_read_b32 v153, v153 offset:224
	s_waitcnt lgkmcnt(0)
	v_mul_f32_e32 v152, v152, v153
	buffer_store_dword v152, off, s[0:3], 0 offset:224
.LBB59_26:
	s_or_b64 exec, exec, s[10:11]
	buffer_load_dword v152, off, s[0:3], 0 offset:220
	v_cmp_lt_u32_e64 s[6:7], 55, v0
	s_waitcnt vmcnt(0)
	ds_write_b32 v122, v152
	s_waitcnt lgkmcnt(0)
	; wave barrier
	s_waitcnt lgkmcnt(0)
	s_and_saveexec_b64 s[10:11], s[6:7]
	s_cbranch_execz .LBB59_36
; %bb.27:
	s_andn2_b64 vcc, exec, s[8:9]
	s_cbranch_vccnz .LBB59_29
; %bb.28:
	buffer_load_dword v152, v123, s[0:3], 0 offen
	ds_read_b32 v153, v122
	s_waitcnt vmcnt(0) lgkmcnt(0)
	v_mul_f32_e32 v152, v152, v153
	s_cbranch_execz .LBB59_30
	s_branch .LBB59_31
.LBB59_29:
                                        ; implicit-def: $vgpr152
.LBB59_30:
	ds_read_b32 v152, v122
.LBB59_31:
	s_and_saveexec_b64 s[12:13], s[4:5]
	s_cbranch_execz .LBB59_35
; %bb.32:
	v_subrev_u32_e32 v153, 56, v0
	s_movk_i32 s14, 0x1d0
	s_mov_b64 s[4:5], 0
.LBB59_33:                              ; =>This Inner Loop Header: Depth=1
	buffer_load_dword v154, v151, s[0:3], 0 offen
	v_mov_b32_e32 v155, s14
	ds_read_b32 v155, v155
	v_add_u32_e32 v153, -1, v153
	s_add_i32 s14, s14, 4
	v_cmp_eq_u32_e32 vcc, 0, v153
	v_add_u32_e32 v151, 4, v151
	s_or_b64 s[4:5], vcc, s[4:5]
	s_waitcnt vmcnt(0) lgkmcnt(0)
	v_fmac_f32_e32 v152, v154, v155
	s_andn2_b64 exec, exec, s[4:5]
	s_cbranch_execnz .LBB59_33
; %bb.34:
	s_or_b64 exec, exec, s[4:5]
.LBB59_35:
	s_or_b64 exec, exec, s[12:13]
	v_mov_b32_e32 v151, 0
	ds_read_b32 v151, v151 offset:220
	s_waitcnt lgkmcnt(0)
	v_mul_f32_e32 v151, v152, v151
	buffer_store_dword v151, off, s[0:3], 0 offset:220
.LBB59_36:
	s_or_b64 exec, exec, s[10:11]
	buffer_load_dword v151, off, s[0:3], 0 offset:216
	v_cmp_lt_u32_e64 s[4:5], 54, v0
	s_waitcnt vmcnt(0)
	ds_write_b32 v122, v151
	s_waitcnt lgkmcnt(0)
	; wave barrier
	s_waitcnt lgkmcnt(0)
	s_and_saveexec_b64 s[10:11], s[4:5]
	s_cbranch_execz .LBB59_46
; %bb.37:
	s_andn2_b64 vcc, exec, s[8:9]
	s_cbranch_vccnz .LBB59_39
; %bb.38:
	buffer_load_dword v151, v123, s[0:3], 0 offen
	ds_read_b32 v152, v122
	s_waitcnt vmcnt(0) lgkmcnt(0)
	v_mul_f32_e32 v151, v151, v152
	s_cbranch_execz .LBB59_40
	s_branch .LBB59_41
.LBB59_39:
                                        ; implicit-def: $vgpr151
.LBB59_40:
	ds_read_b32 v151, v122
.LBB59_41:
	s_and_saveexec_b64 s[12:13], s[6:7]
	s_cbranch_execz .LBB59_45
; %bb.42:
	v_mov_b32_e32 v152, 0
	v_add_u32_e32 v152, 0xdc, v152
	v_subrev_u32_e32 v153, 55, v0
	s_movk_i32 s14, 0x1cc
	s_mov_b64 s[6:7], 0
.LBB59_43:                              ; =>This Inner Loop Header: Depth=1
	buffer_load_dword v154, v152, s[0:3], 0 offen
	v_mov_b32_e32 v155, s14
	ds_read_b32 v155, v155
	v_add_u32_e32 v153, -1, v153
	s_add_i32 s14, s14, 4
	v_cmp_eq_u32_e32 vcc, 0, v153
	v_add_u32_e32 v152, 4, v152
	s_or_b64 s[6:7], vcc, s[6:7]
	s_waitcnt vmcnt(0) lgkmcnt(0)
	v_fmac_f32_e32 v151, v154, v155
	s_andn2_b64 exec, exec, s[6:7]
	s_cbranch_execnz .LBB59_43
; %bb.44:
	s_or_b64 exec, exec, s[6:7]
.LBB59_45:
	s_or_b64 exec, exec, s[12:13]
	v_mov_b32_e32 v152, 0
	ds_read_b32 v152, v152 offset:216
	s_waitcnt lgkmcnt(0)
	v_mul_f32_e32 v151, v151, v152
	buffer_store_dword v151, off, s[0:3], 0 offset:216
.LBB59_46:
	s_or_b64 exec, exec, s[10:11]
	buffer_load_dword v151, off, s[0:3], 0 offset:212
	v_cmp_lt_u32_e64 s[6:7], 53, v0
	s_waitcnt vmcnt(0)
	ds_write_b32 v122, v151
	s_waitcnt lgkmcnt(0)
	; wave barrier
	s_waitcnt lgkmcnt(0)
	s_and_saveexec_b64 s[10:11], s[6:7]
	s_cbranch_execz .LBB59_56
; %bb.47:
	s_andn2_b64 vcc, exec, s[8:9]
	s_cbranch_vccnz .LBB59_49
; %bb.48:
	buffer_load_dword v151, v123, s[0:3], 0 offen
	ds_read_b32 v152, v122
	s_waitcnt vmcnt(0) lgkmcnt(0)
	v_mul_f32_e32 v151, v151, v152
	s_cbranch_execz .LBB59_50
	s_branch .LBB59_51
.LBB59_49:
                                        ; implicit-def: $vgpr151
.LBB59_50:
	ds_read_b32 v151, v122
.LBB59_51:
	s_and_saveexec_b64 s[12:13], s[4:5]
	s_cbranch_execz .LBB59_55
; %bb.52:
	v_subrev_u32_e32 v152, 54, v0
	s_movk_i32 s14, 0x1c8
	s_mov_b64 s[4:5], 0
.LBB59_53:                              ; =>This Inner Loop Header: Depth=1
	buffer_load_dword v153, v150, s[0:3], 0 offen
	v_mov_b32_e32 v154, s14
	ds_read_b32 v154, v154
	v_add_u32_e32 v152, -1, v152
	s_add_i32 s14, s14, 4
	v_cmp_eq_u32_e32 vcc, 0, v152
	v_add_u32_e32 v150, 4, v150
	s_or_b64 s[4:5], vcc, s[4:5]
	s_waitcnt vmcnt(0) lgkmcnt(0)
	v_fmac_f32_e32 v151, v153, v154
	s_andn2_b64 exec, exec, s[4:5]
	s_cbranch_execnz .LBB59_53
; %bb.54:
	s_or_b64 exec, exec, s[4:5]
.LBB59_55:
	s_or_b64 exec, exec, s[12:13]
	v_mov_b32_e32 v150, 0
	ds_read_b32 v150, v150 offset:212
	s_waitcnt lgkmcnt(0)
	v_mul_f32_e32 v150, v151, v150
	buffer_store_dword v150, off, s[0:3], 0 offset:212
.LBB59_56:
	s_or_b64 exec, exec, s[10:11]
	buffer_load_dword v150, off, s[0:3], 0 offset:208
	v_cmp_lt_u32_e64 s[4:5], 52, v0
	s_waitcnt vmcnt(0)
	ds_write_b32 v122, v150
	s_waitcnt lgkmcnt(0)
	; wave barrier
	s_waitcnt lgkmcnt(0)
	s_and_saveexec_b64 s[10:11], s[4:5]
	s_cbranch_execz .LBB59_66
; %bb.57:
	s_andn2_b64 vcc, exec, s[8:9]
	s_cbranch_vccnz .LBB59_59
; %bb.58:
	buffer_load_dword v150, v123, s[0:3], 0 offen
	ds_read_b32 v151, v122
	s_waitcnt vmcnt(0) lgkmcnt(0)
	v_mul_f32_e32 v150, v150, v151
	s_cbranch_execz .LBB59_60
	s_branch .LBB59_61
.LBB59_59:
                                        ; implicit-def: $vgpr150
.LBB59_60:
	ds_read_b32 v150, v122
.LBB59_61:
	s_and_saveexec_b64 s[12:13], s[6:7]
	s_cbranch_execz .LBB59_65
; %bb.62:
	v_mov_b32_e32 v151, 0
	v_add_u32_e32 v151, 0xd4, v151
	v_subrev_u32_e32 v152, 53, v0
	s_movk_i32 s14, 0x1c4
	s_mov_b64 s[6:7], 0
.LBB59_63:                              ; =>This Inner Loop Header: Depth=1
	buffer_load_dword v153, v151, s[0:3], 0 offen
	v_mov_b32_e32 v154, s14
	ds_read_b32 v154, v154
	v_add_u32_e32 v152, -1, v152
	s_add_i32 s14, s14, 4
	v_cmp_eq_u32_e32 vcc, 0, v152
	v_add_u32_e32 v151, 4, v151
	s_or_b64 s[6:7], vcc, s[6:7]
	s_waitcnt vmcnt(0) lgkmcnt(0)
	v_fmac_f32_e32 v150, v153, v154
	s_andn2_b64 exec, exec, s[6:7]
	s_cbranch_execnz .LBB59_63
; %bb.64:
	s_or_b64 exec, exec, s[6:7]
.LBB59_65:
	s_or_b64 exec, exec, s[12:13]
	v_mov_b32_e32 v151, 0
	ds_read_b32 v151, v151 offset:208
	s_waitcnt lgkmcnt(0)
	v_mul_f32_e32 v150, v150, v151
	buffer_store_dword v150, off, s[0:3], 0 offset:208
.LBB59_66:
	s_or_b64 exec, exec, s[10:11]
	buffer_load_dword v150, off, s[0:3], 0 offset:204
	v_cmp_lt_u32_e64 s[6:7], 51, v0
	s_waitcnt vmcnt(0)
	ds_write_b32 v122, v150
	s_waitcnt lgkmcnt(0)
	; wave barrier
	s_waitcnt lgkmcnt(0)
	s_and_saveexec_b64 s[10:11], s[6:7]
	s_cbranch_execz .LBB59_76
; %bb.67:
	s_andn2_b64 vcc, exec, s[8:9]
	s_cbranch_vccnz .LBB59_69
; %bb.68:
	buffer_load_dword v150, v123, s[0:3], 0 offen
	ds_read_b32 v151, v122
	s_waitcnt vmcnt(0) lgkmcnt(0)
	v_mul_f32_e32 v150, v150, v151
	s_cbranch_execz .LBB59_70
	s_branch .LBB59_71
.LBB59_69:
                                        ; implicit-def: $vgpr150
.LBB59_70:
	ds_read_b32 v150, v122
.LBB59_71:
	s_and_saveexec_b64 s[12:13], s[4:5]
	s_cbranch_execz .LBB59_75
; %bb.72:
	v_subrev_u32_e32 v151, 52, v0
	s_movk_i32 s14, 0x1c0
	s_mov_b64 s[4:5], 0
.LBB59_73:                              ; =>This Inner Loop Header: Depth=1
	buffer_load_dword v152, v149, s[0:3], 0 offen
	v_mov_b32_e32 v153, s14
	ds_read_b32 v153, v153
	v_add_u32_e32 v151, -1, v151
	s_add_i32 s14, s14, 4
	v_cmp_eq_u32_e32 vcc, 0, v151
	v_add_u32_e32 v149, 4, v149
	s_or_b64 s[4:5], vcc, s[4:5]
	s_waitcnt vmcnt(0) lgkmcnt(0)
	v_fmac_f32_e32 v150, v152, v153
	s_andn2_b64 exec, exec, s[4:5]
	s_cbranch_execnz .LBB59_73
; %bb.74:
	s_or_b64 exec, exec, s[4:5]
.LBB59_75:
	s_or_b64 exec, exec, s[12:13]
	v_mov_b32_e32 v149, 0
	ds_read_b32 v149, v149 offset:204
	s_waitcnt lgkmcnt(0)
	v_mul_f32_e32 v149, v150, v149
	buffer_store_dword v149, off, s[0:3], 0 offset:204
.LBB59_76:
	s_or_b64 exec, exec, s[10:11]
	buffer_load_dword v149, off, s[0:3], 0 offset:200
	v_cmp_lt_u32_e64 s[4:5], 50, v0
	s_waitcnt vmcnt(0)
	ds_write_b32 v122, v149
	s_waitcnt lgkmcnt(0)
	; wave barrier
	s_waitcnt lgkmcnt(0)
	s_and_saveexec_b64 s[10:11], s[4:5]
	s_cbranch_execz .LBB59_86
; %bb.77:
	s_andn2_b64 vcc, exec, s[8:9]
	s_cbranch_vccnz .LBB59_79
; %bb.78:
	buffer_load_dword v149, v123, s[0:3], 0 offen
	ds_read_b32 v150, v122
	s_waitcnt vmcnt(0) lgkmcnt(0)
	v_mul_f32_e32 v149, v149, v150
	s_cbranch_execz .LBB59_80
	s_branch .LBB59_81
.LBB59_79:
                                        ; implicit-def: $vgpr149
.LBB59_80:
	ds_read_b32 v149, v122
.LBB59_81:
	s_and_saveexec_b64 s[12:13], s[6:7]
	s_cbranch_execz .LBB59_85
; %bb.82:
	v_mov_b32_e32 v150, 0
	v_add_u32_e32 v150, 0xcc, v150
	v_subrev_u32_e32 v151, 51, v0
	s_movk_i32 s14, 0x1bc
	s_mov_b64 s[6:7], 0
.LBB59_83:                              ; =>This Inner Loop Header: Depth=1
	buffer_load_dword v152, v150, s[0:3], 0 offen
	v_mov_b32_e32 v153, s14
	ds_read_b32 v153, v153
	v_add_u32_e32 v151, -1, v151
	s_add_i32 s14, s14, 4
	v_cmp_eq_u32_e32 vcc, 0, v151
	v_add_u32_e32 v150, 4, v150
	s_or_b64 s[6:7], vcc, s[6:7]
	s_waitcnt vmcnt(0) lgkmcnt(0)
	v_fmac_f32_e32 v149, v152, v153
	s_andn2_b64 exec, exec, s[6:7]
	s_cbranch_execnz .LBB59_83
; %bb.84:
	s_or_b64 exec, exec, s[6:7]
.LBB59_85:
	s_or_b64 exec, exec, s[12:13]
	v_mov_b32_e32 v150, 0
	ds_read_b32 v150, v150 offset:200
	s_waitcnt lgkmcnt(0)
	v_mul_f32_e32 v149, v149, v150
	buffer_store_dword v149, off, s[0:3], 0 offset:200
.LBB59_86:
	s_or_b64 exec, exec, s[10:11]
	buffer_load_dword v149, off, s[0:3], 0 offset:196
	v_cmp_lt_u32_e64 s[6:7], 49, v0
	s_waitcnt vmcnt(0)
	ds_write_b32 v122, v149
	s_waitcnt lgkmcnt(0)
	; wave barrier
	s_waitcnt lgkmcnt(0)
	s_and_saveexec_b64 s[10:11], s[6:7]
	s_cbranch_execz .LBB59_96
; %bb.87:
	s_andn2_b64 vcc, exec, s[8:9]
	s_cbranch_vccnz .LBB59_89
; %bb.88:
	buffer_load_dword v149, v123, s[0:3], 0 offen
	ds_read_b32 v150, v122
	s_waitcnt vmcnt(0) lgkmcnt(0)
	v_mul_f32_e32 v149, v149, v150
	s_cbranch_execz .LBB59_90
	s_branch .LBB59_91
.LBB59_89:
                                        ; implicit-def: $vgpr149
.LBB59_90:
	ds_read_b32 v149, v122
.LBB59_91:
	s_and_saveexec_b64 s[12:13], s[4:5]
	s_cbranch_execz .LBB59_95
; %bb.92:
	v_subrev_u32_e32 v150, 50, v0
	s_movk_i32 s14, 0x1b8
	s_mov_b64 s[4:5], 0
.LBB59_93:                              ; =>This Inner Loop Header: Depth=1
	buffer_load_dword v151, v148, s[0:3], 0 offen
	v_mov_b32_e32 v152, s14
	ds_read_b32 v152, v152
	v_add_u32_e32 v150, -1, v150
	s_add_i32 s14, s14, 4
	v_cmp_eq_u32_e32 vcc, 0, v150
	v_add_u32_e32 v148, 4, v148
	s_or_b64 s[4:5], vcc, s[4:5]
	s_waitcnt vmcnt(0) lgkmcnt(0)
	v_fmac_f32_e32 v149, v151, v152
	s_andn2_b64 exec, exec, s[4:5]
	s_cbranch_execnz .LBB59_93
; %bb.94:
	s_or_b64 exec, exec, s[4:5]
.LBB59_95:
	s_or_b64 exec, exec, s[12:13]
	v_mov_b32_e32 v148, 0
	ds_read_b32 v148, v148 offset:196
	s_waitcnt lgkmcnt(0)
	v_mul_f32_e32 v148, v149, v148
	buffer_store_dword v148, off, s[0:3], 0 offset:196
.LBB59_96:
	s_or_b64 exec, exec, s[10:11]
	buffer_load_dword v148, off, s[0:3], 0 offset:192
	v_cmp_lt_u32_e64 s[4:5], 48, v0
	s_waitcnt vmcnt(0)
	ds_write_b32 v122, v148
	s_waitcnt lgkmcnt(0)
	; wave barrier
	s_waitcnt lgkmcnt(0)
	s_and_saveexec_b64 s[10:11], s[4:5]
	s_cbranch_execz .LBB59_106
; %bb.97:
	s_andn2_b64 vcc, exec, s[8:9]
	s_cbranch_vccnz .LBB59_99
; %bb.98:
	buffer_load_dword v148, v123, s[0:3], 0 offen
	ds_read_b32 v149, v122
	s_waitcnt vmcnt(0) lgkmcnt(0)
	v_mul_f32_e32 v148, v148, v149
	s_cbranch_execz .LBB59_100
	s_branch .LBB59_101
.LBB59_99:
                                        ; implicit-def: $vgpr148
.LBB59_100:
	ds_read_b32 v148, v122
.LBB59_101:
	s_and_saveexec_b64 s[12:13], s[6:7]
	s_cbranch_execz .LBB59_105
; %bb.102:
	v_mov_b32_e32 v149, 0
	v_add_u32_e32 v149, 0xc4, v149
	v_subrev_u32_e32 v150, 49, v0
	s_movk_i32 s14, 0x1b4
	s_mov_b64 s[6:7], 0
.LBB59_103:                             ; =>This Inner Loop Header: Depth=1
	buffer_load_dword v151, v149, s[0:3], 0 offen
	v_mov_b32_e32 v152, s14
	ds_read_b32 v152, v152
	v_add_u32_e32 v150, -1, v150
	s_add_i32 s14, s14, 4
	v_cmp_eq_u32_e32 vcc, 0, v150
	v_add_u32_e32 v149, 4, v149
	s_or_b64 s[6:7], vcc, s[6:7]
	s_waitcnt vmcnt(0) lgkmcnt(0)
	v_fmac_f32_e32 v148, v151, v152
	s_andn2_b64 exec, exec, s[6:7]
	s_cbranch_execnz .LBB59_103
; %bb.104:
	s_or_b64 exec, exec, s[6:7]
.LBB59_105:
	s_or_b64 exec, exec, s[12:13]
	v_mov_b32_e32 v149, 0
	ds_read_b32 v149, v149 offset:192
	s_waitcnt lgkmcnt(0)
	v_mul_f32_e32 v148, v148, v149
	buffer_store_dword v148, off, s[0:3], 0 offset:192
.LBB59_106:
	s_or_b64 exec, exec, s[10:11]
	buffer_load_dword v148, off, s[0:3], 0 offset:188
	v_cmp_lt_u32_e64 s[6:7], 47, v0
	s_waitcnt vmcnt(0)
	ds_write_b32 v122, v148
	s_waitcnt lgkmcnt(0)
	; wave barrier
	s_waitcnt lgkmcnt(0)
	s_and_saveexec_b64 s[10:11], s[6:7]
	s_cbranch_execz .LBB59_116
; %bb.107:
	s_andn2_b64 vcc, exec, s[8:9]
	s_cbranch_vccnz .LBB59_109
; %bb.108:
	buffer_load_dword v148, v123, s[0:3], 0 offen
	ds_read_b32 v149, v122
	s_waitcnt vmcnt(0) lgkmcnt(0)
	v_mul_f32_e32 v148, v148, v149
	s_cbranch_execz .LBB59_110
	s_branch .LBB59_111
.LBB59_109:
                                        ; implicit-def: $vgpr148
.LBB59_110:
	ds_read_b32 v148, v122
.LBB59_111:
	s_and_saveexec_b64 s[12:13], s[4:5]
	s_cbranch_execz .LBB59_115
; %bb.112:
	v_subrev_u32_e32 v149, 48, v0
	s_movk_i32 s14, 0x1b0
	s_mov_b64 s[4:5], 0
.LBB59_113:                             ; =>This Inner Loop Header: Depth=1
	buffer_load_dword v150, v147, s[0:3], 0 offen
	v_mov_b32_e32 v151, s14
	ds_read_b32 v151, v151
	v_add_u32_e32 v149, -1, v149
	s_add_i32 s14, s14, 4
	v_cmp_eq_u32_e32 vcc, 0, v149
	v_add_u32_e32 v147, 4, v147
	s_or_b64 s[4:5], vcc, s[4:5]
	s_waitcnt vmcnt(0) lgkmcnt(0)
	v_fmac_f32_e32 v148, v150, v151
	s_andn2_b64 exec, exec, s[4:5]
	s_cbranch_execnz .LBB59_113
; %bb.114:
	s_or_b64 exec, exec, s[4:5]
.LBB59_115:
	s_or_b64 exec, exec, s[12:13]
	v_mov_b32_e32 v147, 0
	ds_read_b32 v147, v147 offset:188
	s_waitcnt lgkmcnt(0)
	v_mul_f32_e32 v147, v148, v147
	buffer_store_dword v147, off, s[0:3], 0 offset:188
.LBB59_116:
	s_or_b64 exec, exec, s[10:11]
	buffer_load_dword v147, off, s[0:3], 0 offset:184
	v_cmp_lt_u32_e64 s[4:5], 46, v0
	s_waitcnt vmcnt(0)
	ds_write_b32 v122, v147
	s_waitcnt lgkmcnt(0)
	; wave barrier
	s_waitcnt lgkmcnt(0)
	s_and_saveexec_b64 s[10:11], s[4:5]
	s_cbranch_execz .LBB59_126
; %bb.117:
	s_andn2_b64 vcc, exec, s[8:9]
	s_cbranch_vccnz .LBB59_119
; %bb.118:
	buffer_load_dword v147, v123, s[0:3], 0 offen
	ds_read_b32 v148, v122
	s_waitcnt vmcnt(0) lgkmcnt(0)
	v_mul_f32_e32 v147, v147, v148
	s_cbranch_execz .LBB59_120
	s_branch .LBB59_121
.LBB59_119:
                                        ; implicit-def: $vgpr147
.LBB59_120:
	ds_read_b32 v147, v122
.LBB59_121:
	s_and_saveexec_b64 s[12:13], s[6:7]
	s_cbranch_execz .LBB59_125
; %bb.122:
	v_mov_b32_e32 v148, 0
	v_add_u32_e32 v148, 0xbc, v148
	v_subrev_u32_e32 v149, 47, v0
	s_movk_i32 s14, 0x1ac
	s_mov_b64 s[6:7], 0
.LBB59_123:                             ; =>This Inner Loop Header: Depth=1
	buffer_load_dword v150, v148, s[0:3], 0 offen
	v_mov_b32_e32 v151, s14
	ds_read_b32 v151, v151
	v_add_u32_e32 v149, -1, v149
	s_add_i32 s14, s14, 4
	v_cmp_eq_u32_e32 vcc, 0, v149
	v_add_u32_e32 v148, 4, v148
	s_or_b64 s[6:7], vcc, s[6:7]
	s_waitcnt vmcnt(0) lgkmcnt(0)
	v_fmac_f32_e32 v147, v150, v151
	s_andn2_b64 exec, exec, s[6:7]
	s_cbranch_execnz .LBB59_123
; %bb.124:
	s_or_b64 exec, exec, s[6:7]
.LBB59_125:
	s_or_b64 exec, exec, s[12:13]
	v_mov_b32_e32 v148, 0
	ds_read_b32 v148, v148 offset:184
	s_waitcnt lgkmcnt(0)
	v_mul_f32_e32 v147, v147, v148
	buffer_store_dword v147, off, s[0:3], 0 offset:184
.LBB59_126:
	s_or_b64 exec, exec, s[10:11]
	buffer_load_dword v147, off, s[0:3], 0 offset:180
	v_cmp_lt_u32_e64 s[6:7], 45, v0
	s_waitcnt vmcnt(0)
	ds_write_b32 v122, v147
	s_waitcnt lgkmcnt(0)
	; wave barrier
	s_waitcnt lgkmcnt(0)
	s_and_saveexec_b64 s[10:11], s[6:7]
	s_cbranch_execz .LBB59_136
; %bb.127:
	s_andn2_b64 vcc, exec, s[8:9]
	s_cbranch_vccnz .LBB59_129
; %bb.128:
	buffer_load_dword v147, v123, s[0:3], 0 offen
	ds_read_b32 v148, v122
	s_waitcnt vmcnt(0) lgkmcnt(0)
	v_mul_f32_e32 v147, v147, v148
	s_cbranch_execz .LBB59_130
	s_branch .LBB59_131
.LBB59_129:
                                        ; implicit-def: $vgpr147
.LBB59_130:
	ds_read_b32 v147, v122
.LBB59_131:
	s_and_saveexec_b64 s[12:13], s[4:5]
	s_cbranch_execz .LBB59_135
; %bb.132:
	v_subrev_u32_e32 v148, 46, v0
	s_movk_i32 s14, 0x1a8
	s_mov_b64 s[4:5], 0
.LBB59_133:                             ; =>This Inner Loop Header: Depth=1
	buffer_load_dword v149, v146, s[0:3], 0 offen
	v_mov_b32_e32 v150, s14
	ds_read_b32 v150, v150
	v_add_u32_e32 v148, -1, v148
	s_add_i32 s14, s14, 4
	v_cmp_eq_u32_e32 vcc, 0, v148
	v_add_u32_e32 v146, 4, v146
	s_or_b64 s[4:5], vcc, s[4:5]
	s_waitcnt vmcnt(0) lgkmcnt(0)
	v_fmac_f32_e32 v147, v149, v150
	s_andn2_b64 exec, exec, s[4:5]
	s_cbranch_execnz .LBB59_133
; %bb.134:
	s_or_b64 exec, exec, s[4:5]
.LBB59_135:
	s_or_b64 exec, exec, s[12:13]
	v_mov_b32_e32 v146, 0
	ds_read_b32 v146, v146 offset:180
	s_waitcnt lgkmcnt(0)
	v_mul_f32_e32 v146, v147, v146
	buffer_store_dword v146, off, s[0:3], 0 offset:180
.LBB59_136:
	s_or_b64 exec, exec, s[10:11]
	buffer_load_dword v146, off, s[0:3], 0 offset:176
	v_cmp_lt_u32_e64 s[4:5], 44, v0
	s_waitcnt vmcnt(0)
	ds_write_b32 v122, v146
	s_waitcnt lgkmcnt(0)
	; wave barrier
	s_waitcnt lgkmcnt(0)
	s_and_saveexec_b64 s[10:11], s[4:5]
	s_cbranch_execz .LBB59_146
; %bb.137:
	s_andn2_b64 vcc, exec, s[8:9]
	s_cbranch_vccnz .LBB59_139
; %bb.138:
	buffer_load_dword v146, v123, s[0:3], 0 offen
	ds_read_b32 v147, v122
	s_waitcnt vmcnt(0) lgkmcnt(0)
	v_mul_f32_e32 v146, v146, v147
	s_cbranch_execz .LBB59_140
	s_branch .LBB59_141
.LBB59_139:
                                        ; implicit-def: $vgpr146
.LBB59_140:
	ds_read_b32 v146, v122
.LBB59_141:
	s_and_saveexec_b64 s[12:13], s[6:7]
	s_cbranch_execz .LBB59_145
; %bb.142:
	v_mov_b32_e32 v147, 0
	v_add_u32_e32 v147, 0xb4, v147
	v_subrev_u32_e32 v148, 45, v0
	s_movk_i32 s14, 0x1a4
	s_mov_b64 s[6:7], 0
.LBB59_143:                             ; =>This Inner Loop Header: Depth=1
	buffer_load_dword v149, v147, s[0:3], 0 offen
	v_mov_b32_e32 v150, s14
	ds_read_b32 v150, v150
	v_add_u32_e32 v148, -1, v148
	s_add_i32 s14, s14, 4
	v_cmp_eq_u32_e32 vcc, 0, v148
	v_add_u32_e32 v147, 4, v147
	s_or_b64 s[6:7], vcc, s[6:7]
	s_waitcnt vmcnt(0) lgkmcnt(0)
	v_fmac_f32_e32 v146, v149, v150
	s_andn2_b64 exec, exec, s[6:7]
	s_cbranch_execnz .LBB59_143
; %bb.144:
	s_or_b64 exec, exec, s[6:7]
.LBB59_145:
	s_or_b64 exec, exec, s[12:13]
	v_mov_b32_e32 v147, 0
	ds_read_b32 v147, v147 offset:176
	s_waitcnt lgkmcnt(0)
	v_mul_f32_e32 v146, v146, v147
	buffer_store_dword v146, off, s[0:3], 0 offset:176
.LBB59_146:
	s_or_b64 exec, exec, s[10:11]
	buffer_load_dword v146, off, s[0:3], 0 offset:172
	v_cmp_lt_u32_e64 s[6:7], 43, v0
	s_waitcnt vmcnt(0)
	ds_write_b32 v122, v146
	s_waitcnt lgkmcnt(0)
	; wave barrier
	s_waitcnt lgkmcnt(0)
	s_and_saveexec_b64 s[10:11], s[6:7]
	s_cbranch_execz .LBB59_156
; %bb.147:
	s_andn2_b64 vcc, exec, s[8:9]
	s_cbranch_vccnz .LBB59_149
; %bb.148:
	buffer_load_dword v146, v123, s[0:3], 0 offen
	ds_read_b32 v147, v122
	s_waitcnt vmcnt(0) lgkmcnt(0)
	v_mul_f32_e32 v146, v146, v147
	s_cbranch_execz .LBB59_150
	s_branch .LBB59_151
.LBB59_149:
                                        ; implicit-def: $vgpr146
.LBB59_150:
	ds_read_b32 v146, v122
.LBB59_151:
	s_and_saveexec_b64 s[12:13], s[4:5]
	s_cbranch_execz .LBB59_155
; %bb.152:
	v_subrev_u32_e32 v147, 44, v0
	s_movk_i32 s14, 0x1a0
	s_mov_b64 s[4:5], 0
.LBB59_153:                             ; =>This Inner Loop Header: Depth=1
	buffer_load_dword v148, v145, s[0:3], 0 offen
	v_mov_b32_e32 v149, s14
	ds_read_b32 v149, v149
	v_add_u32_e32 v147, -1, v147
	s_add_i32 s14, s14, 4
	v_cmp_eq_u32_e32 vcc, 0, v147
	v_add_u32_e32 v145, 4, v145
	s_or_b64 s[4:5], vcc, s[4:5]
	s_waitcnt vmcnt(0) lgkmcnt(0)
	v_fmac_f32_e32 v146, v148, v149
	s_andn2_b64 exec, exec, s[4:5]
	s_cbranch_execnz .LBB59_153
; %bb.154:
	s_or_b64 exec, exec, s[4:5]
.LBB59_155:
	s_or_b64 exec, exec, s[12:13]
	v_mov_b32_e32 v145, 0
	ds_read_b32 v145, v145 offset:172
	s_waitcnt lgkmcnt(0)
	v_mul_f32_e32 v145, v146, v145
	buffer_store_dword v145, off, s[0:3], 0 offset:172
.LBB59_156:
	s_or_b64 exec, exec, s[10:11]
	buffer_load_dword v145, off, s[0:3], 0 offset:168
	v_cmp_lt_u32_e64 s[4:5], 42, v0
	s_waitcnt vmcnt(0)
	ds_write_b32 v122, v145
	s_waitcnt lgkmcnt(0)
	; wave barrier
	s_waitcnt lgkmcnt(0)
	s_and_saveexec_b64 s[10:11], s[4:5]
	s_cbranch_execz .LBB59_166
; %bb.157:
	s_andn2_b64 vcc, exec, s[8:9]
	s_cbranch_vccnz .LBB59_159
; %bb.158:
	buffer_load_dword v145, v123, s[0:3], 0 offen
	ds_read_b32 v146, v122
	s_waitcnt vmcnt(0) lgkmcnt(0)
	v_mul_f32_e32 v145, v145, v146
	s_cbranch_execz .LBB59_160
	s_branch .LBB59_161
.LBB59_159:
                                        ; implicit-def: $vgpr145
.LBB59_160:
	ds_read_b32 v145, v122
.LBB59_161:
	s_and_saveexec_b64 s[12:13], s[6:7]
	s_cbranch_execz .LBB59_165
; %bb.162:
	v_mov_b32_e32 v146, 0
	v_add_u32_e32 v146, 0xac, v146
	v_subrev_u32_e32 v147, 43, v0
	s_movk_i32 s14, 0x19c
	s_mov_b64 s[6:7], 0
.LBB59_163:                             ; =>This Inner Loop Header: Depth=1
	buffer_load_dword v148, v146, s[0:3], 0 offen
	v_mov_b32_e32 v149, s14
	ds_read_b32 v149, v149
	v_add_u32_e32 v147, -1, v147
	s_add_i32 s14, s14, 4
	v_cmp_eq_u32_e32 vcc, 0, v147
	v_add_u32_e32 v146, 4, v146
	s_or_b64 s[6:7], vcc, s[6:7]
	s_waitcnt vmcnt(0) lgkmcnt(0)
	v_fmac_f32_e32 v145, v148, v149
	s_andn2_b64 exec, exec, s[6:7]
	s_cbranch_execnz .LBB59_163
; %bb.164:
	s_or_b64 exec, exec, s[6:7]
.LBB59_165:
	s_or_b64 exec, exec, s[12:13]
	v_mov_b32_e32 v146, 0
	ds_read_b32 v146, v146 offset:168
	s_waitcnt lgkmcnt(0)
	v_mul_f32_e32 v145, v145, v146
	buffer_store_dword v145, off, s[0:3], 0 offset:168
.LBB59_166:
	s_or_b64 exec, exec, s[10:11]
	buffer_load_dword v145, off, s[0:3], 0 offset:164
	v_cmp_lt_u32_e64 s[6:7], 41, v0
	s_waitcnt vmcnt(0)
	ds_write_b32 v122, v145
	s_waitcnt lgkmcnt(0)
	; wave barrier
	s_waitcnt lgkmcnt(0)
	s_and_saveexec_b64 s[10:11], s[6:7]
	s_cbranch_execz .LBB59_176
; %bb.167:
	s_andn2_b64 vcc, exec, s[8:9]
	s_cbranch_vccnz .LBB59_169
; %bb.168:
	buffer_load_dword v145, v123, s[0:3], 0 offen
	ds_read_b32 v146, v122
	s_waitcnt vmcnt(0) lgkmcnt(0)
	v_mul_f32_e32 v145, v145, v146
	s_cbranch_execz .LBB59_170
	s_branch .LBB59_171
.LBB59_169:
                                        ; implicit-def: $vgpr145
.LBB59_170:
	ds_read_b32 v145, v122
.LBB59_171:
	s_and_saveexec_b64 s[12:13], s[4:5]
	s_cbranch_execz .LBB59_175
; %bb.172:
	v_subrev_u32_e32 v146, 42, v0
	s_movk_i32 s14, 0x198
	s_mov_b64 s[4:5], 0
.LBB59_173:                             ; =>This Inner Loop Header: Depth=1
	buffer_load_dword v147, v144, s[0:3], 0 offen
	v_mov_b32_e32 v148, s14
	ds_read_b32 v148, v148
	v_add_u32_e32 v146, -1, v146
	s_add_i32 s14, s14, 4
	v_cmp_eq_u32_e32 vcc, 0, v146
	v_add_u32_e32 v144, 4, v144
	s_or_b64 s[4:5], vcc, s[4:5]
	s_waitcnt vmcnt(0) lgkmcnt(0)
	v_fmac_f32_e32 v145, v147, v148
	s_andn2_b64 exec, exec, s[4:5]
	s_cbranch_execnz .LBB59_173
; %bb.174:
	s_or_b64 exec, exec, s[4:5]
.LBB59_175:
	s_or_b64 exec, exec, s[12:13]
	v_mov_b32_e32 v144, 0
	ds_read_b32 v144, v144 offset:164
	s_waitcnt lgkmcnt(0)
	v_mul_f32_e32 v144, v145, v144
	buffer_store_dword v144, off, s[0:3], 0 offset:164
.LBB59_176:
	s_or_b64 exec, exec, s[10:11]
	buffer_load_dword v144, off, s[0:3], 0 offset:160
	v_cmp_lt_u32_e64 s[4:5], 40, v0
	s_waitcnt vmcnt(0)
	ds_write_b32 v122, v144
	s_waitcnt lgkmcnt(0)
	; wave barrier
	s_waitcnt lgkmcnt(0)
	s_and_saveexec_b64 s[10:11], s[4:5]
	s_cbranch_execz .LBB59_186
; %bb.177:
	s_andn2_b64 vcc, exec, s[8:9]
	s_cbranch_vccnz .LBB59_179
; %bb.178:
	buffer_load_dword v144, v123, s[0:3], 0 offen
	ds_read_b32 v145, v122
	s_waitcnt vmcnt(0) lgkmcnt(0)
	v_mul_f32_e32 v144, v144, v145
	s_cbranch_execz .LBB59_180
	s_branch .LBB59_181
.LBB59_179:
                                        ; implicit-def: $vgpr144
.LBB59_180:
	ds_read_b32 v144, v122
.LBB59_181:
	s_and_saveexec_b64 s[12:13], s[6:7]
	s_cbranch_execz .LBB59_185
; %bb.182:
	v_mov_b32_e32 v145, 0
	v_add_u32_e32 v145, 0xa4, v145
	v_subrev_u32_e32 v146, 41, v0
	s_movk_i32 s14, 0x194
	s_mov_b64 s[6:7], 0
.LBB59_183:                             ; =>This Inner Loop Header: Depth=1
	buffer_load_dword v147, v145, s[0:3], 0 offen
	v_mov_b32_e32 v148, s14
	ds_read_b32 v148, v148
	v_add_u32_e32 v146, -1, v146
	s_add_i32 s14, s14, 4
	v_cmp_eq_u32_e32 vcc, 0, v146
	v_add_u32_e32 v145, 4, v145
	s_or_b64 s[6:7], vcc, s[6:7]
	s_waitcnt vmcnt(0) lgkmcnt(0)
	v_fmac_f32_e32 v144, v147, v148
	s_andn2_b64 exec, exec, s[6:7]
	s_cbranch_execnz .LBB59_183
; %bb.184:
	s_or_b64 exec, exec, s[6:7]
.LBB59_185:
	s_or_b64 exec, exec, s[12:13]
	v_mov_b32_e32 v145, 0
	ds_read_b32 v145, v145 offset:160
	s_waitcnt lgkmcnt(0)
	v_mul_f32_e32 v144, v144, v145
	buffer_store_dword v144, off, s[0:3], 0 offset:160
.LBB59_186:
	s_or_b64 exec, exec, s[10:11]
	buffer_load_dword v144, off, s[0:3], 0 offset:156
	v_cmp_lt_u32_e64 s[6:7], 39, v0
	s_waitcnt vmcnt(0)
	ds_write_b32 v122, v144
	s_waitcnt lgkmcnt(0)
	; wave barrier
	s_waitcnt lgkmcnt(0)
	s_and_saveexec_b64 s[10:11], s[6:7]
	s_cbranch_execz .LBB59_196
; %bb.187:
	s_andn2_b64 vcc, exec, s[8:9]
	s_cbranch_vccnz .LBB59_189
; %bb.188:
	buffer_load_dword v144, v123, s[0:3], 0 offen
	ds_read_b32 v145, v122
	s_waitcnt vmcnt(0) lgkmcnt(0)
	v_mul_f32_e32 v144, v144, v145
	s_cbranch_execz .LBB59_190
	s_branch .LBB59_191
.LBB59_189:
                                        ; implicit-def: $vgpr144
.LBB59_190:
	ds_read_b32 v144, v122
.LBB59_191:
	s_and_saveexec_b64 s[12:13], s[4:5]
	s_cbranch_execz .LBB59_195
; %bb.192:
	v_subrev_u32_e32 v145, 40, v0
	s_movk_i32 s14, 0x190
	s_mov_b64 s[4:5], 0
.LBB59_193:                             ; =>This Inner Loop Header: Depth=1
	buffer_load_dword v146, v143, s[0:3], 0 offen
	v_mov_b32_e32 v147, s14
	ds_read_b32 v147, v147
	v_add_u32_e32 v145, -1, v145
	s_add_i32 s14, s14, 4
	v_cmp_eq_u32_e32 vcc, 0, v145
	v_add_u32_e32 v143, 4, v143
	s_or_b64 s[4:5], vcc, s[4:5]
	s_waitcnt vmcnt(0) lgkmcnt(0)
	v_fmac_f32_e32 v144, v146, v147
	s_andn2_b64 exec, exec, s[4:5]
	s_cbranch_execnz .LBB59_193
; %bb.194:
	s_or_b64 exec, exec, s[4:5]
.LBB59_195:
	s_or_b64 exec, exec, s[12:13]
	v_mov_b32_e32 v143, 0
	ds_read_b32 v143, v143 offset:156
	s_waitcnt lgkmcnt(0)
	v_mul_f32_e32 v143, v144, v143
	buffer_store_dword v143, off, s[0:3], 0 offset:156
.LBB59_196:
	s_or_b64 exec, exec, s[10:11]
	buffer_load_dword v143, off, s[0:3], 0 offset:152
	v_cmp_lt_u32_e64 s[4:5], 38, v0
	s_waitcnt vmcnt(0)
	ds_write_b32 v122, v143
	s_waitcnt lgkmcnt(0)
	; wave barrier
	s_waitcnt lgkmcnt(0)
	s_and_saveexec_b64 s[10:11], s[4:5]
	s_cbranch_execz .LBB59_206
; %bb.197:
	s_andn2_b64 vcc, exec, s[8:9]
	s_cbranch_vccnz .LBB59_199
; %bb.198:
	buffer_load_dword v143, v123, s[0:3], 0 offen
	ds_read_b32 v144, v122
	s_waitcnt vmcnt(0) lgkmcnt(0)
	v_mul_f32_e32 v143, v143, v144
	s_cbranch_execz .LBB59_200
	s_branch .LBB59_201
.LBB59_199:
                                        ; implicit-def: $vgpr143
.LBB59_200:
	ds_read_b32 v143, v122
.LBB59_201:
	s_and_saveexec_b64 s[12:13], s[6:7]
	s_cbranch_execz .LBB59_205
; %bb.202:
	v_mov_b32_e32 v144, 0
	v_add_u32_e32 v144, 0x9c, v144
	v_subrev_u32_e32 v145, 39, v0
	s_movk_i32 s14, 0x18c
	s_mov_b64 s[6:7], 0
.LBB59_203:                             ; =>This Inner Loop Header: Depth=1
	buffer_load_dword v146, v144, s[0:3], 0 offen
	v_mov_b32_e32 v147, s14
	ds_read_b32 v147, v147
	v_add_u32_e32 v145, -1, v145
	s_add_i32 s14, s14, 4
	v_cmp_eq_u32_e32 vcc, 0, v145
	v_add_u32_e32 v144, 4, v144
	s_or_b64 s[6:7], vcc, s[6:7]
	s_waitcnt vmcnt(0) lgkmcnt(0)
	v_fmac_f32_e32 v143, v146, v147
	s_andn2_b64 exec, exec, s[6:7]
	s_cbranch_execnz .LBB59_203
; %bb.204:
	s_or_b64 exec, exec, s[6:7]
.LBB59_205:
	s_or_b64 exec, exec, s[12:13]
	v_mov_b32_e32 v144, 0
	ds_read_b32 v144, v144 offset:152
	s_waitcnt lgkmcnt(0)
	v_mul_f32_e32 v143, v143, v144
	buffer_store_dword v143, off, s[0:3], 0 offset:152
.LBB59_206:
	s_or_b64 exec, exec, s[10:11]
	buffer_load_dword v143, off, s[0:3], 0 offset:148
	v_cmp_lt_u32_e64 s[6:7], 37, v0
	s_waitcnt vmcnt(0)
	ds_write_b32 v122, v143
	s_waitcnt lgkmcnt(0)
	; wave barrier
	s_waitcnt lgkmcnt(0)
	s_and_saveexec_b64 s[10:11], s[6:7]
	s_cbranch_execz .LBB59_216
; %bb.207:
	s_andn2_b64 vcc, exec, s[8:9]
	s_cbranch_vccnz .LBB59_209
; %bb.208:
	buffer_load_dword v143, v123, s[0:3], 0 offen
	ds_read_b32 v144, v122
	s_waitcnt vmcnt(0) lgkmcnt(0)
	v_mul_f32_e32 v143, v143, v144
	s_cbranch_execz .LBB59_210
	s_branch .LBB59_211
.LBB59_209:
                                        ; implicit-def: $vgpr143
.LBB59_210:
	ds_read_b32 v143, v122
.LBB59_211:
	s_and_saveexec_b64 s[12:13], s[4:5]
	s_cbranch_execz .LBB59_215
; %bb.212:
	v_subrev_u32_e32 v144, 38, v0
	s_movk_i32 s14, 0x188
	s_mov_b64 s[4:5], 0
.LBB59_213:                             ; =>This Inner Loop Header: Depth=1
	buffer_load_dword v145, v142, s[0:3], 0 offen
	v_mov_b32_e32 v146, s14
	ds_read_b32 v146, v146
	v_add_u32_e32 v144, -1, v144
	s_add_i32 s14, s14, 4
	v_cmp_eq_u32_e32 vcc, 0, v144
	v_add_u32_e32 v142, 4, v142
	s_or_b64 s[4:5], vcc, s[4:5]
	s_waitcnt vmcnt(0) lgkmcnt(0)
	v_fmac_f32_e32 v143, v145, v146
	s_andn2_b64 exec, exec, s[4:5]
	s_cbranch_execnz .LBB59_213
; %bb.214:
	s_or_b64 exec, exec, s[4:5]
.LBB59_215:
	s_or_b64 exec, exec, s[12:13]
	v_mov_b32_e32 v142, 0
	ds_read_b32 v142, v142 offset:148
	s_waitcnt lgkmcnt(0)
	v_mul_f32_e32 v142, v143, v142
	buffer_store_dword v142, off, s[0:3], 0 offset:148
.LBB59_216:
	s_or_b64 exec, exec, s[10:11]
	buffer_load_dword v142, off, s[0:3], 0 offset:144
	v_cmp_lt_u32_e64 s[4:5], 36, v0
	s_waitcnt vmcnt(0)
	ds_write_b32 v122, v142
	s_waitcnt lgkmcnt(0)
	; wave barrier
	s_waitcnt lgkmcnt(0)
	s_and_saveexec_b64 s[10:11], s[4:5]
	s_cbranch_execz .LBB59_226
; %bb.217:
	s_andn2_b64 vcc, exec, s[8:9]
	s_cbranch_vccnz .LBB59_219
; %bb.218:
	buffer_load_dword v142, v123, s[0:3], 0 offen
	ds_read_b32 v143, v122
	s_waitcnt vmcnt(0) lgkmcnt(0)
	v_mul_f32_e32 v142, v142, v143
	s_cbranch_execz .LBB59_220
	s_branch .LBB59_221
.LBB59_219:
                                        ; implicit-def: $vgpr142
.LBB59_220:
	ds_read_b32 v142, v122
.LBB59_221:
	s_and_saveexec_b64 s[12:13], s[6:7]
	s_cbranch_execz .LBB59_225
; %bb.222:
	v_mov_b32_e32 v143, 0
	v_add_u32_e32 v143, 0x94, v143
	v_subrev_u32_e32 v144, 37, v0
	s_movk_i32 s14, 0x184
	s_mov_b64 s[6:7], 0
.LBB59_223:                             ; =>This Inner Loop Header: Depth=1
	buffer_load_dword v145, v143, s[0:3], 0 offen
	v_mov_b32_e32 v146, s14
	ds_read_b32 v146, v146
	v_add_u32_e32 v144, -1, v144
	s_add_i32 s14, s14, 4
	v_cmp_eq_u32_e32 vcc, 0, v144
	v_add_u32_e32 v143, 4, v143
	s_or_b64 s[6:7], vcc, s[6:7]
	s_waitcnt vmcnt(0) lgkmcnt(0)
	v_fmac_f32_e32 v142, v145, v146
	s_andn2_b64 exec, exec, s[6:7]
	s_cbranch_execnz .LBB59_223
; %bb.224:
	s_or_b64 exec, exec, s[6:7]
.LBB59_225:
	s_or_b64 exec, exec, s[12:13]
	v_mov_b32_e32 v143, 0
	ds_read_b32 v143, v143 offset:144
	s_waitcnt lgkmcnt(0)
	v_mul_f32_e32 v142, v142, v143
	buffer_store_dword v142, off, s[0:3], 0 offset:144
.LBB59_226:
	s_or_b64 exec, exec, s[10:11]
	buffer_load_dword v142, off, s[0:3], 0 offset:140
	v_cmp_lt_u32_e64 s[6:7], 35, v0
	s_waitcnt vmcnt(0)
	ds_write_b32 v122, v142
	s_waitcnt lgkmcnt(0)
	; wave barrier
	s_waitcnt lgkmcnt(0)
	s_and_saveexec_b64 s[10:11], s[6:7]
	s_cbranch_execz .LBB59_236
; %bb.227:
	s_andn2_b64 vcc, exec, s[8:9]
	s_cbranch_vccnz .LBB59_229
; %bb.228:
	buffer_load_dword v142, v123, s[0:3], 0 offen
	ds_read_b32 v143, v122
	s_waitcnt vmcnt(0) lgkmcnt(0)
	v_mul_f32_e32 v142, v142, v143
	s_cbranch_execz .LBB59_230
	s_branch .LBB59_231
.LBB59_229:
                                        ; implicit-def: $vgpr142
.LBB59_230:
	ds_read_b32 v142, v122
.LBB59_231:
	s_and_saveexec_b64 s[12:13], s[4:5]
	s_cbranch_execz .LBB59_235
; %bb.232:
	v_subrev_u32_e32 v143, 36, v0
	s_movk_i32 s14, 0x180
	s_mov_b64 s[4:5], 0
.LBB59_233:                             ; =>This Inner Loop Header: Depth=1
	buffer_load_dword v144, v141, s[0:3], 0 offen
	v_mov_b32_e32 v145, s14
	ds_read_b32 v145, v145
	v_add_u32_e32 v143, -1, v143
	s_add_i32 s14, s14, 4
	v_cmp_eq_u32_e32 vcc, 0, v143
	v_add_u32_e32 v141, 4, v141
	s_or_b64 s[4:5], vcc, s[4:5]
	s_waitcnt vmcnt(0) lgkmcnt(0)
	v_fmac_f32_e32 v142, v144, v145
	s_andn2_b64 exec, exec, s[4:5]
	s_cbranch_execnz .LBB59_233
; %bb.234:
	s_or_b64 exec, exec, s[4:5]
.LBB59_235:
	s_or_b64 exec, exec, s[12:13]
	v_mov_b32_e32 v141, 0
	ds_read_b32 v141, v141 offset:140
	s_waitcnt lgkmcnt(0)
	v_mul_f32_e32 v141, v142, v141
	buffer_store_dword v141, off, s[0:3], 0 offset:140
.LBB59_236:
	s_or_b64 exec, exec, s[10:11]
	buffer_load_dword v141, off, s[0:3], 0 offset:136
	v_cmp_lt_u32_e64 s[4:5], 34, v0
	s_waitcnt vmcnt(0)
	ds_write_b32 v122, v141
	s_waitcnt lgkmcnt(0)
	; wave barrier
	s_waitcnt lgkmcnt(0)
	s_and_saveexec_b64 s[10:11], s[4:5]
	s_cbranch_execz .LBB59_246
; %bb.237:
	s_andn2_b64 vcc, exec, s[8:9]
	s_cbranch_vccnz .LBB59_239
; %bb.238:
	buffer_load_dword v141, v123, s[0:3], 0 offen
	ds_read_b32 v142, v122
	s_waitcnt vmcnt(0) lgkmcnt(0)
	v_mul_f32_e32 v141, v141, v142
	s_cbranch_execz .LBB59_240
	s_branch .LBB59_241
.LBB59_239:
                                        ; implicit-def: $vgpr141
.LBB59_240:
	ds_read_b32 v141, v122
.LBB59_241:
	s_and_saveexec_b64 s[12:13], s[6:7]
	s_cbranch_execz .LBB59_245
; %bb.242:
	v_mov_b32_e32 v142, 0
	v_add_u32_e32 v142, 0x8c, v142
	v_subrev_u32_e32 v143, 35, v0
	s_movk_i32 s14, 0x17c
	s_mov_b64 s[6:7], 0
.LBB59_243:                             ; =>This Inner Loop Header: Depth=1
	buffer_load_dword v144, v142, s[0:3], 0 offen
	v_mov_b32_e32 v145, s14
	ds_read_b32 v145, v145
	v_add_u32_e32 v143, -1, v143
	s_add_i32 s14, s14, 4
	v_cmp_eq_u32_e32 vcc, 0, v143
	v_add_u32_e32 v142, 4, v142
	s_or_b64 s[6:7], vcc, s[6:7]
	s_waitcnt vmcnt(0) lgkmcnt(0)
	v_fmac_f32_e32 v141, v144, v145
	s_andn2_b64 exec, exec, s[6:7]
	s_cbranch_execnz .LBB59_243
; %bb.244:
	s_or_b64 exec, exec, s[6:7]
.LBB59_245:
	s_or_b64 exec, exec, s[12:13]
	v_mov_b32_e32 v142, 0
	ds_read_b32 v142, v142 offset:136
	s_waitcnt lgkmcnt(0)
	v_mul_f32_e32 v141, v141, v142
	buffer_store_dword v141, off, s[0:3], 0 offset:136
.LBB59_246:
	s_or_b64 exec, exec, s[10:11]
	buffer_load_dword v141, off, s[0:3], 0 offset:132
	v_cmp_lt_u32_e64 s[6:7], 33, v0
	s_waitcnt vmcnt(0)
	ds_write_b32 v122, v141
	s_waitcnt lgkmcnt(0)
	; wave barrier
	s_waitcnt lgkmcnt(0)
	s_and_saveexec_b64 s[10:11], s[6:7]
	s_cbranch_execz .LBB59_256
; %bb.247:
	s_andn2_b64 vcc, exec, s[8:9]
	s_cbranch_vccnz .LBB59_249
; %bb.248:
	buffer_load_dword v141, v123, s[0:3], 0 offen
	ds_read_b32 v142, v122
	s_waitcnt vmcnt(0) lgkmcnt(0)
	v_mul_f32_e32 v141, v141, v142
	s_cbranch_execz .LBB59_250
	s_branch .LBB59_251
.LBB59_249:
                                        ; implicit-def: $vgpr141
.LBB59_250:
	ds_read_b32 v141, v122
.LBB59_251:
	s_and_saveexec_b64 s[12:13], s[4:5]
	s_cbranch_execz .LBB59_255
; %bb.252:
	v_subrev_u32_e32 v142, 34, v0
	s_movk_i32 s14, 0x178
	s_mov_b64 s[4:5], 0
.LBB59_253:                             ; =>This Inner Loop Header: Depth=1
	buffer_load_dword v143, v140, s[0:3], 0 offen
	v_mov_b32_e32 v144, s14
	ds_read_b32 v144, v144
	v_add_u32_e32 v142, -1, v142
	s_add_i32 s14, s14, 4
	v_cmp_eq_u32_e32 vcc, 0, v142
	v_add_u32_e32 v140, 4, v140
	s_or_b64 s[4:5], vcc, s[4:5]
	s_waitcnt vmcnt(0) lgkmcnt(0)
	v_fmac_f32_e32 v141, v143, v144
	s_andn2_b64 exec, exec, s[4:5]
	s_cbranch_execnz .LBB59_253
; %bb.254:
	s_or_b64 exec, exec, s[4:5]
.LBB59_255:
	s_or_b64 exec, exec, s[12:13]
	v_mov_b32_e32 v140, 0
	ds_read_b32 v140, v140 offset:132
	s_waitcnt lgkmcnt(0)
	v_mul_f32_e32 v140, v141, v140
	buffer_store_dword v140, off, s[0:3], 0 offset:132
.LBB59_256:
	s_or_b64 exec, exec, s[10:11]
	buffer_load_dword v140, off, s[0:3], 0 offset:128
	v_cmp_lt_u32_e64 s[4:5], 32, v0
	s_waitcnt vmcnt(0)
	ds_write_b32 v122, v140
	s_waitcnt lgkmcnt(0)
	; wave barrier
	s_waitcnt lgkmcnt(0)
	s_and_saveexec_b64 s[10:11], s[4:5]
	s_cbranch_execz .LBB59_266
; %bb.257:
	s_andn2_b64 vcc, exec, s[8:9]
	s_cbranch_vccnz .LBB59_259
; %bb.258:
	buffer_load_dword v140, v123, s[0:3], 0 offen
	ds_read_b32 v141, v122
	s_waitcnt vmcnt(0) lgkmcnt(0)
	v_mul_f32_e32 v140, v140, v141
	s_cbranch_execz .LBB59_260
	s_branch .LBB59_261
.LBB59_259:
                                        ; implicit-def: $vgpr140
.LBB59_260:
	ds_read_b32 v140, v122
.LBB59_261:
	s_and_saveexec_b64 s[12:13], s[6:7]
	s_cbranch_execz .LBB59_265
; %bb.262:
	v_mov_b32_e32 v141, 0
	v_add_u32_e32 v141, 0x84, v141
	v_subrev_u32_e32 v142, 33, v0
	s_movk_i32 s14, 0x174
	s_mov_b64 s[6:7], 0
.LBB59_263:                             ; =>This Inner Loop Header: Depth=1
	buffer_load_dword v143, v141, s[0:3], 0 offen
	v_mov_b32_e32 v144, s14
	ds_read_b32 v144, v144
	v_add_u32_e32 v142, -1, v142
	s_add_i32 s14, s14, 4
	v_cmp_eq_u32_e32 vcc, 0, v142
	v_add_u32_e32 v141, 4, v141
	s_or_b64 s[6:7], vcc, s[6:7]
	s_waitcnt vmcnt(0) lgkmcnt(0)
	v_fmac_f32_e32 v140, v143, v144
	s_andn2_b64 exec, exec, s[6:7]
	s_cbranch_execnz .LBB59_263
; %bb.264:
	s_or_b64 exec, exec, s[6:7]
.LBB59_265:
	s_or_b64 exec, exec, s[12:13]
	v_mov_b32_e32 v141, 0
	ds_read_b32 v141, v141 offset:128
	s_waitcnt lgkmcnt(0)
	v_mul_f32_e32 v140, v140, v141
	buffer_store_dword v140, off, s[0:3], 0 offset:128
.LBB59_266:
	s_or_b64 exec, exec, s[10:11]
	buffer_load_dword v140, off, s[0:3], 0 offset:124
	v_cmp_lt_u32_e64 s[6:7], 31, v0
	s_waitcnt vmcnt(0)
	ds_write_b32 v122, v140
	s_waitcnt lgkmcnt(0)
	; wave barrier
	s_waitcnt lgkmcnt(0)
	s_and_saveexec_b64 s[10:11], s[6:7]
	s_cbranch_execz .LBB59_276
; %bb.267:
	s_andn2_b64 vcc, exec, s[8:9]
	s_cbranch_vccnz .LBB59_269
; %bb.268:
	buffer_load_dword v140, v123, s[0:3], 0 offen
	ds_read_b32 v141, v122
	s_waitcnt vmcnt(0) lgkmcnt(0)
	v_mul_f32_e32 v140, v140, v141
	s_cbranch_execz .LBB59_270
	s_branch .LBB59_271
.LBB59_269:
                                        ; implicit-def: $vgpr140
.LBB59_270:
	ds_read_b32 v140, v122
.LBB59_271:
	s_and_saveexec_b64 s[12:13], s[4:5]
	s_cbranch_execz .LBB59_275
; %bb.272:
	v_subrev_u32_e32 v141, 32, v0
	s_movk_i32 s14, 0x170
	s_mov_b64 s[4:5], 0
.LBB59_273:                             ; =>This Inner Loop Header: Depth=1
	buffer_load_dword v142, v139, s[0:3], 0 offen
	v_mov_b32_e32 v143, s14
	ds_read_b32 v143, v143
	v_add_u32_e32 v141, -1, v141
	s_add_i32 s14, s14, 4
	v_cmp_eq_u32_e32 vcc, 0, v141
	v_add_u32_e32 v139, 4, v139
	s_or_b64 s[4:5], vcc, s[4:5]
	s_waitcnt vmcnt(0) lgkmcnt(0)
	v_fmac_f32_e32 v140, v142, v143
	s_andn2_b64 exec, exec, s[4:5]
	s_cbranch_execnz .LBB59_273
; %bb.274:
	s_or_b64 exec, exec, s[4:5]
.LBB59_275:
	s_or_b64 exec, exec, s[12:13]
	v_mov_b32_e32 v139, 0
	ds_read_b32 v139, v139 offset:124
	s_waitcnt lgkmcnt(0)
	v_mul_f32_e32 v139, v140, v139
	buffer_store_dword v139, off, s[0:3], 0 offset:124
.LBB59_276:
	s_or_b64 exec, exec, s[10:11]
	buffer_load_dword v139, off, s[0:3], 0 offset:120
	v_cmp_lt_u32_e64 s[4:5], 30, v0
	s_waitcnt vmcnt(0)
	ds_write_b32 v122, v139
	s_waitcnt lgkmcnt(0)
	; wave barrier
	s_waitcnt lgkmcnt(0)
	s_and_saveexec_b64 s[10:11], s[4:5]
	s_cbranch_execz .LBB59_286
; %bb.277:
	s_andn2_b64 vcc, exec, s[8:9]
	s_cbranch_vccnz .LBB59_279
; %bb.278:
	buffer_load_dword v139, v123, s[0:3], 0 offen
	ds_read_b32 v140, v122
	s_waitcnt vmcnt(0) lgkmcnt(0)
	v_mul_f32_e32 v139, v139, v140
	s_cbranch_execz .LBB59_280
	s_branch .LBB59_281
.LBB59_279:
                                        ; implicit-def: $vgpr139
.LBB59_280:
	ds_read_b32 v139, v122
.LBB59_281:
	s_and_saveexec_b64 s[12:13], s[6:7]
	s_cbranch_execz .LBB59_285
; %bb.282:
	v_mov_b32_e32 v140, 0
	v_add_u32_e32 v140, 0x7c, v140
	v_subrev_u32_e32 v141, 31, v0
	s_movk_i32 s14, 0x16c
	s_mov_b64 s[6:7], 0
.LBB59_283:                             ; =>This Inner Loop Header: Depth=1
	buffer_load_dword v142, v140, s[0:3], 0 offen
	v_mov_b32_e32 v143, s14
	ds_read_b32 v143, v143
	v_add_u32_e32 v141, -1, v141
	s_add_i32 s14, s14, 4
	v_cmp_eq_u32_e32 vcc, 0, v141
	v_add_u32_e32 v140, 4, v140
	s_or_b64 s[6:7], vcc, s[6:7]
	s_waitcnt vmcnt(0) lgkmcnt(0)
	v_fmac_f32_e32 v139, v142, v143
	s_andn2_b64 exec, exec, s[6:7]
	s_cbranch_execnz .LBB59_283
; %bb.284:
	s_or_b64 exec, exec, s[6:7]
.LBB59_285:
	s_or_b64 exec, exec, s[12:13]
	v_mov_b32_e32 v140, 0
	ds_read_b32 v140, v140 offset:120
	s_waitcnt lgkmcnt(0)
	v_mul_f32_e32 v139, v139, v140
	buffer_store_dword v139, off, s[0:3], 0 offset:120
.LBB59_286:
	s_or_b64 exec, exec, s[10:11]
	buffer_load_dword v139, off, s[0:3], 0 offset:116
	v_cmp_lt_u32_e64 s[6:7], 29, v0
	s_waitcnt vmcnt(0)
	ds_write_b32 v122, v139
	s_waitcnt lgkmcnt(0)
	; wave barrier
	s_waitcnt lgkmcnt(0)
	s_and_saveexec_b64 s[10:11], s[6:7]
	s_cbranch_execz .LBB59_296
; %bb.287:
	s_andn2_b64 vcc, exec, s[8:9]
	s_cbranch_vccnz .LBB59_289
; %bb.288:
	buffer_load_dword v139, v123, s[0:3], 0 offen
	ds_read_b32 v140, v122
	s_waitcnt vmcnt(0) lgkmcnt(0)
	v_mul_f32_e32 v139, v139, v140
	s_cbranch_execz .LBB59_290
	s_branch .LBB59_291
.LBB59_289:
                                        ; implicit-def: $vgpr139
.LBB59_290:
	ds_read_b32 v139, v122
.LBB59_291:
	s_and_saveexec_b64 s[12:13], s[4:5]
	s_cbranch_execz .LBB59_295
; %bb.292:
	v_subrev_u32_e32 v140, 30, v0
	s_movk_i32 s14, 0x168
	s_mov_b64 s[4:5], 0
.LBB59_293:                             ; =>This Inner Loop Header: Depth=1
	buffer_load_dword v141, v138, s[0:3], 0 offen
	v_mov_b32_e32 v142, s14
	ds_read_b32 v142, v142
	v_add_u32_e32 v140, -1, v140
	s_add_i32 s14, s14, 4
	v_cmp_eq_u32_e32 vcc, 0, v140
	v_add_u32_e32 v138, 4, v138
	s_or_b64 s[4:5], vcc, s[4:5]
	s_waitcnt vmcnt(0) lgkmcnt(0)
	v_fmac_f32_e32 v139, v141, v142
	s_andn2_b64 exec, exec, s[4:5]
	s_cbranch_execnz .LBB59_293
; %bb.294:
	s_or_b64 exec, exec, s[4:5]
.LBB59_295:
	s_or_b64 exec, exec, s[12:13]
	v_mov_b32_e32 v138, 0
	ds_read_b32 v138, v138 offset:116
	s_waitcnt lgkmcnt(0)
	v_mul_f32_e32 v138, v139, v138
	buffer_store_dword v138, off, s[0:3], 0 offset:116
.LBB59_296:
	s_or_b64 exec, exec, s[10:11]
	buffer_load_dword v138, off, s[0:3], 0 offset:112
	v_cmp_lt_u32_e64 s[4:5], 28, v0
	s_waitcnt vmcnt(0)
	ds_write_b32 v122, v138
	s_waitcnt lgkmcnt(0)
	; wave barrier
	s_waitcnt lgkmcnt(0)
	s_and_saveexec_b64 s[10:11], s[4:5]
	s_cbranch_execz .LBB59_306
; %bb.297:
	s_andn2_b64 vcc, exec, s[8:9]
	s_cbranch_vccnz .LBB59_299
; %bb.298:
	buffer_load_dword v138, v123, s[0:3], 0 offen
	ds_read_b32 v139, v122
	s_waitcnt vmcnt(0) lgkmcnt(0)
	v_mul_f32_e32 v138, v138, v139
	s_cbranch_execz .LBB59_300
	s_branch .LBB59_301
.LBB59_299:
                                        ; implicit-def: $vgpr138
.LBB59_300:
	ds_read_b32 v138, v122
.LBB59_301:
	s_and_saveexec_b64 s[12:13], s[6:7]
	s_cbranch_execz .LBB59_305
; %bb.302:
	v_mov_b32_e32 v139, 0
	v_add_u32_e32 v139, 0x74, v139
	v_subrev_u32_e32 v140, 29, v0
	s_movk_i32 s14, 0x164
	s_mov_b64 s[6:7], 0
.LBB59_303:                             ; =>This Inner Loop Header: Depth=1
	buffer_load_dword v141, v139, s[0:3], 0 offen
	v_mov_b32_e32 v142, s14
	ds_read_b32 v142, v142
	v_add_u32_e32 v140, -1, v140
	s_add_i32 s14, s14, 4
	v_cmp_eq_u32_e32 vcc, 0, v140
	v_add_u32_e32 v139, 4, v139
	s_or_b64 s[6:7], vcc, s[6:7]
	s_waitcnt vmcnt(0) lgkmcnt(0)
	v_fmac_f32_e32 v138, v141, v142
	s_andn2_b64 exec, exec, s[6:7]
	s_cbranch_execnz .LBB59_303
; %bb.304:
	s_or_b64 exec, exec, s[6:7]
.LBB59_305:
	s_or_b64 exec, exec, s[12:13]
	v_mov_b32_e32 v139, 0
	ds_read_b32 v139, v139 offset:112
	s_waitcnt lgkmcnt(0)
	v_mul_f32_e32 v138, v138, v139
	buffer_store_dword v138, off, s[0:3], 0 offset:112
.LBB59_306:
	s_or_b64 exec, exec, s[10:11]
	buffer_load_dword v138, off, s[0:3], 0 offset:108
	v_cmp_lt_u32_e64 s[6:7], 27, v0
	s_waitcnt vmcnt(0)
	ds_write_b32 v122, v138
	s_waitcnt lgkmcnt(0)
	; wave barrier
	s_waitcnt lgkmcnt(0)
	s_and_saveexec_b64 s[10:11], s[6:7]
	s_cbranch_execz .LBB59_316
; %bb.307:
	s_andn2_b64 vcc, exec, s[8:9]
	s_cbranch_vccnz .LBB59_309
; %bb.308:
	buffer_load_dword v138, v123, s[0:3], 0 offen
	ds_read_b32 v139, v122
	s_waitcnt vmcnt(0) lgkmcnt(0)
	v_mul_f32_e32 v138, v138, v139
	s_cbranch_execz .LBB59_310
	s_branch .LBB59_311
.LBB59_309:
                                        ; implicit-def: $vgpr138
.LBB59_310:
	ds_read_b32 v138, v122
.LBB59_311:
	s_and_saveexec_b64 s[12:13], s[4:5]
	s_cbranch_execz .LBB59_315
; %bb.312:
	v_subrev_u32_e32 v139, 28, v0
	s_movk_i32 s14, 0x160
	s_mov_b64 s[4:5], 0
.LBB59_313:                             ; =>This Inner Loop Header: Depth=1
	buffer_load_dword v140, v137, s[0:3], 0 offen
	v_mov_b32_e32 v141, s14
	ds_read_b32 v141, v141
	v_add_u32_e32 v139, -1, v139
	s_add_i32 s14, s14, 4
	v_cmp_eq_u32_e32 vcc, 0, v139
	v_add_u32_e32 v137, 4, v137
	s_or_b64 s[4:5], vcc, s[4:5]
	s_waitcnt vmcnt(0) lgkmcnt(0)
	v_fmac_f32_e32 v138, v140, v141
	s_andn2_b64 exec, exec, s[4:5]
	s_cbranch_execnz .LBB59_313
; %bb.314:
	s_or_b64 exec, exec, s[4:5]
.LBB59_315:
	s_or_b64 exec, exec, s[12:13]
	v_mov_b32_e32 v137, 0
	ds_read_b32 v137, v137 offset:108
	s_waitcnt lgkmcnt(0)
	v_mul_f32_e32 v137, v138, v137
	buffer_store_dword v137, off, s[0:3], 0 offset:108
.LBB59_316:
	s_or_b64 exec, exec, s[10:11]
	buffer_load_dword v137, off, s[0:3], 0 offset:104
	v_cmp_lt_u32_e64 s[4:5], 26, v0
	s_waitcnt vmcnt(0)
	ds_write_b32 v122, v137
	s_waitcnt lgkmcnt(0)
	; wave barrier
	s_waitcnt lgkmcnt(0)
	s_and_saveexec_b64 s[10:11], s[4:5]
	s_cbranch_execz .LBB59_326
; %bb.317:
	s_andn2_b64 vcc, exec, s[8:9]
	s_cbranch_vccnz .LBB59_319
; %bb.318:
	buffer_load_dword v137, v123, s[0:3], 0 offen
	ds_read_b32 v138, v122
	s_waitcnt vmcnt(0) lgkmcnt(0)
	v_mul_f32_e32 v137, v137, v138
	s_cbranch_execz .LBB59_320
	s_branch .LBB59_321
.LBB59_319:
                                        ; implicit-def: $vgpr137
.LBB59_320:
	ds_read_b32 v137, v122
.LBB59_321:
	s_and_saveexec_b64 s[12:13], s[6:7]
	s_cbranch_execz .LBB59_325
; %bb.322:
	v_mov_b32_e32 v138, 0
	v_add_u32_e32 v138, 0x6c, v138
	v_subrev_u32_e32 v139, 27, v0
	s_movk_i32 s14, 0x15c
	s_mov_b64 s[6:7], 0
.LBB59_323:                             ; =>This Inner Loop Header: Depth=1
	buffer_load_dword v140, v138, s[0:3], 0 offen
	v_mov_b32_e32 v141, s14
	ds_read_b32 v141, v141
	v_add_u32_e32 v139, -1, v139
	s_add_i32 s14, s14, 4
	v_cmp_eq_u32_e32 vcc, 0, v139
	v_add_u32_e32 v138, 4, v138
	s_or_b64 s[6:7], vcc, s[6:7]
	s_waitcnt vmcnt(0) lgkmcnt(0)
	v_fmac_f32_e32 v137, v140, v141
	s_andn2_b64 exec, exec, s[6:7]
	s_cbranch_execnz .LBB59_323
; %bb.324:
	s_or_b64 exec, exec, s[6:7]
.LBB59_325:
	s_or_b64 exec, exec, s[12:13]
	v_mov_b32_e32 v138, 0
	ds_read_b32 v138, v138 offset:104
	s_waitcnt lgkmcnt(0)
	v_mul_f32_e32 v137, v137, v138
	buffer_store_dword v137, off, s[0:3], 0 offset:104
.LBB59_326:
	s_or_b64 exec, exec, s[10:11]
	buffer_load_dword v137, off, s[0:3], 0 offset:100
	v_cmp_lt_u32_e64 s[6:7], 25, v0
	s_waitcnt vmcnt(0)
	ds_write_b32 v122, v137
	s_waitcnt lgkmcnt(0)
	; wave barrier
	s_waitcnt lgkmcnt(0)
	s_and_saveexec_b64 s[10:11], s[6:7]
	s_cbranch_execz .LBB59_336
; %bb.327:
	s_andn2_b64 vcc, exec, s[8:9]
	s_cbranch_vccnz .LBB59_329
; %bb.328:
	buffer_load_dword v137, v123, s[0:3], 0 offen
	ds_read_b32 v138, v122
	s_waitcnt vmcnt(0) lgkmcnt(0)
	v_mul_f32_e32 v137, v137, v138
	s_cbranch_execz .LBB59_330
	s_branch .LBB59_331
.LBB59_329:
                                        ; implicit-def: $vgpr137
.LBB59_330:
	ds_read_b32 v137, v122
.LBB59_331:
	s_and_saveexec_b64 s[12:13], s[4:5]
	s_cbranch_execz .LBB59_335
; %bb.332:
	v_subrev_u32_e32 v138, 26, v0
	s_movk_i32 s14, 0x158
	s_mov_b64 s[4:5], 0
.LBB59_333:                             ; =>This Inner Loop Header: Depth=1
	buffer_load_dword v139, v136, s[0:3], 0 offen
	v_mov_b32_e32 v140, s14
	ds_read_b32 v140, v140
	v_add_u32_e32 v138, -1, v138
	s_add_i32 s14, s14, 4
	v_cmp_eq_u32_e32 vcc, 0, v138
	v_add_u32_e32 v136, 4, v136
	s_or_b64 s[4:5], vcc, s[4:5]
	s_waitcnt vmcnt(0) lgkmcnt(0)
	v_fmac_f32_e32 v137, v139, v140
	s_andn2_b64 exec, exec, s[4:5]
	s_cbranch_execnz .LBB59_333
; %bb.334:
	s_or_b64 exec, exec, s[4:5]
.LBB59_335:
	s_or_b64 exec, exec, s[12:13]
	v_mov_b32_e32 v136, 0
	ds_read_b32 v136, v136 offset:100
	s_waitcnt lgkmcnt(0)
	v_mul_f32_e32 v136, v137, v136
	buffer_store_dword v136, off, s[0:3], 0 offset:100
.LBB59_336:
	s_or_b64 exec, exec, s[10:11]
	buffer_load_dword v136, off, s[0:3], 0 offset:96
	v_cmp_lt_u32_e64 s[4:5], 24, v0
	s_waitcnt vmcnt(0)
	ds_write_b32 v122, v136
	s_waitcnt lgkmcnt(0)
	; wave barrier
	s_waitcnt lgkmcnt(0)
	s_and_saveexec_b64 s[10:11], s[4:5]
	s_cbranch_execz .LBB59_346
; %bb.337:
	s_andn2_b64 vcc, exec, s[8:9]
	s_cbranch_vccnz .LBB59_339
; %bb.338:
	buffer_load_dword v136, v123, s[0:3], 0 offen
	ds_read_b32 v137, v122
	s_waitcnt vmcnt(0) lgkmcnt(0)
	v_mul_f32_e32 v136, v136, v137
	s_cbranch_execz .LBB59_340
	s_branch .LBB59_341
.LBB59_339:
                                        ; implicit-def: $vgpr136
.LBB59_340:
	ds_read_b32 v136, v122
.LBB59_341:
	s_and_saveexec_b64 s[12:13], s[6:7]
	s_cbranch_execz .LBB59_345
; %bb.342:
	v_mov_b32_e32 v137, 0
	v_add_u32_e32 v137, 0x64, v137
	v_subrev_u32_e32 v138, 25, v0
	s_movk_i32 s14, 0x154
	s_mov_b64 s[6:7], 0
.LBB59_343:                             ; =>This Inner Loop Header: Depth=1
	buffer_load_dword v139, v137, s[0:3], 0 offen
	v_mov_b32_e32 v140, s14
	ds_read_b32 v140, v140
	v_add_u32_e32 v138, -1, v138
	s_add_i32 s14, s14, 4
	v_cmp_eq_u32_e32 vcc, 0, v138
	v_add_u32_e32 v137, 4, v137
	s_or_b64 s[6:7], vcc, s[6:7]
	s_waitcnt vmcnt(0) lgkmcnt(0)
	v_fmac_f32_e32 v136, v139, v140
	s_andn2_b64 exec, exec, s[6:7]
	s_cbranch_execnz .LBB59_343
; %bb.344:
	s_or_b64 exec, exec, s[6:7]
.LBB59_345:
	s_or_b64 exec, exec, s[12:13]
	v_mov_b32_e32 v137, 0
	ds_read_b32 v137, v137 offset:96
	s_waitcnt lgkmcnt(0)
	v_mul_f32_e32 v136, v136, v137
	buffer_store_dword v136, off, s[0:3], 0 offset:96
.LBB59_346:
	s_or_b64 exec, exec, s[10:11]
	buffer_load_dword v136, off, s[0:3], 0 offset:92
	v_cmp_lt_u32_e64 s[6:7], 23, v0
	s_waitcnt vmcnt(0)
	ds_write_b32 v122, v136
	s_waitcnt lgkmcnt(0)
	; wave barrier
	s_waitcnt lgkmcnt(0)
	s_and_saveexec_b64 s[10:11], s[6:7]
	s_cbranch_execz .LBB59_356
; %bb.347:
	s_andn2_b64 vcc, exec, s[8:9]
	s_cbranch_vccnz .LBB59_349
; %bb.348:
	buffer_load_dword v136, v123, s[0:3], 0 offen
	ds_read_b32 v137, v122
	s_waitcnt vmcnt(0) lgkmcnt(0)
	v_mul_f32_e32 v136, v136, v137
	s_cbranch_execz .LBB59_350
	s_branch .LBB59_351
.LBB59_349:
                                        ; implicit-def: $vgpr136
.LBB59_350:
	ds_read_b32 v136, v122
.LBB59_351:
	s_and_saveexec_b64 s[12:13], s[4:5]
	s_cbranch_execz .LBB59_355
; %bb.352:
	v_subrev_u32_e32 v137, 24, v0
	s_movk_i32 s14, 0x150
	s_mov_b64 s[4:5], 0
.LBB59_353:                             ; =>This Inner Loop Header: Depth=1
	buffer_load_dword v138, v135, s[0:3], 0 offen
	v_mov_b32_e32 v139, s14
	ds_read_b32 v139, v139
	v_add_u32_e32 v137, -1, v137
	s_add_i32 s14, s14, 4
	v_cmp_eq_u32_e32 vcc, 0, v137
	v_add_u32_e32 v135, 4, v135
	s_or_b64 s[4:5], vcc, s[4:5]
	s_waitcnt vmcnt(0) lgkmcnt(0)
	v_fmac_f32_e32 v136, v138, v139
	s_andn2_b64 exec, exec, s[4:5]
	s_cbranch_execnz .LBB59_353
; %bb.354:
	s_or_b64 exec, exec, s[4:5]
.LBB59_355:
	s_or_b64 exec, exec, s[12:13]
	v_mov_b32_e32 v135, 0
	ds_read_b32 v135, v135 offset:92
	s_waitcnt lgkmcnt(0)
	v_mul_f32_e32 v135, v136, v135
	buffer_store_dword v135, off, s[0:3], 0 offset:92
.LBB59_356:
	s_or_b64 exec, exec, s[10:11]
	buffer_load_dword v135, off, s[0:3], 0 offset:88
	v_cmp_lt_u32_e64 s[4:5], 22, v0
	s_waitcnt vmcnt(0)
	ds_write_b32 v122, v135
	s_waitcnt lgkmcnt(0)
	; wave barrier
	s_waitcnt lgkmcnt(0)
	s_and_saveexec_b64 s[10:11], s[4:5]
	s_cbranch_execz .LBB59_366
; %bb.357:
	s_andn2_b64 vcc, exec, s[8:9]
	s_cbranch_vccnz .LBB59_359
; %bb.358:
	buffer_load_dword v135, v123, s[0:3], 0 offen
	ds_read_b32 v136, v122
	s_waitcnt vmcnt(0) lgkmcnt(0)
	v_mul_f32_e32 v135, v135, v136
	s_cbranch_execz .LBB59_360
	s_branch .LBB59_361
.LBB59_359:
                                        ; implicit-def: $vgpr135
.LBB59_360:
	ds_read_b32 v135, v122
.LBB59_361:
	s_and_saveexec_b64 s[12:13], s[6:7]
	s_cbranch_execz .LBB59_365
; %bb.362:
	v_mov_b32_e32 v136, 0
	v_add_u32_e32 v136, 0x5c, v136
	v_subrev_u32_e32 v137, 23, v0
	s_movk_i32 s14, 0x14c
	s_mov_b64 s[6:7], 0
.LBB59_363:                             ; =>This Inner Loop Header: Depth=1
	buffer_load_dword v138, v136, s[0:3], 0 offen
	v_mov_b32_e32 v139, s14
	ds_read_b32 v139, v139
	v_add_u32_e32 v137, -1, v137
	s_add_i32 s14, s14, 4
	v_cmp_eq_u32_e32 vcc, 0, v137
	v_add_u32_e32 v136, 4, v136
	s_or_b64 s[6:7], vcc, s[6:7]
	s_waitcnt vmcnt(0) lgkmcnt(0)
	v_fmac_f32_e32 v135, v138, v139
	s_andn2_b64 exec, exec, s[6:7]
	s_cbranch_execnz .LBB59_363
; %bb.364:
	s_or_b64 exec, exec, s[6:7]
.LBB59_365:
	s_or_b64 exec, exec, s[12:13]
	v_mov_b32_e32 v136, 0
	ds_read_b32 v136, v136 offset:88
	s_waitcnt lgkmcnt(0)
	v_mul_f32_e32 v135, v135, v136
	buffer_store_dword v135, off, s[0:3], 0 offset:88
.LBB59_366:
	s_or_b64 exec, exec, s[10:11]
	buffer_load_dword v135, off, s[0:3], 0 offset:84
	v_cmp_lt_u32_e64 s[6:7], 21, v0
	s_waitcnt vmcnt(0)
	ds_write_b32 v122, v135
	s_waitcnt lgkmcnt(0)
	; wave barrier
	s_waitcnt lgkmcnt(0)
	s_and_saveexec_b64 s[10:11], s[6:7]
	s_cbranch_execz .LBB59_376
; %bb.367:
	s_andn2_b64 vcc, exec, s[8:9]
	s_cbranch_vccnz .LBB59_369
; %bb.368:
	buffer_load_dword v135, v123, s[0:3], 0 offen
	ds_read_b32 v136, v122
	s_waitcnt vmcnt(0) lgkmcnt(0)
	v_mul_f32_e32 v135, v135, v136
	s_cbranch_execz .LBB59_370
	s_branch .LBB59_371
.LBB59_369:
                                        ; implicit-def: $vgpr135
.LBB59_370:
	ds_read_b32 v135, v122
.LBB59_371:
	s_and_saveexec_b64 s[12:13], s[4:5]
	s_cbranch_execz .LBB59_375
; %bb.372:
	v_subrev_u32_e32 v136, 22, v0
	s_movk_i32 s14, 0x148
	s_mov_b64 s[4:5], 0
.LBB59_373:                             ; =>This Inner Loop Header: Depth=1
	buffer_load_dword v137, v134, s[0:3], 0 offen
	v_mov_b32_e32 v138, s14
	ds_read_b32 v138, v138
	v_add_u32_e32 v136, -1, v136
	s_add_i32 s14, s14, 4
	v_cmp_eq_u32_e32 vcc, 0, v136
	v_add_u32_e32 v134, 4, v134
	s_or_b64 s[4:5], vcc, s[4:5]
	s_waitcnt vmcnt(0) lgkmcnt(0)
	v_fmac_f32_e32 v135, v137, v138
	s_andn2_b64 exec, exec, s[4:5]
	s_cbranch_execnz .LBB59_373
; %bb.374:
	s_or_b64 exec, exec, s[4:5]
.LBB59_375:
	s_or_b64 exec, exec, s[12:13]
	v_mov_b32_e32 v134, 0
	ds_read_b32 v134, v134 offset:84
	s_waitcnt lgkmcnt(0)
	v_mul_f32_e32 v134, v135, v134
	buffer_store_dword v134, off, s[0:3], 0 offset:84
.LBB59_376:
	s_or_b64 exec, exec, s[10:11]
	buffer_load_dword v134, off, s[0:3], 0 offset:80
	v_cmp_lt_u32_e64 s[4:5], 20, v0
	s_waitcnt vmcnt(0)
	ds_write_b32 v122, v134
	s_waitcnt lgkmcnt(0)
	; wave barrier
	s_waitcnt lgkmcnt(0)
	s_and_saveexec_b64 s[10:11], s[4:5]
	s_cbranch_execz .LBB59_386
; %bb.377:
	s_andn2_b64 vcc, exec, s[8:9]
	s_cbranch_vccnz .LBB59_379
; %bb.378:
	buffer_load_dword v134, v123, s[0:3], 0 offen
	ds_read_b32 v135, v122
	s_waitcnt vmcnt(0) lgkmcnt(0)
	v_mul_f32_e32 v134, v134, v135
	s_cbranch_execz .LBB59_380
	s_branch .LBB59_381
.LBB59_379:
                                        ; implicit-def: $vgpr134
.LBB59_380:
	ds_read_b32 v134, v122
.LBB59_381:
	s_and_saveexec_b64 s[12:13], s[6:7]
	s_cbranch_execz .LBB59_385
; %bb.382:
	v_mov_b32_e32 v135, 0
	v_add_u32_e32 v135, 0x54, v135
	v_subrev_u32_e32 v136, 21, v0
	s_movk_i32 s14, 0x144
	s_mov_b64 s[6:7], 0
.LBB59_383:                             ; =>This Inner Loop Header: Depth=1
	buffer_load_dword v137, v135, s[0:3], 0 offen
	v_mov_b32_e32 v138, s14
	ds_read_b32 v138, v138
	v_add_u32_e32 v136, -1, v136
	s_add_i32 s14, s14, 4
	v_cmp_eq_u32_e32 vcc, 0, v136
	v_add_u32_e32 v135, 4, v135
	s_or_b64 s[6:7], vcc, s[6:7]
	s_waitcnt vmcnt(0) lgkmcnt(0)
	v_fmac_f32_e32 v134, v137, v138
	s_andn2_b64 exec, exec, s[6:7]
	s_cbranch_execnz .LBB59_383
; %bb.384:
	s_or_b64 exec, exec, s[6:7]
.LBB59_385:
	s_or_b64 exec, exec, s[12:13]
	v_mov_b32_e32 v135, 0
	ds_read_b32 v135, v135 offset:80
	s_waitcnt lgkmcnt(0)
	v_mul_f32_e32 v134, v134, v135
	buffer_store_dword v134, off, s[0:3], 0 offset:80
.LBB59_386:
	s_or_b64 exec, exec, s[10:11]
	buffer_load_dword v134, off, s[0:3], 0 offset:76
	v_cmp_lt_u32_e64 s[6:7], 19, v0
	s_waitcnt vmcnt(0)
	ds_write_b32 v122, v134
	s_waitcnt lgkmcnt(0)
	; wave barrier
	s_waitcnt lgkmcnt(0)
	s_and_saveexec_b64 s[10:11], s[6:7]
	s_cbranch_execz .LBB59_396
; %bb.387:
	s_andn2_b64 vcc, exec, s[8:9]
	s_cbranch_vccnz .LBB59_389
; %bb.388:
	buffer_load_dword v134, v123, s[0:3], 0 offen
	ds_read_b32 v135, v122
	s_waitcnt vmcnt(0) lgkmcnt(0)
	v_mul_f32_e32 v134, v134, v135
	s_cbranch_execz .LBB59_390
	s_branch .LBB59_391
.LBB59_389:
                                        ; implicit-def: $vgpr134
.LBB59_390:
	ds_read_b32 v134, v122
.LBB59_391:
	s_and_saveexec_b64 s[12:13], s[4:5]
	s_cbranch_execz .LBB59_395
; %bb.392:
	v_subrev_u32_e32 v135, 20, v0
	s_movk_i32 s14, 0x140
	s_mov_b64 s[4:5], 0
.LBB59_393:                             ; =>This Inner Loop Header: Depth=1
	buffer_load_dword v136, v133, s[0:3], 0 offen
	v_mov_b32_e32 v137, s14
	ds_read_b32 v137, v137
	v_add_u32_e32 v135, -1, v135
	s_add_i32 s14, s14, 4
	v_cmp_eq_u32_e32 vcc, 0, v135
	v_add_u32_e32 v133, 4, v133
	s_or_b64 s[4:5], vcc, s[4:5]
	s_waitcnt vmcnt(0) lgkmcnt(0)
	v_fmac_f32_e32 v134, v136, v137
	s_andn2_b64 exec, exec, s[4:5]
	s_cbranch_execnz .LBB59_393
; %bb.394:
	s_or_b64 exec, exec, s[4:5]
.LBB59_395:
	s_or_b64 exec, exec, s[12:13]
	v_mov_b32_e32 v133, 0
	ds_read_b32 v133, v133 offset:76
	s_waitcnt lgkmcnt(0)
	v_mul_f32_e32 v133, v134, v133
	buffer_store_dword v133, off, s[0:3], 0 offset:76
.LBB59_396:
	s_or_b64 exec, exec, s[10:11]
	buffer_load_dword v133, off, s[0:3], 0 offset:72
	v_cmp_lt_u32_e64 s[4:5], 18, v0
	s_waitcnt vmcnt(0)
	ds_write_b32 v122, v133
	s_waitcnt lgkmcnt(0)
	; wave barrier
	s_waitcnt lgkmcnt(0)
	s_and_saveexec_b64 s[10:11], s[4:5]
	s_cbranch_execz .LBB59_406
; %bb.397:
	s_andn2_b64 vcc, exec, s[8:9]
	s_cbranch_vccnz .LBB59_399
; %bb.398:
	buffer_load_dword v133, v123, s[0:3], 0 offen
	ds_read_b32 v134, v122
	s_waitcnt vmcnt(0) lgkmcnt(0)
	v_mul_f32_e32 v133, v133, v134
	s_cbranch_execz .LBB59_400
	s_branch .LBB59_401
.LBB59_399:
                                        ; implicit-def: $vgpr133
.LBB59_400:
	ds_read_b32 v133, v122
.LBB59_401:
	s_and_saveexec_b64 s[12:13], s[6:7]
	s_cbranch_execz .LBB59_405
; %bb.402:
	v_mov_b32_e32 v134, 0
	v_add_u32_e32 v134, 0x4c, v134
	v_subrev_u32_e32 v135, 19, v0
	s_movk_i32 s14, 0x13c
	s_mov_b64 s[6:7], 0
.LBB59_403:                             ; =>This Inner Loop Header: Depth=1
	buffer_load_dword v136, v134, s[0:3], 0 offen
	v_mov_b32_e32 v137, s14
	ds_read_b32 v137, v137
	v_add_u32_e32 v135, -1, v135
	s_add_i32 s14, s14, 4
	v_cmp_eq_u32_e32 vcc, 0, v135
	v_add_u32_e32 v134, 4, v134
	s_or_b64 s[6:7], vcc, s[6:7]
	s_waitcnt vmcnt(0) lgkmcnt(0)
	v_fmac_f32_e32 v133, v136, v137
	s_andn2_b64 exec, exec, s[6:7]
	s_cbranch_execnz .LBB59_403
; %bb.404:
	s_or_b64 exec, exec, s[6:7]
.LBB59_405:
	s_or_b64 exec, exec, s[12:13]
	v_mov_b32_e32 v134, 0
	ds_read_b32 v134, v134 offset:72
	s_waitcnt lgkmcnt(0)
	v_mul_f32_e32 v133, v133, v134
	buffer_store_dword v133, off, s[0:3], 0 offset:72
.LBB59_406:
	s_or_b64 exec, exec, s[10:11]
	buffer_load_dword v133, off, s[0:3], 0 offset:68
	v_cmp_lt_u32_e64 s[6:7], 17, v0
	s_waitcnt vmcnt(0)
	ds_write_b32 v122, v133
	s_waitcnt lgkmcnt(0)
	; wave barrier
	s_waitcnt lgkmcnt(0)
	s_and_saveexec_b64 s[10:11], s[6:7]
	s_cbranch_execz .LBB59_416
; %bb.407:
	s_andn2_b64 vcc, exec, s[8:9]
	s_cbranch_vccnz .LBB59_409
; %bb.408:
	buffer_load_dword v133, v123, s[0:3], 0 offen
	ds_read_b32 v134, v122
	s_waitcnt vmcnt(0) lgkmcnt(0)
	v_mul_f32_e32 v133, v133, v134
	s_cbranch_execz .LBB59_410
	s_branch .LBB59_411
.LBB59_409:
                                        ; implicit-def: $vgpr133
.LBB59_410:
	ds_read_b32 v133, v122
.LBB59_411:
	s_and_saveexec_b64 s[12:13], s[4:5]
	s_cbranch_execz .LBB59_415
; %bb.412:
	v_subrev_u32_e32 v134, 18, v0
	s_movk_i32 s14, 0x138
	s_mov_b64 s[4:5], 0
.LBB59_413:                             ; =>This Inner Loop Header: Depth=1
	buffer_load_dword v135, v132, s[0:3], 0 offen
	v_mov_b32_e32 v136, s14
	ds_read_b32 v136, v136
	v_add_u32_e32 v134, -1, v134
	s_add_i32 s14, s14, 4
	v_cmp_eq_u32_e32 vcc, 0, v134
	v_add_u32_e32 v132, 4, v132
	s_or_b64 s[4:5], vcc, s[4:5]
	s_waitcnt vmcnt(0) lgkmcnt(0)
	v_fmac_f32_e32 v133, v135, v136
	s_andn2_b64 exec, exec, s[4:5]
	s_cbranch_execnz .LBB59_413
; %bb.414:
	s_or_b64 exec, exec, s[4:5]
.LBB59_415:
	s_or_b64 exec, exec, s[12:13]
	v_mov_b32_e32 v132, 0
	ds_read_b32 v132, v132 offset:68
	s_waitcnt lgkmcnt(0)
	v_mul_f32_e32 v132, v133, v132
	buffer_store_dword v132, off, s[0:3], 0 offset:68
.LBB59_416:
	s_or_b64 exec, exec, s[10:11]
	buffer_load_dword v132, off, s[0:3], 0 offset:64
	v_cmp_lt_u32_e64 s[4:5], 16, v0
	s_waitcnt vmcnt(0)
	ds_write_b32 v122, v132
	s_waitcnt lgkmcnt(0)
	; wave barrier
	s_waitcnt lgkmcnt(0)
	s_and_saveexec_b64 s[10:11], s[4:5]
	s_cbranch_execz .LBB59_426
; %bb.417:
	s_andn2_b64 vcc, exec, s[8:9]
	s_cbranch_vccnz .LBB59_419
; %bb.418:
	buffer_load_dword v132, v123, s[0:3], 0 offen
	ds_read_b32 v133, v122
	s_waitcnt vmcnt(0) lgkmcnt(0)
	v_mul_f32_e32 v132, v132, v133
	s_cbranch_execz .LBB59_420
	s_branch .LBB59_421
.LBB59_419:
                                        ; implicit-def: $vgpr132
.LBB59_420:
	ds_read_b32 v132, v122
.LBB59_421:
	s_and_saveexec_b64 s[12:13], s[6:7]
	s_cbranch_execz .LBB59_425
; %bb.422:
	v_mov_b32_e32 v133, 0
	v_add_u32_e32 v133, 0x44, v133
	v_subrev_u32_e32 v134, 17, v0
	s_movk_i32 s14, 0x134
	s_mov_b64 s[6:7], 0
.LBB59_423:                             ; =>This Inner Loop Header: Depth=1
	buffer_load_dword v135, v133, s[0:3], 0 offen
	v_mov_b32_e32 v136, s14
	ds_read_b32 v136, v136
	v_add_u32_e32 v134, -1, v134
	s_add_i32 s14, s14, 4
	v_cmp_eq_u32_e32 vcc, 0, v134
	v_add_u32_e32 v133, 4, v133
	s_or_b64 s[6:7], vcc, s[6:7]
	s_waitcnt vmcnt(0) lgkmcnt(0)
	v_fmac_f32_e32 v132, v135, v136
	s_andn2_b64 exec, exec, s[6:7]
	s_cbranch_execnz .LBB59_423
; %bb.424:
	s_or_b64 exec, exec, s[6:7]
.LBB59_425:
	s_or_b64 exec, exec, s[12:13]
	v_mov_b32_e32 v133, 0
	ds_read_b32 v133, v133 offset:64
	s_waitcnt lgkmcnt(0)
	v_mul_f32_e32 v132, v132, v133
	buffer_store_dword v132, off, s[0:3], 0 offset:64
.LBB59_426:
	s_or_b64 exec, exec, s[10:11]
	buffer_load_dword v132, off, s[0:3], 0 offset:60
	v_cmp_lt_u32_e64 s[6:7], 15, v0
	s_waitcnt vmcnt(0)
	ds_write_b32 v122, v132
	s_waitcnt lgkmcnt(0)
	; wave barrier
	s_waitcnt lgkmcnt(0)
	s_and_saveexec_b64 s[10:11], s[6:7]
	s_cbranch_execz .LBB59_436
; %bb.427:
	s_andn2_b64 vcc, exec, s[8:9]
	s_cbranch_vccnz .LBB59_429
; %bb.428:
	buffer_load_dword v132, v123, s[0:3], 0 offen
	ds_read_b32 v133, v122
	s_waitcnt vmcnt(0) lgkmcnt(0)
	v_mul_f32_e32 v132, v132, v133
	s_cbranch_execz .LBB59_430
	s_branch .LBB59_431
.LBB59_429:
                                        ; implicit-def: $vgpr132
.LBB59_430:
	ds_read_b32 v132, v122
.LBB59_431:
	s_and_saveexec_b64 s[12:13], s[4:5]
	s_cbranch_execz .LBB59_435
; %bb.432:
	v_add_u32_e32 v133, -16, v0
	s_movk_i32 s14, 0x130
	s_mov_b64 s[4:5], 0
.LBB59_433:                             ; =>This Inner Loop Header: Depth=1
	buffer_load_dword v134, v131, s[0:3], 0 offen
	v_mov_b32_e32 v135, s14
	ds_read_b32 v135, v135
	v_add_u32_e32 v133, -1, v133
	s_add_i32 s14, s14, 4
	v_cmp_eq_u32_e32 vcc, 0, v133
	v_add_u32_e32 v131, 4, v131
	s_or_b64 s[4:5], vcc, s[4:5]
	s_waitcnt vmcnt(0) lgkmcnt(0)
	v_fmac_f32_e32 v132, v134, v135
	s_andn2_b64 exec, exec, s[4:5]
	s_cbranch_execnz .LBB59_433
; %bb.434:
	s_or_b64 exec, exec, s[4:5]
.LBB59_435:
	s_or_b64 exec, exec, s[12:13]
	v_mov_b32_e32 v131, 0
	ds_read_b32 v131, v131 offset:60
	s_waitcnt lgkmcnt(0)
	v_mul_f32_e32 v131, v132, v131
	buffer_store_dword v131, off, s[0:3], 0 offset:60
.LBB59_436:
	s_or_b64 exec, exec, s[10:11]
	buffer_load_dword v131, off, s[0:3], 0 offset:56
	v_cmp_lt_u32_e64 s[4:5], 14, v0
	s_waitcnt vmcnt(0)
	ds_write_b32 v122, v131
	s_waitcnt lgkmcnt(0)
	; wave barrier
	s_waitcnt lgkmcnt(0)
	s_and_saveexec_b64 s[10:11], s[4:5]
	s_cbranch_execz .LBB59_446
; %bb.437:
	s_andn2_b64 vcc, exec, s[8:9]
	s_cbranch_vccnz .LBB59_439
; %bb.438:
	buffer_load_dword v131, v123, s[0:3], 0 offen
	ds_read_b32 v132, v122
	s_waitcnt vmcnt(0) lgkmcnt(0)
	v_mul_f32_e32 v131, v131, v132
	s_cbranch_execz .LBB59_440
	s_branch .LBB59_441
.LBB59_439:
                                        ; implicit-def: $vgpr131
.LBB59_440:
	ds_read_b32 v131, v122
.LBB59_441:
	s_and_saveexec_b64 s[12:13], s[6:7]
	s_cbranch_execz .LBB59_445
; %bb.442:
	v_mov_b32_e32 v132, 0
	v_add_u32_e32 v132, 60, v132
	v_add_u32_e32 v133, -15, v0
	s_movk_i32 s14, 0x12c
	s_mov_b64 s[6:7], 0
.LBB59_443:                             ; =>This Inner Loop Header: Depth=1
	buffer_load_dword v134, v132, s[0:3], 0 offen
	v_mov_b32_e32 v135, s14
	ds_read_b32 v135, v135
	v_add_u32_e32 v133, -1, v133
	s_add_i32 s14, s14, 4
	v_cmp_eq_u32_e32 vcc, 0, v133
	v_add_u32_e32 v132, 4, v132
	s_or_b64 s[6:7], vcc, s[6:7]
	s_waitcnt vmcnt(0) lgkmcnt(0)
	v_fmac_f32_e32 v131, v134, v135
	s_andn2_b64 exec, exec, s[6:7]
	s_cbranch_execnz .LBB59_443
; %bb.444:
	s_or_b64 exec, exec, s[6:7]
.LBB59_445:
	s_or_b64 exec, exec, s[12:13]
	v_mov_b32_e32 v132, 0
	ds_read_b32 v132, v132 offset:56
	s_waitcnt lgkmcnt(0)
	v_mul_f32_e32 v131, v131, v132
	buffer_store_dword v131, off, s[0:3], 0 offset:56
.LBB59_446:
	s_or_b64 exec, exec, s[10:11]
	buffer_load_dword v131, off, s[0:3], 0 offset:52
	v_cmp_lt_u32_e64 s[6:7], 13, v0
	s_waitcnt vmcnt(0)
	ds_write_b32 v122, v131
	s_waitcnt lgkmcnt(0)
	; wave barrier
	s_waitcnt lgkmcnt(0)
	s_and_saveexec_b64 s[10:11], s[6:7]
	s_cbranch_execz .LBB59_456
; %bb.447:
	s_andn2_b64 vcc, exec, s[8:9]
	s_cbranch_vccnz .LBB59_449
; %bb.448:
	buffer_load_dword v131, v123, s[0:3], 0 offen
	ds_read_b32 v132, v122
	s_waitcnt vmcnt(0) lgkmcnt(0)
	v_mul_f32_e32 v131, v131, v132
	s_cbranch_execz .LBB59_450
	s_branch .LBB59_451
.LBB59_449:
                                        ; implicit-def: $vgpr131
.LBB59_450:
	ds_read_b32 v131, v122
.LBB59_451:
	s_and_saveexec_b64 s[12:13], s[4:5]
	s_cbranch_execz .LBB59_455
; %bb.452:
	v_add_u32_e32 v132, -14, v0
	s_movk_i32 s14, 0x128
	s_mov_b64 s[4:5], 0
.LBB59_453:                             ; =>This Inner Loop Header: Depth=1
	buffer_load_dword v133, v130, s[0:3], 0 offen
	v_mov_b32_e32 v134, s14
	ds_read_b32 v134, v134
	v_add_u32_e32 v132, -1, v132
	s_add_i32 s14, s14, 4
	v_cmp_eq_u32_e32 vcc, 0, v132
	v_add_u32_e32 v130, 4, v130
	s_or_b64 s[4:5], vcc, s[4:5]
	s_waitcnt vmcnt(0) lgkmcnt(0)
	v_fmac_f32_e32 v131, v133, v134
	s_andn2_b64 exec, exec, s[4:5]
	s_cbranch_execnz .LBB59_453
; %bb.454:
	s_or_b64 exec, exec, s[4:5]
.LBB59_455:
	s_or_b64 exec, exec, s[12:13]
	v_mov_b32_e32 v130, 0
	ds_read_b32 v130, v130 offset:52
	s_waitcnt lgkmcnt(0)
	v_mul_f32_e32 v130, v131, v130
	buffer_store_dword v130, off, s[0:3], 0 offset:52
.LBB59_456:
	s_or_b64 exec, exec, s[10:11]
	buffer_load_dword v130, off, s[0:3], 0 offset:48
	v_cmp_lt_u32_e64 s[4:5], 12, v0
	s_waitcnt vmcnt(0)
	ds_write_b32 v122, v130
	s_waitcnt lgkmcnt(0)
	; wave barrier
	s_waitcnt lgkmcnt(0)
	s_and_saveexec_b64 s[10:11], s[4:5]
	s_cbranch_execz .LBB59_466
; %bb.457:
	s_andn2_b64 vcc, exec, s[8:9]
	s_cbranch_vccnz .LBB59_459
; %bb.458:
	buffer_load_dword v130, v123, s[0:3], 0 offen
	ds_read_b32 v131, v122
	s_waitcnt vmcnt(0) lgkmcnt(0)
	v_mul_f32_e32 v130, v130, v131
	s_cbranch_execz .LBB59_460
	s_branch .LBB59_461
.LBB59_459:
                                        ; implicit-def: $vgpr130
.LBB59_460:
	ds_read_b32 v130, v122
.LBB59_461:
	s_and_saveexec_b64 s[12:13], s[6:7]
	s_cbranch_execz .LBB59_465
; %bb.462:
	v_mov_b32_e32 v131, 0
	v_add_u32_e32 v131, 52, v131
	v_add_u32_e32 v132, -13, v0
	s_movk_i32 s14, 0x124
	s_mov_b64 s[6:7], 0
.LBB59_463:                             ; =>This Inner Loop Header: Depth=1
	buffer_load_dword v133, v131, s[0:3], 0 offen
	v_mov_b32_e32 v134, s14
	ds_read_b32 v134, v134
	v_add_u32_e32 v132, -1, v132
	s_add_i32 s14, s14, 4
	v_cmp_eq_u32_e32 vcc, 0, v132
	v_add_u32_e32 v131, 4, v131
	s_or_b64 s[6:7], vcc, s[6:7]
	s_waitcnt vmcnt(0) lgkmcnt(0)
	v_fmac_f32_e32 v130, v133, v134
	s_andn2_b64 exec, exec, s[6:7]
	s_cbranch_execnz .LBB59_463
; %bb.464:
	s_or_b64 exec, exec, s[6:7]
.LBB59_465:
	s_or_b64 exec, exec, s[12:13]
	v_mov_b32_e32 v131, 0
	ds_read_b32 v131, v131 offset:48
	s_waitcnt lgkmcnt(0)
	v_mul_f32_e32 v130, v130, v131
	buffer_store_dword v130, off, s[0:3], 0 offset:48
.LBB59_466:
	s_or_b64 exec, exec, s[10:11]
	buffer_load_dword v130, off, s[0:3], 0 offset:44
	v_cmp_lt_u32_e64 s[6:7], 11, v0
	s_waitcnt vmcnt(0)
	ds_write_b32 v122, v130
	s_waitcnt lgkmcnt(0)
	; wave barrier
	s_waitcnt lgkmcnt(0)
	s_and_saveexec_b64 s[10:11], s[6:7]
	s_cbranch_execz .LBB59_476
; %bb.467:
	s_andn2_b64 vcc, exec, s[8:9]
	s_cbranch_vccnz .LBB59_469
; %bb.468:
	buffer_load_dword v130, v123, s[0:3], 0 offen
	ds_read_b32 v131, v122
	s_waitcnt vmcnt(0) lgkmcnt(0)
	v_mul_f32_e32 v130, v130, v131
	s_cbranch_execz .LBB59_470
	s_branch .LBB59_471
.LBB59_469:
                                        ; implicit-def: $vgpr130
.LBB59_470:
	ds_read_b32 v130, v122
.LBB59_471:
	s_and_saveexec_b64 s[12:13], s[4:5]
	s_cbranch_execz .LBB59_475
; %bb.472:
	v_add_u32_e32 v131, -12, v0
	s_movk_i32 s14, 0x120
	s_mov_b64 s[4:5], 0
.LBB59_473:                             ; =>This Inner Loop Header: Depth=1
	buffer_load_dword v132, v129, s[0:3], 0 offen
	v_mov_b32_e32 v133, s14
	ds_read_b32 v133, v133
	v_add_u32_e32 v131, -1, v131
	s_add_i32 s14, s14, 4
	v_cmp_eq_u32_e32 vcc, 0, v131
	v_add_u32_e32 v129, 4, v129
	s_or_b64 s[4:5], vcc, s[4:5]
	s_waitcnt vmcnt(0) lgkmcnt(0)
	v_fmac_f32_e32 v130, v132, v133
	s_andn2_b64 exec, exec, s[4:5]
	s_cbranch_execnz .LBB59_473
; %bb.474:
	s_or_b64 exec, exec, s[4:5]
.LBB59_475:
	s_or_b64 exec, exec, s[12:13]
	v_mov_b32_e32 v129, 0
	ds_read_b32 v129, v129 offset:44
	s_waitcnt lgkmcnt(0)
	v_mul_f32_e32 v129, v130, v129
	buffer_store_dword v129, off, s[0:3], 0 offset:44
.LBB59_476:
	s_or_b64 exec, exec, s[10:11]
	buffer_load_dword v129, off, s[0:3], 0 offset:40
	v_cmp_lt_u32_e64 s[4:5], 10, v0
	s_waitcnt vmcnt(0)
	ds_write_b32 v122, v129
	s_waitcnt lgkmcnt(0)
	; wave barrier
	s_waitcnt lgkmcnt(0)
	s_and_saveexec_b64 s[10:11], s[4:5]
	s_cbranch_execz .LBB59_486
; %bb.477:
	s_andn2_b64 vcc, exec, s[8:9]
	s_cbranch_vccnz .LBB59_479
; %bb.478:
	buffer_load_dword v129, v123, s[0:3], 0 offen
	ds_read_b32 v130, v122
	s_waitcnt vmcnt(0) lgkmcnt(0)
	v_mul_f32_e32 v129, v129, v130
	s_cbranch_execz .LBB59_480
	s_branch .LBB59_481
.LBB59_479:
                                        ; implicit-def: $vgpr129
.LBB59_480:
	ds_read_b32 v129, v122
.LBB59_481:
	s_and_saveexec_b64 s[12:13], s[6:7]
	s_cbranch_execz .LBB59_485
; %bb.482:
	v_mov_b32_e32 v130, 0
	v_add_u32_e32 v130, 44, v130
	v_add_u32_e32 v131, -11, v0
	s_movk_i32 s14, 0x11c
	s_mov_b64 s[6:7], 0
.LBB59_483:                             ; =>This Inner Loop Header: Depth=1
	buffer_load_dword v132, v130, s[0:3], 0 offen
	v_mov_b32_e32 v133, s14
	ds_read_b32 v133, v133
	v_add_u32_e32 v131, -1, v131
	s_add_i32 s14, s14, 4
	v_cmp_eq_u32_e32 vcc, 0, v131
	v_add_u32_e32 v130, 4, v130
	s_or_b64 s[6:7], vcc, s[6:7]
	s_waitcnt vmcnt(0) lgkmcnt(0)
	v_fmac_f32_e32 v129, v132, v133
	s_andn2_b64 exec, exec, s[6:7]
	s_cbranch_execnz .LBB59_483
; %bb.484:
	s_or_b64 exec, exec, s[6:7]
.LBB59_485:
	s_or_b64 exec, exec, s[12:13]
	v_mov_b32_e32 v130, 0
	ds_read_b32 v130, v130 offset:40
	s_waitcnt lgkmcnt(0)
	v_mul_f32_e32 v129, v129, v130
	buffer_store_dword v129, off, s[0:3], 0 offset:40
.LBB59_486:
	s_or_b64 exec, exec, s[10:11]
	buffer_load_dword v129, off, s[0:3], 0 offset:36
	v_cmp_lt_u32_e64 s[6:7], 9, v0
	s_waitcnt vmcnt(0)
	ds_write_b32 v122, v129
	s_waitcnt lgkmcnt(0)
	; wave barrier
	s_waitcnt lgkmcnt(0)
	s_and_saveexec_b64 s[10:11], s[6:7]
	s_cbranch_execz .LBB59_496
; %bb.487:
	s_andn2_b64 vcc, exec, s[8:9]
	s_cbranch_vccnz .LBB59_489
; %bb.488:
	buffer_load_dword v129, v123, s[0:3], 0 offen
	ds_read_b32 v130, v122
	s_waitcnt vmcnt(0) lgkmcnt(0)
	v_mul_f32_e32 v129, v129, v130
	s_cbranch_execz .LBB59_490
	s_branch .LBB59_491
.LBB59_489:
                                        ; implicit-def: $vgpr129
.LBB59_490:
	ds_read_b32 v129, v122
.LBB59_491:
	s_and_saveexec_b64 s[12:13], s[4:5]
	s_cbranch_execz .LBB59_495
; %bb.492:
	v_add_u32_e32 v130, -10, v0
	s_movk_i32 s14, 0x118
	s_mov_b64 s[4:5], 0
.LBB59_493:                             ; =>This Inner Loop Header: Depth=1
	buffer_load_dword v131, v128, s[0:3], 0 offen
	v_mov_b32_e32 v132, s14
	ds_read_b32 v132, v132
	v_add_u32_e32 v130, -1, v130
	s_add_i32 s14, s14, 4
	v_cmp_eq_u32_e32 vcc, 0, v130
	v_add_u32_e32 v128, 4, v128
	s_or_b64 s[4:5], vcc, s[4:5]
	s_waitcnt vmcnt(0) lgkmcnt(0)
	v_fmac_f32_e32 v129, v131, v132
	s_andn2_b64 exec, exec, s[4:5]
	s_cbranch_execnz .LBB59_493
; %bb.494:
	s_or_b64 exec, exec, s[4:5]
.LBB59_495:
	s_or_b64 exec, exec, s[12:13]
	v_mov_b32_e32 v128, 0
	ds_read_b32 v128, v128 offset:36
	s_waitcnt lgkmcnt(0)
	v_mul_f32_e32 v128, v129, v128
	buffer_store_dword v128, off, s[0:3], 0 offset:36
.LBB59_496:
	s_or_b64 exec, exec, s[10:11]
	buffer_load_dword v128, off, s[0:3], 0 offset:32
	v_cmp_lt_u32_e64 s[4:5], 8, v0
	s_waitcnt vmcnt(0)
	ds_write_b32 v122, v128
	s_waitcnt lgkmcnt(0)
	; wave barrier
	s_waitcnt lgkmcnt(0)
	s_and_saveexec_b64 s[10:11], s[4:5]
	s_cbranch_execz .LBB59_506
; %bb.497:
	s_andn2_b64 vcc, exec, s[8:9]
	s_cbranch_vccnz .LBB59_499
; %bb.498:
	buffer_load_dword v128, v123, s[0:3], 0 offen
	ds_read_b32 v129, v122
	s_waitcnt vmcnt(0) lgkmcnt(0)
	v_mul_f32_e32 v128, v128, v129
	s_cbranch_execz .LBB59_500
	s_branch .LBB59_501
.LBB59_499:
                                        ; implicit-def: $vgpr128
.LBB59_500:
	ds_read_b32 v128, v122
.LBB59_501:
	s_and_saveexec_b64 s[12:13], s[6:7]
	s_cbranch_execz .LBB59_505
; %bb.502:
	v_mov_b32_e32 v129, 0
	v_add_u32_e32 v129, 36, v129
	v_add_u32_e32 v130, -9, v0
	s_movk_i32 s14, 0x114
	s_mov_b64 s[6:7], 0
.LBB59_503:                             ; =>This Inner Loop Header: Depth=1
	buffer_load_dword v131, v129, s[0:3], 0 offen
	v_mov_b32_e32 v132, s14
	ds_read_b32 v132, v132
	v_add_u32_e32 v130, -1, v130
	s_add_i32 s14, s14, 4
	v_cmp_eq_u32_e32 vcc, 0, v130
	v_add_u32_e32 v129, 4, v129
	s_or_b64 s[6:7], vcc, s[6:7]
	s_waitcnt vmcnt(0) lgkmcnt(0)
	v_fmac_f32_e32 v128, v131, v132
	s_andn2_b64 exec, exec, s[6:7]
	s_cbranch_execnz .LBB59_503
; %bb.504:
	s_or_b64 exec, exec, s[6:7]
.LBB59_505:
	s_or_b64 exec, exec, s[12:13]
	v_mov_b32_e32 v129, 0
	ds_read_b32 v129, v129 offset:32
	s_waitcnt lgkmcnt(0)
	v_mul_f32_e32 v128, v128, v129
	buffer_store_dword v128, off, s[0:3], 0 offset:32
.LBB59_506:
	s_or_b64 exec, exec, s[10:11]
	buffer_load_dword v128, off, s[0:3], 0 offset:28
	v_cmp_lt_u32_e64 s[6:7], 7, v0
	s_waitcnt vmcnt(0)
	ds_write_b32 v122, v128
	s_waitcnt lgkmcnt(0)
	; wave barrier
	s_waitcnt lgkmcnt(0)
	s_and_saveexec_b64 s[10:11], s[6:7]
	s_cbranch_execz .LBB59_516
; %bb.507:
	s_andn2_b64 vcc, exec, s[8:9]
	s_cbranch_vccnz .LBB59_509
; %bb.508:
	buffer_load_dword v128, v123, s[0:3], 0 offen
	ds_read_b32 v129, v122
	s_waitcnt vmcnt(0) lgkmcnt(0)
	v_mul_f32_e32 v128, v128, v129
	s_cbranch_execz .LBB59_510
	s_branch .LBB59_511
.LBB59_509:
                                        ; implicit-def: $vgpr128
.LBB59_510:
	ds_read_b32 v128, v122
.LBB59_511:
	s_and_saveexec_b64 s[12:13], s[4:5]
	s_cbranch_execz .LBB59_515
; %bb.512:
	v_add_u32_e32 v129, -8, v0
	s_movk_i32 s14, 0x110
	s_mov_b64 s[4:5], 0
.LBB59_513:                             ; =>This Inner Loop Header: Depth=1
	buffer_load_dword v130, v127, s[0:3], 0 offen
	v_mov_b32_e32 v131, s14
	ds_read_b32 v131, v131
	v_add_u32_e32 v129, -1, v129
	s_add_i32 s14, s14, 4
	v_cmp_eq_u32_e32 vcc, 0, v129
	v_add_u32_e32 v127, 4, v127
	s_or_b64 s[4:5], vcc, s[4:5]
	s_waitcnt vmcnt(0) lgkmcnt(0)
	v_fmac_f32_e32 v128, v130, v131
	s_andn2_b64 exec, exec, s[4:5]
	s_cbranch_execnz .LBB59_513
; %bb.514:
	s_or_b64 exec, exec, s[4:5]
.LBB59_515:
	s_or_b64 exec, exec, s[12:13]
	v_mov_b32_e32 v127, 0
	ds_read_b32 v127, v127 offset:28
	s_waitcnt lgkmcnt(0)
	v_mul_f32_e32 v127, v128, v127
	buffer_store_dword v127, off, s[0:3], 0 offset:28
.LBB59_516:
	s_or_b64 exec, exec, s[10:11]
	buffer_load_dword v127, off, s[0:3], 0 offset:24
	v_cmp_lt_u32_e64 s[4:5], 6, v0
	s_waitcnt vmcnt(0)
	ds_write_b32 v122, v127
	s_waitcnt lgkmcnt(0)
	; wave barrier
	s_waitcnt lgkmcnt(0)
	s_and_saveexec_b64 s[10:11], s[4:5]
	s_cbranch_execz .LBB59_526
; %bb.517:
	s_andn2_b64 vcc, exec, s[8:9]
	s_cbranch_vccnz .LBB59_519
; %bb.518:
	buffer_load_dword v127, v123, s[0:3], 0 offen
	ds_read_b32 v128, v122
	s_waitcnt vmcnt(0) lgkmcnt(0)
	v_mul_f32_e32 v127, v127, v128
	s_cbranch_execz .LBB59_520
	s_branch .LBB59_521
.LBB59_519:
                                        ; implicit-def: $vgpr127
.LBB59_520:
	ds_read_b32 v127, v122
.LBB59_521:
	s_and_saveexec_b64 s[12:13], s[6:7]
	s_cbranch_execz .LBB59_525
; %bb.522:
	v_mov_b32_e32 v128, 0
	v_add_u32_e32 v128, 28, v128
	v_add_u32_e32 v129, -7, v0
	s_movk_i32 s14, 0x10c
	s_mov_b64 s[6:7], 0
.LBB59_523:                             ; =>This Inner Loop Header: Depth=1
	buffer_load_dword v130, v128, s[0:3], 0 offen
	v_mov_b32_e32 v131, s14
	ds_read_b32 v131, v131
	v_add_u32_e32 v129, -1, v129
	s_add_i32 s14, s14, 4
	v_cmp_eq_u32_e32 vcc, 0, v129
	v_add_u32_e32 v128, 4, v128
	s_or_b64 s[6:7], vcc, s[6:7]
	s_waitcnt vmcnt(0) lgkmcnt(0)
	v_fmac_f32_e32 v127, v130, v131
	s_andn2_b64 exec, exec, s[6:7]
	s_cbranch_execnz .LBB59_523
; %bb.524:
	s_or_b64 exec, exec, s[6:7]
.LBB59_525:
	s_or_b64 exec, exec, s[12:13]
	v_mov_b32_e32 v128, 0
	ds_read_b32 v128, v128 offset:24
	s_waitcnt lgkmcnt(0)
	v_mul_f32_e32 v127, v127, v128
	buffer_store_dword v127, off, s[0:3], 0 offset:24
.LBB59_526:
	s_or_b64 exec, exec, s[10:11]
	buffer_load_dword v127, off, s[0:3], 0 offset:20
	v_cmp_lt_u32_e64 s[6:7], 5, v0
	s_waitcnt vmcnt(0)
	ds_write_b32 v122, v127
	s_waitcnt lgkmcnt(0)
	; wave barrier
	s_waitcnt lgkmcnt(0)
	s_and_saveexec_b64 s[10:11], s[6:7]
	s_cbranch_execz .LBB59_536
; %bb.527:
	s_andn2_b64 vcc, exec, s[8:9]
	s_cbranch_vccnz .LBB59_529
; %bb.528:
	buffer_load_dword v127, v123, s[0:3], 0 offen
	ds_read_b32 v128, v122
	s_waitcnt vmcnt(0) lgkmcnt(0)
	v_mul_f32_e32 v127, v127, v128
	s_cbranch_execz .LBB59_530
	s_branch .LBB59_531
.LBB59_529:
                                        ; implicit-def: $vgpr127
.LBB59_530:
	ds_read_b32 v127, v122
.LBB59_531:
	s_and_saveexec_b64 s[12:13], s[4:5]
	s_cbranch_execz .LBB59_535
; %bb.532:
	v_add_u32_e32 v128, -6, v0
	s_movk_i32 s14, 0x108
	s_mov_b64 s[4:5], 0
.LBB59_533:                             ; =>This Inner Loop Header: Depth=1
	buffer_load_dword v129, v126, s[0:3], 0 offen
	v_mov_b32_e32 v130, s14
	ds_read_b32 v130, v130
	v_add_u32_e32 v128, -1, v128
	s_add_i32 s14, s14, 4
	v_cmp_eq_u32_e32 vcc, 0, v128
	v_add_u32_e32 v126, 4, v126
	s_or_b64 s[4:5], vcc, s[4:5]
	s_waitcnt vmcnt(0) lgkmcnt(0)
	v_fmac_f32_e32 v127, v129, v130
	s_andn2_b64 exec, exec, s[4:5]
	s_cbranch_execnz .LBB59_533
; %bb.534:
	s_or_b64 exec, exec, s[4:5]
.LBB59_535:
	s_or_b64 exec, exec, s[12:13]
	v_mov_b32_e32 v126, 0
	ds_read_b32 v126, v126 offset:20
	s_waitcnt lgkmcnt(0)
	v_mul_f32_e32 v126, v127, v126
	buffer_store_dword v126, off, s[0:3], 0 offset:20
.LBB59_536:
	s_or_b64 exec, exec, s[10:11]
	buffer_load_dword v126, off, s[0:3], 0 offset:16
	v_cmp_lt_u32_e64 s[4:5], 4, v0
	s_waitcnt vmcnt(0)
	ds_write_b32 v122, v126
	s_waitcnt lgkmcnt(0)
	; wave barrier
	s_waitcnt lgkmcnt(0)
	s_and_saveexec_b64 s[10:11], s[4:5]
	s_cbranch_execz .LBB59_546
; %bb.537:
	s_andn2_b64 vcc, exec, s[8:9]
	s_cbranch_vccnz .LBB59_539
; %bb.538:
	buffer_load_dword v126, v123, s[0:3], 0 offen
	ds_read_b32 v127, v122
	s_waitcnt vmcnt(0) lgkmcnt(0)
	v_mul_f32_e32 v126, v126, v127
	s_cbranch_execz .LBB59_540
	s_branch .LBB59_541
.LBB59_539:
                                        ; implicit-def: $vgpr126
.LBB59_540:
	ds_read_b32 v126, v122
.LBB59_541:
	s_and_saveexec_b64 s[12:13], s[6:7]
	s_cbranch_execz .LBB59_545
; %bb.542:
	v_mov_b32_e32 v127, 0
	v_add_u32_e32 v127, 20, v127
	v_add_u32_e32 v128, -5, v0
	s_movk_i32 s14, 0x104
	s_mov_b64 s[6:7], 0
.LBB59_543:                             ; =>This Inner Loop Header: Depth=1
	buffer_load_dword v129, v127, s[0:3], 0 offen
	v_mov_b32_e32 v130, s14
	ds_read_b32 v130, v130
	v_add_u32_e32 v128, -1, v128
	s_add_i32 s14, s14, 4
	v_cmp_eq_u32_e32 vcc, 0, v128
	v_add_u32_e32 v127, 4, v127
	s_or_b64 s[6:7], vcc, s[6:7]
	s_waitcnt vmcnt(0) lgkmcnt(0)
	v_fmac_f32_e32 v126, v129, v130
	s_andn2_b64 exec, exec, s[6:7]
	s_cbranch_execnz .LBB59_543
; %bb.544:
	s_or_b64 exec, exec, s[6:7]
.LBB59_545:
	s_or_b64 exec, exec, s[12:13]
	v_mov_b32_e32 v127, 0
	ds_read_b32 v127, v127 offset:16
	s_waitcnt lgkmcnt(0)
	v_mul_f32_e32 v126, v126, v127
	buffer_store_dword v126, off, s[0:3], 0 offset:16
.LBB59_546:
	s_or_b64 exec, exec, s[10:11]
	buffer_load_dword v126, off, s[0:3], 0 offset:12
	v_cmp_lt_u32_e64 s[6:7], 3, v0
	s_waitcnt vmcnt(0)
	ds_write_b32 v122, v126
	s_waitcnt lgkmcnt(0)
	; wave barrier
	s_waitcnt lgkmcnt(0)
	s_and_saveexec_b64 s[10:11], s[6:7]
	s_cbranch_execz .LBB59_556
; %bb.547:
	s_andn2_b64 vcc, exec, s[8:9]
	s_cbranch_vccnz .LBB59_549
; %bb.548:
	buffer_load_dword v126, v123, s[0:3], 0 offen
	ds_read_b32 v127, v122
	s_waitcnt vmcnt(0) lgkmcnt(0)
	v_mul_f32_e32 v126, v126, v127
	s_cbranch_execz .LBB59_550
	s_branch .LBB59_551
.LBB59_549:
                                        ; implicit-def: $vgpr126
.LBB59_550:
	ds_read_b32 v126, v122
.LBB59_551:
	s_and_saveexec_b64 s[12:13], s[4:5]
	s_cbranch_execz .LBB59_555
; %bb.552:
	v_add_u32_e32 v127, -4, v0
	s_movk_i32 s14, 0x100
	s_mov_b64 s[4:5], 0
.LBB59_553:                             ; =>This Inner Loop Header: Depth=1
	buffer_load_dword v128, v125, s[0:3], 0 offen
	v_mov_b32_e32 v129, s14
	ds_read_b32 v129, v129
	v_add_u32_e32 v127, -1, v127
	s_add_i32 s14, s14, 4
	v_cmp_eq_u32_e32 vcc, 0, v127
	v_add_u32_e32 v125, 4, v125
	s_or_b64 s[4:5], vcc, s[4:5]
	s_waitcnt vmcnt(0) lgkmcnt(0)
	v_fmac_f32_e32 v126, v128, v129
	s_andn2_b64 exec, exec, s[4:5]
	s_cbranch_execnz .LBB59_553
; %bb.554:
	s_or_b64 exec, exec, s[4:5]
.LBB59_555:
	s_or_b64 exec, exec, s[12:13]
	v_mov_b32_e32 v125, 0
	ds_read_b32 v125, v125 offset:12
	s_waitcnt lgkmcnt(0)
	v_mul_f32_e32 v125, v126, v125
	buffer_store_dword v125, off, s[0:3], 0 offset:12
.LBB59_556:
	s_or_b64 exec, exec, s[10:11]
	buffer_load_dword v125, off, s[0:3], 0 offset:8
	v_cmp_lt_u32_e64 s[4:5], 2, v0
	s_waitcnt vmcnt(0)
	ds_write_b32 v122, v125
	s_waitcnt lgkmcnt(0)
	; wave barrier
	s_waitcnt lgkmcnt(0)
	s_and_saveexec_b64 s[10:11], s[4:5]
	s_cbranch_execz .LBB59_566
; %bb.557:
	s_andn2_b64 vcc, exec, s[8:9]
	s_cbranch_vccnz .LBB59_559
; %bb.558:
	buffer_load_dword v125, v123, s[0:3], 0 offen
	ds_read_b32 v126, v122
	s_waitcnt vmcnt(0) lgkmcnt(0)
	v_mul_f32_e32 v125, v125, v126
	s_cbranch_execz .LBB59_560
	s_branch .LBB59_561
.LBB59_559:
                                        ; implicit-def: $vgpr125
.LBB59_560:
	ds_read_b32 v125, v122
.LBB59_561:
	s_and_saveexec_b64 s[12:13], s[6:7]
	s_cbranch_execz .LBB59_565
; %bb.562:
	v_mov_b32_e32 v126, 0
	v_or_b32_e32 v126, 12, v126
	v_add_u32_e32 v127, -3, v0
	s_movk_i32 s14, 0xfc
	s_mov_b64 s[6:7], 0
.LBB59_563:                             ; =>This Inner Loop Header: Depth=1
	buffer_load_dword v128, v126, s[0:3], 0 offen
	v_mov_b32_e32 v129, s14
	ds_read_b32 v129, v129
	v_add_u32_e32 v127, -1, v127
	s_add_i32 s14, s14, 4
	v_cmp_eq_u32_e32 vcc, 0, v127
	v_add_u32_e32 v126, 4, v126
	s_or_b64 s[6:7], vcc, s[6:7]
	s_waitcnt vmcnt(0) lgkmcnt(0)
	v_fmac_f32_e32 v125, v128, v129
	s_andn2_b64 exec, exec, s[6:7]
	s_cbranch_execnz .LBB59_563
; %bb.564:
	s_or_b64 exec, exec, s[6:7]
.LBB59_565:
	s_or_b64 exec, exec, s[12:13]
	v_mov_b32_e32 v126, 0
	ds_read_b32 v126, v126 offset:8
	s_waitcnt lgkmcnt(0)
	v_mul_f32_e32 v125, v125, v126
	buffer_store_dword v125, off, s[0:3], 0 offset:8
.LBB59_566:
	s_or_b64 exec, exec, s[10:11]
	buffer_load_dword v125, off, s[0:3], 0 offset:4
	v_cmp_lt_u32_e64 s[6:7], 1, v0
	s_waitcnt vmcnt(0)
	ds_write_b32 v122, v125
	s_waitcnt lgkmcnt(0)
	; wave barrier
	s_waitcnt lgkmcnt(0)
	s_and_saveexec_b64 s[10:11], s[6:7]
	s_cbranch_execz .LBB59_576
; %bb.567:
	s_andn2_b64 vcc, exec, s[8:9]
	s_cbranch_vccnz .LBB59_569
; %bb.568:
	buffer_load_dword v125, v123, s[0:3], 0 offen
	ds_read_b32 v126, v122
	s_waitcnt vmcnt(0) lgkmcnt(0)
	v_mul_f32_e32 v125, v125, v126
	s_cbranch_execz .LBB59_570
	s_branch .LBB59_571
.LBB59_569:
                                        ; implicit-def: $vgpr125
.LBB59_570:
	ds_read_b32 v125, v122
.LBB59_571:
	s_and_saveexec_b64 s[12:13], s[4:5]
	s_cbranch_execz .LBB59_575
; %bb.572:
	v_add_u32_e32 v126, -2, v0
	s_movk_i32 s14, 0xf8
	s_mov_b64 s[4:5], 0
.LBB59_573:                             ; =>This Inner Loop Header: Depth=1
	buffer_load_dword v127, v124, s[0:3], 0 offen
	v_mov_b32_e32 v128, s14
	ds_read_b32 v128, v128
	v_add_u32_e32 v126, -1, v126
	s_add_i32 s14, s14, 4
	v_cmp_eq_u32_e32 vcc, 0, v126
	v_add_u32_e32 v124, 4, v124
	s_or_b64 s[4:5], vcc, s[4:5]
	s_waitcnt vmcnt(0) lgkmcnt(0)
	v_fmac_f32_e32 v125, v127, v128
	s_andn2_b64 exec, exec, s[4:5]
	s_cbranch_execnz .LBB59_573
; %bb.574:
	s_or_b64 exec, exec, s[4:5]
.LBB59_575:
	s_or_b64 exec, exec, s[12:13]
	v_mov_b32_e32 v124, 0
	ds_read_b32 v124, v124 offset:4
	s_waitcnt lgkmcnt(0)
	v_mul_f32_e32 v124, v125, v124
	buffer_store_dword v124, off, s[0:3], 0 offset:4
.LBB59_576:
	s_or_b64 exec, exec, s[10:11]
	buffer_load_dword v124, off, s[0:3], 0
	v_cmp_ne_u32_e32 vcc, 0, v0
	s_waitcnt vmcnt(0)
	ds_write_b32 v122, v124
	s_waitcnt lgkmcnt(0)
	; wave barrier
	s_waitcnt lgkmcnt(0)
	s_and_saveexec_b64 s[4:5], vcc
	s_cbranch_execz .LBB59_586
; %bb.577:
	s_andn2_b64 vcc, exec, s[8:9]
	s_cbranch_vccnz .LBB59_579
; %bb.578:
	buffer_load_dword v124, v123, s[0:3], 0 offen
	ds_read_b32 v125, v122
	s_waitcnt vmcnt(0) lgkmcnt(0)
	v_mul_f32_e32 v124, v124, v125
	s_cbranch_execz .LBB59_580
	s_branch .LBB59_581
.LBB59_579:
                                        ; implicit-def: $vgpr124
.LBB59_580:
	ds_read_b32 v124, v122
.LBB59_581:
	s_and_saveexec_b64 s[10:11], s[6:7]
	s_cbranch_execz .LBB59_585
; %bb.582:
	v_mov_b32_e32 v125, 0
	v_or_b32_e32 v125, 4, v125
	v_add_u32_e32 v126, -1, v0
	s_movk_i32 s12, 0xf4
	s_mov_b64 s[6:7], 0
.LBB59_583:                             ; =>This Inner Loop Header: Depth=1
	buffer_load_dword v127, v125, s[0:3], 0 offen
	v_mov_b32_e32 v128, s12
	ds_read_b32 v128, v128
	v_add_u32_e32 v126, -1, v126
	s_add_i32 s12, s12, 4
	v_cmp_eq_u32_e32 vcc, 0, v126
	v_add_u32_e32 v125, 4, v125
	s_or_b64 s[6:7], vcc, s[6:7]
	s_waitcnt vmcnt(0) lgkmcnt(0)
	v_fmac_f32_e32 v124, v127, v128
	s_andn2_b64 exec, exec, s[6:7]
	s_cbranch_execnz .LBB59_583
; %bb.584:
	s_or_b64 exec, exec, s[6:7]
.LBB59_585:
	s_or_b64 exec, exec, s[10:11]
	v_mov_b32_e32 v125, 0
	ds_read_b32 v125, v125
	s_waitcnt lgkmcnt(0)
	v_mul_f32_e32 v124, v124, v125
	buffer_store_dword v124, off, s[0:3], 0
.LBB59_586:
	s_or_b64 exec, exec, s[4:5]
	s_mov_b64 s[4:5], 0
.LBB59_587:
	s_and_b64 vcc, exec, s[4:5]
	s_cbranch_vccz .LBB59_1171
; %bb.588:
	buffer_load_dword v124, off, s[0:3], 0 offset:4
	v_cmp_eq_u32_e64 s[6:7], 0, v0
	s_waitcnt vmcnt(0)
	ds_write_b32 v122, v124
	s_waitcnt lgkmcnt(0)
	; wave barrier
	s_waitcnt lgkmcnt(0)
	s_and_saveexec_b64 s[4:5], s[6:7]
	s_cbranch_execz .LBB59_594
; %bb.589:
	s_and_b64 vcc, exec, s[8:9]
	s_cbranch_vccz .LBB59_591
; %bb.590:
	buffer_load_dword v124, v123, s[0:3], 0 offen
	ds_read_b32 v125, v122
	s_waitcnt vmcnt(0) lgkmcnt(0)
	v_mul_f32_e32 v124, v124, v125
	s_cbranch_execz .LBB59_592
	s_branch .LBB59_593
.LBB59_591:
                                        ; implicit-def: $vgpr124
.LBB59_592:
	ds_read_b32 v124, v122
.LBB59_593:
	v_mov_b32_e32 v125, 0
	ds_read_b32 v125, v125 offset:4
	s_waitcnt lgkmcnt(0)
	v_mul_f32_e32 v124, v124, v125
	buffer_store_dword v124, off, s[0:3], 0 offset:4
.LBB59_594:
	s_or_b64 exec, exec, s[4:5]
	buffer_load_dword v124, off, s[0:3], 0 offset:8
	v_cndmask_b32_e64 v125, 0, 1, s[8:9]
	v_cmp_gt_u32_e32 vcc, 2, v0
	v_cmp_ne_u32_e64 s[4:5], 1, v125
	s_waitcnt vmcnt(0)
	ds_write_b32 v122, v124
	s_waitcnt lgkmcnt(0)
	; wave barrier
	s_waitcnt lgkmcnt(0)
	s_and_saveexec_b64 s[8:9], vcc
	s_cbranch_execz .LBB59_602
; %bb.595:
	s_and_b64 vcc, exec, s[4:5]
	s_cbranch_vccnz .LBB59_597
; %bb.596:
	buffer_load_dword v124, v123, s[0:3], 0 offen
	ds_read_b32 v125, v122
	s_waitcnt vmcnt(0) lgkmcnt(0)
	v_mul_f32_e32 v124, v124, v125
	s_cbranch_execz .LBB59_598
	s_branch .LBB59_599
.LBB59_597:
                                        ; implicit-def: $vgpr124
.LBB59_598:
	ds_read_b32 v124, v122
.LBB59_599:
	s_and_saveexec_b64 s[10:11], s[6:7]
	s_cbranch_execz .LBB59_601
; %bb.600:
	buffer_load_dword v125, v123, s[0:3], 0 offen offset:4
	ds_read_b32 v126, v122 offset:4
	s_waitcnt vmcnt(0) lgkmcnt(0)
	v_fmac_f32_e32 v124, v125, v126
.LBB59_601:
	s_or_b64 exec, exec, s[10:11]
	v_mov_b32_e32 v125, 0
	ds_read_b32 v125, v125 offset:8
	s_waitcnt lgkmcnt(0)
	v_mul_f32_e32 v124, v124, v125
	buffer_store_dword v124, off, s[0:3], 0 offset:8
.LBB59_602:
	s_or_b64 exec, exec, s[8:9]
	buffer_load_dword v124, off, s[0:3], 0 offset:12
	v_cmp_gt_u32_e32 vcc, 3, v0
	s_waitcnt vmcnt(0)
	ds_write_b32 v122, v124
	s_waitcnt lgkmcnt(0)
	; wave barrier
	s_waitcnt lgkmcnt(0)
	s_and_saveexec_b64 s[8:9], vcc
	s_cbranch_execz .LBB59_610
; %bb.603:
	s_and_b64 vcc, exec, s[4:5]
	s_cbranch_vccnz .LBB59_605
; %bb.604:
	buffer_load_dword v124, v123, s[0:3], 0 offen
	ds_read_b32 v125, v122
	s_waitcnt vmcnt(0) lgkmcnt(0)
	v_mul_f32_e32 v124, v124, v125
	s_cbranch_execz .LBB59_606
	s_branch .LBB59_607
.LBB59_605:
                                        ; implicit-def: $vgpr124
.LBB59_606:
	ds_read_b32 v124, v122
.LBB59_607:
	v_cmp_ne_u32_e32 vcc, 2, v0
	s_and_saveexec_b64 s[10:11], vcc
	s_cbranch_execz .LBB59_609
; %bb.608:
	buffer_load_dword v125, v123, s[0:3], 0 offen offset:4
	buffer_load_dword v126, off, s[0:3], 0 offset:8
	v_mov_b32_e32 v127, 0
	ds_read_b32 v128, v122 offset:4
	ds_read_b32 v127, v127 offset:248
	s_waitcnt vmcnt(1) lgkmcnt(1)
	v_fmac_f32_e32 v124, v125, v128
	s_waitcnt vmcnt(0) lgkmcnt(0)
	v_fma_f32 v125, v126, v127, v124
	v_cndmask_b32_e64 v124, v124, v125, s[6:7]
.LBB59_609:
	s_or_b64 exec, exec, s[10:11]
	v_mov_b32_e32 v125, 0
	ds_read_b32 v125, v125 offset:12
	s_waitcnt lgkmcnt(0)
	v_mul_f32_e32 v124, v124, v125
	buffer_store_dword v124, off, s[0:3], 0 offset:12
.LBB59_610:
	s_or_b64 exec, exec, s[8:9]
	buffer_load_dword v124, off, s[0:3], 0 offset:16
	v_cmp_gt_u32_e32 vcc, 4, v0
	s_waitcnt vmcnt(0)
	ds_write_b32 v122, v124
	s_waitcnt lgkmcnt(0)
	; wave barrier
	s_waitcnt lgkmcnt(0)
	s_and_saveexec_b64 s[6:7], vcc
	s_cbranch_execz .LBB59_620
; %bb.611:
	s_and_b64 vcc, exec, s[4:5]
	s_cbranch_vccnz .LBB59_613
; %bb.612:
	buffer_load_dword v124, v123, s[0:3], 0 offen
	ds_read_b32 v125, v122
	s_waitcnt vmcnt(0) lgkmcnt(0)
	v_mul_f32_e32 v124, v124, v125
	s_cbranch_execz .LBB59_614
	s_branch .LBB59_615
.LBB59_613:
                                        ; implicit-def: $vgpr124
.LBB59_614:
	ds_read_b32 v124, v122
.LBB59_615:
	v_cmp_ne_u32_e32 vcc, 3, v0
	s_and_saveexec_b64 s[8:9], vcc
	s_cbranch_execz .LBB59_619
; %bb.616:
	v_mov_b32_e32 v126, 0
	v_add_u32_e32 v125, 0xf4, v1
	v_add3_u32 v126, v1, v126, 4
	s_mov_b64 s[10:11], 0
	v_mov_b32_e32 v127, v0
.LBB59_617:                             ; =>This Inner Loop Header: Depth=1
	buffer_load_dword v128, v126, s[0:3], 0 offen
	ds_read_b32 v129, v125
	v_add_u32_e32 v127, 1, v127
	v_cmp_lt_u32_e32 vcc, 2, v127
	v_add_u32_e32 v125, 4, v125
	v_add_u32_e32 v126, 4, v126
	s_or_b64 s[10:11], vcc, s[10:11]
	s_waitcnt vmcnt(0) lgkmcnt(0)
	v_fmac_f32_e32 v124, v128, v129
	s_andn2_b64 exec, exec, s[10:11]
	s_cbranch_execnz .LBB59_617
; %bb.618:
	s_or_b64 exec, exec, s[10:11]
.LBB59_619:
	s_or_b64 exec, exec, s[8:9]
	v_mov_b32_e32 v125, 0
	ds_read_b32 v125, v125 offset:16
	s_waitcnt lgkmcnt(0)
	v_mul_f32_e32 v124, v124, v125
	buffer_store_dword v124, off, s[0:3], 0 offset:16
.LBB59_620:
	s_or_b64 exec, exec, s[6:7]
	buffer_load_dword v124, off, s[0:3], 0 offset:20
	v_cmp_gt_u32_e32 vcc, 5, v0
	s_waitcnt vmcnt(0)
	ds_write_b32 v122, v124
	s_waitcnt lgkmcnt(0)
	; wave barrier
	s_waitcnt lgkmcnt(0)
	s_and_saveexec_b64 s[6:7], vcc
	s_cbranch_execz .LBB59_630
; %bb.621:
	s_and_b64 vcc, exec, s[4:5]
	s_cbranch_vccnz .LBB59_623
; %bb.622:
	buffer_load_dword v124, v123, s[0:3], 0 offen
	ds_read_b32 v125, v122
	s_waitcnt vmcnt(0) lgkmcnt(0)
	v_mul_f32_e32 v124, v124, v125
	s_cbranch_execz .LBB59_624
	s_branch .LBB59_625
.LBB59_623:
                                        ; implicit-def: $vgpr124
.LBB59_624:
	ds_read_b32 v124, v122
.LBB59_625:
	v_cmp_ne_u32_e32 vcc, 4, v0
	s_and_saveexec_b64 s[8:9], vcc
	s_cbranch_execz .LBB59_629
; %bb.626:
	v_mov_b32_e32 v126, 0
	v_add_u32_e32 v125, 0xf4, v1
	v_add3_u32 v126, v1, v126, 4
	s_mov_b64 s[10:11], 0
	v_mov_b32_e32 v127, v0
.LBB59_627:                             ; =>This Inner Loop Header: Depth=1
	buffer_load_dword v128, v126, s[0:3], 0 offen
	ds_read_b32 v129, v125
	v_add_u32_e32 v127, 1, v127
	v_cmp_lt_u32_e32 vcc, 3, v127
	v_add_u32_e32 v125, 4, v125
	v_add_u32_e32 v126, 4, v126
	s_or_b64 s[10:11], vcc, s[10:11]
	s_waitcnt vmcnt(0) lgkmcnt(0)
	v_fmac_f32_e32 v124, v128, v129
	s_andn2_b64 exec, exec, s[10:11]
	s_cbranch_execnz .LBB59_627
; %bb.628:
	s_or_b64 exec, exec, s[10:11]
.LBB59_629:
	s_or_b64 exec, exec, s[8:9]
	v_mov_b32_e32 v125, 0
	ds_read_b32 v125, v125 offset:20
	s_waitcnt lgkmcnt(0)
	v_mul_f32_e32 v124, v124, v125
	buffer_store_dword v124, off, s[0:3], 0 offset:20
.LBB59_630:
	;; [unrolled: 56-line block ×39, first 2 shown]
	s_or_b64 exec, exec, s[6:7]
	buffer_load_dword v124, off, s[0:3], 0 offset:172
	v_cmp_gt_u32_e32 vcc, 43, v0
	s_waitcnt vmcnt(0)
	ds_write_b32 v122, v124
	s_waitcnt lgkmcnt(0)
	; wave barrier
	s_waitcnt lgkmcnt(0)
	s_and_saveexec_b64 s[6:7], vcc
	s_cbranch_execz .LBB59_1010
; %bb.1001:
	s_and_b64 vcc, exec, s[4:5]
	s_cbranch_vccnz .LBB59_1003
; %bb.1002:
	buffer_load_dword v124, v123, s[0:3], 0 offen
	ds_read_b32 v125, v122
	s_waitcnt vmcnt(0) lgkmcnt(0)
	v_mul_f32_e32 v124, v124, v125
	s_cbranch_execz .LBB59_1004
	s_branch .LBB59_1005
.LBB59_1003:
                                        ; implicit-def: $vgpr124
.LBB59_1004:
	ds_read_b32 v124, v122
.LBB59_1005:
	v_cmp_ne_u32_e32 vcc, 42, v0
	s_and_saveexec_b64 s[8:9], vcc
	s_cbranch_execz .LBB59_1009
; %bb.1006:
	v_mov_b32_e32 v126, 0
	v_add_u32_e32 v125, 0xf4, v1
	v_add3_u32 v126, v1, v126, 4
	s_mov_b64 s[10:11], 0
	v_mov_b32_e32 v127, v0
.LBB59_1007:                            ; =>This Inner Loop Header: Depth=1
	buffer_load_dword v128, v126, s[0:3], 0 offen
	ds_read_b32 v129, v125
	v_add_u32_e32 v127, 1, v127
	v_cmp_lt_u32_e32 vcc, 41, v127
	v_add_u32_e32 v125, 4, v125
	v_add_u32_e32 v126, 4, v126
	s_or_b64 s[10:11], vcc, s[10:11]
	s_waitcnt vmcnt(0) lgkmcnt(0)
	v_fmac_f32_e32 v124, v128, v129
	s_andn2_b64 exec, exec, s[10:11]
	s_cbranch_execnz .LBB59_1007
; %bb.1008:
	s_or_b64 exec, exec, s[10:11]
.LBB59_1009:
	s_or_b64 exec, exec, s[8:9]
	v_mov_b32_e32 v125, 0
	ds_read_b32 v125, v125 offset:172
	s_waitcnt lgkmcnt(0)
	v_mul_f32_e32 v124, v124, v125
	buffer_store_dword v124, off, s[0:3], 0 offset:172
.LBB59_1010:
	s_or_b64 exec, exec, s[6:7]
	buffer_load_dword v124, off, s[0:3], 0 offset:176
	v_cmp_gt_u32_e32 vcc, 44, v0
	s_waitcnt vmcnt(0)
	ds_write_b32 v122, v124
	s_waitcnt lgkmcnt(0)
	; wave barrier
	s_waitcnt lgkmcnt(0)
	s_and_saveexec_b64 s[6:7], vcc
	s_cbranch_execz .LBB59_1020
; %bb.1011:
	s_and_b64 vcc, exec, s[4:5]
	s_cbranch_vccnz .LBB59_1013
; %bb.1012:
	buffer_load_dword v124, v123, s[0:3], 0 offen
	ds_read_b32 v125, v122
	s_waitcnt vmcnt(0) lgkmcnt(0)
	v_mul_f32_e32 v124, v124, v125
	s_cbranch_execz .LBB59_1014
	s_branch .LBB59_1015
.LBB59_1013:
                                        ; implicit-def: $vgpr124
.LBB59_1014:
	ds_read_b32 v124, v122
.LBB59_1015:
	v_cmp_ne_u32_e32 vcc, 43, v0
	s_and_saveexec_b64 s[8:9], vcc
	s_cbranch_execz .LBB59_1019
; %bb.1016:
	v_mov_b32_e32 v126, 0
	v_add_u32_e32 v125, 0xf4, v1
	v_add3_u32 v126, v1, v126, 4
	s_mov_b64 s[10:11], 0
	v_mov_b32_e32 v127, v0
.LBB59_1017:                            ; =>This Inner Loop Header: Depth=1
	buffer_load_dword v128, v126, s[0:3], 0 offen
	ds_read_b32 v129, v125
	v_add_u32_e32 v127, 1, v127
	v_cmp_lt_u32_e32 vcc, 42, v127
	v_add_u32_e32 v125, 4, v125
	v_add_u32_e32 v126, 4, v126
	s_or_b64 s[10:11], vcc, s[10:11]
	s_waitcnt vmcnt(0) lgkmcnt(0)
	v_fmac_f32_e32 v124, v128, v129
	s_andn2_b64 exec, exec, s[10:11]
	s_cbranch_execnz .LBB59_1017
; %bb.1018:
	s_or_b64 exec, exec, s[10:11]
.LBB59_1019:
	s_or_b64 exec, exec, s[8:9]
	v_mov_b32_e32 v125, 0
	ds_read_b32 v125, v125 offset:176
	s_waitcnt lgkmcnt(0)
	v_mul_f32_e32 v124, v124, v125
	buffer_store_dword v124, off, s[0:3], 0 offset:176
.LBB59_1020:
	;; [unrolled: 56-line block ×15, first 2 shown]
	s_or_b64 exec, exec, s[6:7]
	buffer_load_dword v124, off, s[0:3], 0 offset:232
	v_cmp_gt_u32_e64 s[6:7], 58, v0
	s_waitcnt vmcnt(0)
	ds_write_b32 v122, v124
	s_waitcnt lgkmcnt(0)
	; wave barrier
	s_waitcnt lgkmcnt(0)
	s_and_saveexec_b64 s[8:9], s[6:7]
	s_cbranch_execz .LBB59_1160
; %bb.1151:
	s_and_b64 vcc, exec, s[4:5]
	s_cbranch_vccnz .LBB59_1153
; %bb.1152:
	buffer_load_dword v124, v123, s[0:3], 0 offen
	ds_read_b32 v125, v122
	s_waitcnt vmcnt(0) lgkmcnt(0)
	v_mul_f32_e32 v124, v124, v125
	s_cbranch_execz .LBB59_1154
	s_branch .LBB59_1155
.LBB59_1153:
                                        ; implicit-def: $vgpr124
.LBB59_1154:
	ds_read_b32 v124, v122
.LBB59_1155:
	v_cmp_ne_u32_e32 vcc, 57, v0
	s_and_saveexec_b64 s[10:11], vcc
	s_cbranch_execz .LBB59_1159
; %bb.1156:
	v_mov_b32_e32 v126, 0
	v_add_u32_e32 v125, 0xf4, v1
	v_add3_u32 v126, v1, v126, 4
	s_mov_b64 s[12:13], 0
	v_mov_b32_e32 v127, v0
.LBB59_1157:                            ; =>This Inner Loop Header: Depth=1
	buffer_load_dword v128, v126, s[0:3], 0 offen
	ds_read_b32 v129, v125
	v_add_u32_e32 v127, 1, v127
	v_cmp_lt_u32_e32 vcc, 56, v127
	v_add_u32_e32 v125, 4, v125
	v_add_u32_e32 v126, 4, v126
	s_or_b64 s[12:13], vcc, s[12:13]
	s_waitcnt vmcnt(0) lgkmcnt(0)
	v_fmac_f32_e32 v124, v128, v129
	s_andn2_b64 exec, exec, s[12:13]
	s_cbranch_execnz .LBB59_1157
; %bb.1158:
	s_or_b64 exec, exec, s[12:13]
.LBB59_1159:
	s_or_b64 exec, exec, s[10:11]
	v_mov_b32_e32 v125, 0
	ds_read_b32 v125, v125 offset:232
	s_waitcnt lgkmcnt(0)
	v_mul_f32_e32 v124, v124, v125
	buffer_store_dword v124, off, s[0:3], 0 offset:232
.LBB59_1160:
	s_or_b64 exec, exec, s[8:9]
	buffer_load_dword v124, off, s[0:3], 0 offset:236
	v_cmp_ne_u32_e32 vcc, 59, v0
	s_waitcnt vmcnt(0)
	ds_write_b32 v122, v124
	s_waitcnt lgkmcnt(0)
	; wave barrier
	s_waitcnt lgkmcnt(0)
	s_and_saveexec_b64 s[8:9], vcc
	s_cbranch_execz .LBB59_1170
; %bb.1161:
	s_and_b64 vcc, exec, s[4:5]
	s_cbranch_vccnz .LBB59_1163
; %bb.1162:
	buffer_load_dword v123, v123, s[0:3], 0 offen
	ds_read_b32 v124, v122
	s_waitcnt vmcnt(0) lgkmcnt(0)
	v_mul_f32_e32 v123, v123, v124
	s_cbranch_execz .LBB59_1164
	s_branch .LBB59_1165
.LBB59_1163:
                                        ; implicit-def: $vgpr123
.LBB59_1164:
	ds_read_b32 v123, v122
.LBB59_1165:
	s_and_saveexec_b64 s[4:5], s[6:7]
	s_cbranch_execz .LBB59_1169
; %bb.1166:
	v_mov_b32_e32 v124, 0
	v_add_u32_e32 v122, 0xf4, v1
	v_add3_u32 v1, v1, v124, 4
	s_mov_b64 s[6:7], 0
.LBB59_1167:                            ; =>This Inner Loop Header: Depth=1
	buffer_load_dword v124, v1, s[0:3], 0 offen
	ds_read_b32 v125, v122
	v_add_u32_e32 v0, 1, v0
	v_cmp_lt_u32_e32 vcc, 57, v0
	v_add_u32_e32 v122, 4, v122
	v_add_u32_e32 v1, 4, v1
	s_or_b64 s[6:7], vcc, s[6:7]
	s_waitcnt vmcnt(0) lgkmcnt(0)
	v_fmac_f32_e32 v123, v124, v125
	s_andn2_b64 exec, exec, s[6:7]
	s_cbranch_execnz .LBB59_1167
; %bb.1168:
	s_or_b64 exec, exec, s[6:7]
.LBB59_1169:
	s_or_b64 exec, exec, s[4:5]
	v_mov_b32_e32 v0, 0
	ds_read_b32 v0, v0 offset:236
	s_waitcnt lgkmcnt(0)
	v_mul_f32_e32 v0, v123, v0
	buffer_store_dword v0, off, s[0:3], 0 offset:236
.LBB59_1170:
	s_or_b64 exec, exec, s[8:9]
.LBB59_1171:
	buffer_load_dword v0, off, s[0:3], 0
	buffer_load_dword v1, off, s[0:3], 0 offset:4
	buffer_load_dword v122, off, s[0:3], 0 offset:8
	;; [unrolled: 1-line block ×39, first 2 shown]
	s_waitcnt vmcnt(39)
	global_store_dword v[2:3], v0, off
	s_waitcnt vmcnt(39)
	global_store_dword v[4:5], v1, off
	buffer_load_dword v0, off, s[0:3], 0 offset:160
	s_nop 0
	buffer_load_dword v1, off, s[0:3], 0 offset:164
	buffer_load_dword v2, off, s[0:3], 0 offset:168
	;; [unrolled: 1-line block ×7, first 2 shown]
	s_waitcnt vmcnt(47)
	global_store_dword v[6:7], v122, off
	s_waitcnt vmcnt(47)
	global_store_dword v[8:9], v123, off
	buffer_load_dword v6, off, s[0:3], 0 offset:192
	buffer_load_dword v7, off, s[0:3], 0 offset:196
	s_nop 0
	buffer_load_dword v8, off, s[0:3], 0 offset:200
	buffer_load_dword v9, off, s[0:3], 0 offset:204
	;; [unrolled: 1-line block ×6, first 2 shown]
	s_waitcnt vmcnt(55)
	global_store_dword v[10:11], v124, off
	s_waitcnt vmcnt(55)
	global_store_dword v[12:13], v125, off
	buffer_load_dword v10, off, s[0:3], 0 offset:224
	buffer_load_dword v11, off, s[0:3], 0 offset:228
	s_nop 0
	buffer_load_dword v12, off, s[0:3], 0 offset:232
	buffer_load_dword v13, off, s[0:3], 0 offset:236
	s_waitcnt vmcnt(59)
	global_store_dword v[14:15], v126, off
	s_waitcnt vmcnt(59)
	global_store_dword v[16:17], v127, off
	;; [unrolled: 2-line block ×54, first 2 shown]
.LBB59_1172:
	s_endpgm
	.section	.rodata,"a",@progbits
	.p2align	6, 0x0
	.amdhsa_kernel _ZN9rocsolver6v33100L18trti2_kernel_smallILi60EfPfEEv13rocblas_fill_17rocblas_diagonal_T1_iil
		.amdhsa_group_segment_fixed_size 480
		.amdhsa_private_segment_fixed_size 256
		.amdhsa_kernarg_size 32
		.amdhsa_user_sgpr_count 8
		.amdhsa_user_sgpr_private_segment_buffer 1
		.amdhsa_user_sgpr_dispatch_ptr 0
		.amdhsa_user_sgpr_queue_ptr 0
		.amdhsa_user_sgpr_kernarg_segment_ptr 1
		.amdhsa_user_sgpr_dispatch_id 0
		.amdhsa_user_sgpr_flat_scratch_init 1
		.amdhsa_user_sgpr_kernarg_preload_length 0
		.amdhsa_user_sgpr_kernarg_preload_offset 0
		.amdhsa_user_sgpr_private_segment_size 0
		.amdhsa_uses_dynamic_stack 0
		.amdhsa_system_sgpr_private_segment_wavefront_offset 1
		.amdhsa_system_sgpr_workgroup_id_x 1
		.amdhsa_system_sgpr_workgroup_id_y 0
		.amdhsa_system_sgpr_workgroup_id_z 0
		.amdhsa_system_sgpr_workgroup_info 0
		.amdhsa_system_vgpr_workitem_id 0
		.amdhsa_next_free_vgpr 165
		.amdhsa_next_free_sgpr 20
		.amdhsa_accum_offset 168
		.amdhsa_reserve_vcc 1
		.amdhsa_reserve_flat_scratch 0
		.amdhsa_float_round_mode_32 0
		.amdhsa_float_round_mode_16_64 0
		.amdhsa_float_denorm_mode_32 3
		.amdhsa_float_denorm_mode_16_64 3
		.amdhsa_dx10_clamp 1
		.amdhsa_ieee_mode 1
		.amdhsa_fp16_overflow 0
		.amdhsa_tg_split 0
		.amdhsa_exception_fp_ieee_invalid_op 0
		.amdhsa_exception_fp_denorm_src 0
		.amdhsa_exception_fp_ieee_div_zero 0
		.amdhsa_exception_fp_ieee_overflow 0
		.amdhsa_exception_fp_ieee_underflow 0
		.amdhsa_exception_fp_ieee_inexact 0
		.amdhsa_exception_int_div_zero 0
	.end_amdhsa_kernel
	.section	.text._ZN9rocsolver6v33100L18trti2_kernel_smallILi60EfPfEEv13rocblas_fill_17rocblas_diagonal_T1_iil,"axG",@progbits,_ZN9rocsolver6v33100L18trti2_kernel_smallILi60EfPfEEv13rocblas_fill_17rocblas_diagonal_T1_iil,comdat
.Lfunc_end59:
	.size	_ZN9rocsolver6v33100L18trti2_kernel_smallILi60EfPfEEv13rocblas_fill_17rocblas_diagonal_T1_iil, .Lfunc_end59-_ZN9rocsolver6v33100L18trti2_kernel_smallILi60EfPfEEv13rocblas_fill_17rocblas_diagonal_T1_iil
                                        ; -- End function
	.section	.AMDGPU.csdata,"",@progbits
; Kernel info:
; codeLenInByte = 29712
; NumSgprs: 24
; NumVgprs: 165
; NumAgprs: 0
; TotalNumVgprs: 165
; ScratchSize: 256
; MemoryBound: 0
; FloatMode: 240
; IeeeMode: 1
; LDSByteSize: 480 bytes/workgroup (compile time only)
; SGPRBlocks: 2
; VGPRBlocks: 20
; NumSGPRsForWavesPerEU: 24
; NumVGPRsForWavesPerEU: 165
; AccumOffset: 168
; Occupancy: 3
; WaveLimiterHint : 0
; COMPUTE_PGM_RSRC2:SCRATCH_EN: 1
; COMPUTE_PGM_RSRC2:USER_SGPR: 8
; COMPUTE_PGM_RSRC2:TRAP_HANDLER: 0
; COMPUTE_PGM_RSRC2:TGID_X_EN: 1
; COMPUTE_PGM_RSRC2:TGID_Y_EN: 0
; COMPUTE_PGM_RSRC2:TGID_Z_EN: 0
; COMPUTE_PGM_RSRC2:TIDIG_COMP_CNT: 0
; COMPUTE_PGM_RSRC3_GFX90A:ACCUM_OFFSET: 41
; COMPUTE_PGM_RSRC3_GFX90A:TG_SPLIT: 0
	.section	.text._ZN9rocsolver6v33100L18trti2_kernel_smallILi61EfPfEEv13rocblas_fill_17rocblas_diagonal_T1_iil,"axG",@progbits,_ZN9rocsolver6v33100L18trti2_kernel_smallILi61EfPfEEv13rocblas_fill_17rocblas_diagonal_T1_iil,comdat
	.globl	_ZN9rocsolver6v33100L18trti2_kernel_smallILi61EfPfEEv13rocblas_fill_17rocblas_diagonal_T1_iil ; -- Begin function _ZN9rocsolver6v33100L18trti2_kernel_smallILi61EfPfEEv13rocblas_fill_17rocblas_diagonal_T1_iil
	.p2align	8
	.type	_ZN9rocsolver6v33100L18trti2_kernel_smallILi61EfPfEEv13rocblas_fill_17rocblas_diagonal_T1_iil,@function
_ZN9rocsolver6v33100L18trti2_kernel_smallILi61EfPfEEv13rocblas_fill_17rocblas_diagonal_T1_iil: ; @_ZN9rocsolver6v33100L18trti2_kernel_smallILi61EfPfEEv13rocblas_fill_17rocblas_diagonal_T1_iil
; %bb.0:
	s_add_u32 s0, s0, s9
	s_addc_u32 s1, s1, 0
	v_cmp_gt_u32_e32 vcc, 61, v0
	s_and_saveexec_b64 s[6:7], vcc
	s_cbranch_execz .LBB60_1192
; %bb.1:
	s_load_dwordx8 s[12:19], s[4:5], 0x0
	s_ashr_i32 s6, s8, 31
	v_lshlrev_b32_e32 v1, 2, v0
	s_waitcnt lgkmcnt(0)
	s_mul_i32 s7, s8, s19
	s_mul_hi_u32 s9, s8, s18
	s_add_i32 s7, s9, s7
	s_mul_i32 s6, s6, s18
	s_add_i32 s7, s7, s6
	s_mul_i32 s6, s8, s18
	s_ashr_i32 s5, s16, 31
	s_lshl_b64 s[6:7], s[6:7], 2
	s_mov_b32 s4, s16
	s_add_u32 s6, s14, s6
	s_addc_u32 s7, s15, s7
	s_lshl_b64 s[4:5], s[4:5], 2
	s_add_u32 s4, s6, s4
	s_addc_u32 s5, s7, s5
	v_mov_b32_e32 v3, s5
	v_add_co_u32_e32 v2, vcc, s4, v1
	s_ashr_i32 s7, s17, 31
	s_mov_b32 s6, s17
	v_addc_co_u32_e32 v3, vcc, 0, v3, vcc
	s_lshl_b64 s[6:7], s[6:7], 2
	v_add_co_u32_e32 v4, vcc, s6, v2
	s_add_i32 s6, s17, s17
	v_add_u32_e32 v8, s6, v0
	v_mov_b32_e32 v5, s7
	v_ashrrev_i32_e32 v9, 31, v8
	v_addc_co_u32_e32 v5, vcc, v3, v5, vcc
	v_lshlrev_b64 v[6:7], 2, v[8:9]
	v_add_u32_e32 v10, s17, v8
	v_mov_b32_e32 v9, s5
	v_add_co_u32_e32 v6, vcc, s4, v6
	v_ashrrev_i32_e32 v11, 31, v10
	v_addc_co_u32_e32 v7, vcc, v9, v7, vcc
	v_lshlrev_b64 v[8:9], 2, v[10:11]
	v_mov_b32_e32 v11, s5
	v_add_co_u32_e32 v8, vcc, s4, v8
	v_add_u32_e32 v10, s17, v10
	v_addc_co_u32_e32 v9, vcc, v11, v9, vcc
	v_ashrrev_i32_e32 v11, 31, v10
	v_lshlrev_b64 v[12:13], 2, v[10:11]
	v_add_u32_e32 v14, s17, v10
	v_mov_b32_e32 v11, s5
	v_add_co_u32_e32 v12, vcc, s4, v12
	v_ashrrev_i32_e32 v15, 31, v14
	v_addc_co_u32_e32 v13, vcc, v11, v13, vcc
	v_lshlrev_b64 v[10:11], 2, v[14:15]
	v_add_u32_e32 v16, s17, v14
	v_mov_b32_e32 v15, s5
	v_add_co_u32_e32 v10, vcc, s4, v10
	v_ashrrev_i32_e32 v17, 31, v16
	v_addc_co_u32_e32 v11, vcc, v15, v11, vcc
	;; [unrolled: 6-line block ×12, first 2 shown]
	v_lshlrev_b64 v[34:35], 2, v[36:37]
	v_mov_b32_e32 v37, s5
	v_add_co_u32_e32 v34, vcc, s4, v34
	global_load_dword v45, v1, s[4:5]
	global_load_dword v49, v[4:5], off
	global_load_dword v47, v[6:7], off
	;; [unrolled: 1-line block ×8, first 2 shown]
	v_addc_co_u32_e32 v35, vcc, v37, v35, vcc
	global_load_dword v69, v[20:21], off
	global_load_dword v67, v[22:23], off
	;; [unrolled: 1-line block ×8, first 2 shown]
	v_add_u32_e32 v38, s17, v36
	v_ashrrev_i32_e32 v39, 31, v38
	v_lshlrev_b64 v[36:37], 2, v[38:39]
	v_add_u32_e32 v40, s17, v38
	v_mov_b32_e32 v39, s5
	v_add_co_u32_e32 v36, vcc, s4, v36
	v_ashrrev_i32_e32 v41, 31, v40
	v_addc_co_u32_e32 v37, vcc, v39, v37, vcc
	v_lshlrev_b64 v[38:39], 2, v[40:41]
	v_mov_b32_e32 v41, s5
	v_add_co_u32_e32 v38, vcc, s4, v38
	v_addc_co_u32_e32 v39, vcc, v41, v39, vcc
	global_load_dword v63, v[36:37], off
	global_load_dword v65, v[38:39], off
	v_add_u32_e32 v44, s17, v40
	v_add_u32_e32 v46, s17, v44
	v_add_u32_e32 v48, s17, v46
	v_add_u32_e32 v50, s17, v48
	v_add_u32_e32 v52, s17, v50
	v_add_u32_e32 v54, s17, v52
	v_add_u32_e32 v56, s17, v54
	v_add_u32_e32 v58, s17, v56
	v_add_u32_e32 v60, s17, v58
	v_add_u32_e32 v62, s17, v60
	v_add_u32_e32 v64, s17, v62
	v_add_u32_e32 v66, s17, v64
	v_add_u32_e32 v68, s17, v66
	v_add_u32_e32 v70, s17, v68
	v_add_u32_e32 v72, s17, v70
	v_add_u32_e32 v74, s17, v72
	v_add_u32_e32 v76, s17, v74
	v_add_u32_e32 v78, s17, v76
	v_add_u32_e32 v80, s17, v78
	v_add_u32_e32 v82, s17, v80
	v_add_u32_e32 v84, s17, v82
	v_add_u32_e32 v86, s17, v84
	v_add_u32_e32 v88, s17, v86
	v_add_u32_e32 v90, s17, v88
	v_add_u32_e32 v92, s17, v90
	v_add_u32_e32 v94, s17, v92
	v_add_u32_e32 v96, s17, v94
	v_add_u32_e32 v98, s17, v96
	v_add_u32_e32 v100, s17, v98
	v_add_u32_e32 v102, s17, v100
	v_add_u32_e32 v104, s17, v102
	v_add_u32_e32 v106, s17, v104
	v_add_u32_e32 v108, s17, v106
	v_add_u32_e32 v110, s17, v108
	v_add_u32_e32 v112, s17, v110
	v_add_u32_e32 v114, s17, v112
	v_add_u32_e32 v116, s17, v114
	v_add_u32_e32 v118, s17, v116
	v_add_u32_e32 v120, s17, v118
	v_add_u32_e32 v122, s17, v120
	v_add_u32_e32 v42, s17, v122
	v_ashrrev_i32_e32 v43, 31, v42
	v_lshlrev_b64 v[40:41], 2, v[42:43]
	v_mov_b32_e32 v43, s5
	v_add_co_u32_e32 v40, vcc, s4, v40
	v_add_u32_e32 v42, s17, v42
	v_addc_co_u32_e32 v41, vcc, v43, v41, vcc
	v_ashrrev_i32_e32 v43, 31, v42
	v_lshlrev_b64 v[42:43], 2, v[42:43]
	v_mov_b32_e32 v83, s5
	v_add_co_u32_e32 v42, vcc, s4, v42
	v_addc_co_u32_e32 v43, vcc, v83, v43, vcc
	global_load_dword v124, v[40:41], off
	global_load_dword v125, v[42:43], off
	s_waitcnt vmcnt(20)
	buffer_store_dword v45, off, s[0:3], 0
	s_waitcnt vmcnt(20)
	buffer_store_dword v49, off, s[0:3], 0 offset:4
	s_waitcnt vmcnt(19)
	buffer_store_dword v61, off, s[0:3], 0 offset:12
	buffer_store_dword v47, off, s[0:3], 0 offset:8
	s_waitcnt vmcnt(20)
	buffer_store_dword v51, off, s[0:3], 0 offset:16
	s_waitcnt vmcnt(20)
	;; [unrolled: 2-line block ×7, first 2 shown]
	buffer_store_dword v81, off, s[0:3], 0 offset:44
	buffer_store_dword v67, off, s[0:3], 0 offset:40
	s_waitcnt vmcnt(20)
	buffer_store_dword v71, off, s[0:3], 0 offset:48
	s_waitcnt vmcnt(20)
	;; [unrolled: 2-line block ×5, first 2 shown]
	buffer_store_dword v79, off, s[0:3], 0 offset:64
	v_ashrrev_i32_e32 v45, 31, v44
	v_lshlrev_b64 v[44:45], 2, v[44:45]
	v_mov_b32_e32 v47, s5
	v_add_co_u32_e32 v44, vcc, s4, v44
	v_addc_co_u32_e32 v45, vcc, v47, v45, vcc
	v_ashrrev_i32_e32 v47, 31, v46
	v_lshlrev_b64 v[46:47], 2, v[46:47]
	v_mov_b32_e32 v49, s5
	v_add_co_u32_e32 v46, vcc, s4, v46
	v_addc_co_u32_e32 v47, vcc, v49, v47, vcc
	;; [unrolled: 5-line block ×8, first 2 shown]
	v_ashrrev_i32_e32 v61, 31, v60
	v_lshlrev_b64 v[60:61], 2, v[60:61]
	global_load_dword v126, v[44:45], off
	global_load_dword v127, v[46:47], off
	;; [unrolled: 1-line block ×6, first 2 shown]
	s_waitcnt vmcnt(26)
	buffer_store_dword v63, off, s[0:3], 0 offset:68
	s_waitcnt vmcnt(26)
	buffer_store_dword v65, off, s[0:3], 0 offset:72
	v_mov_b32_e32 v63, s5
	v_add_co_u32_e32 v60, vcc, s4, v60
	v_addc_co_u32_e32 v61, vcc, v63, v61, vcc
	v_ashrrev_i32_e32 v63, 31, v62
	v_lshlrev_b64 v[62:63], 2, v[62:63]
	v_mov_b32_e32 v65, s5
	v_add_co_u32_e32 v62, vcc, s4, v62
	v_addc_co_u32_e32 v63, vcc, v65, v63, vcc
	v_ashrrev_i32_e32 v65, 31, v64
	v_lshlrev_b64 v[64:65], 2, v[64:65]
	v_mov_b32_e32 v67, s5
	v_add_co_u32_e32 v64, vcc, s4, v64
	v_addc_co_u32_e32 v65, vcc, v67, v65, vcc
	v_ashrrev_i32_e32 v67, 31, v66
	v_lshlrev_b64 v[66:67], 2, v[66:67]
	v_mov_b32_e32 v69, s5
	v_add_co_u32_e32 v66, vcc, s4, v66
	v_addc_co_u32_e32 v67, vcc, v69, v67, vcc
	v_ashrrev_i32_e32 v69, 31, v68
	v_lshlrev_b64 v[68:69], 2, v[68:69]
	v_mov_b32_e32 v71, s5
	v_add_co_u32_e32 v68, vcc, s4, v68
	v_addc_co_u32_e32 v69, vcc, v71, v69, vcc
	v_ashrrev_i32_e32 v71, 31, v70
	v_lshlrev_b64 v[70:71], 2, v[70:71]
	v_mov_b32_e32 v73, s5
	v_add_co_u32_e32 v70, vcc, s4, v70
	v_addc_co_u32_e32 v71, vcc, v73, v71, vcc
	v_ashrrev_i32_e32 v73, 31, v72
	v_lshlrev_b64 v[72:73], 2, v[72:73]
	v_mov_b32_e32 v75, s5
	v_add_co_u32_e32 v72, vcc, s4, v72
	v_addc_co_u32_e32 v73, vcc, v75, v73, vcc
	v_ashrrev_i32_e32 v75, 31, v74
	v_lshlrev_b64 v[74:75], 2, v[74:75]
	v_mov_b32_e32 v77, s5
	v_add_co_u32_e32 v74, vcc, s4, v74
	v_addc_co_u32_e32 v75, vcc, v77, v75, vcc
	v_ashrrev_i32_e32 v77, 31, v76
	v_lshlrev_b64 v[76:77], 2, v[76:77]
	v_mov_b32_e32 v79, s5
	v_add_co_u32_e32 v76, vcc, s4, v76
	v_addc_co_u32_e32 v77, vcc, v79, v77, vcc
	v_ashrrev_i32_e32 v79, 31, v78
	v_lshlrev_b64 v[78:79], 2, v[78:79]
	v_mov_b32_e32 v81, s5
	v_add_co_u32_e32 v78, vcc, s4, v78
	v_addc_co_u32_e32 v79, vcc, v81, v79, vcc
	v_ashrrev_i32_e32 v81, 31, v80
	v_lshlrev_b64 v[80:81], 2, v[80:81]
	v_add_co_u32_e32 v80, vcc, s4, v80
	v_addc_co_u32_e32 v81, vcc, v83, v81, vcc
	v_ashrrev_i32_e32 v83, 31, v82
	v_lshlrev_b64 v[82:83], 2, v[82:83]
	v_mov_b32_e32 v85, s5
	v_add_co_u32_e32 v82, vcc, s4, v82
	v_addc_co_u32_e32 v83, vcc, v85, v83, vcc
	v_ashrrev_i32_e32 v85, 31, v84
	v_lshlrev_b64 v[84:85], 2, v[84:85]
	v_mov_b32_e32 v87, s5
	;; [unrolled: 5-line block ×20, first 2 shown]
	v_add_co_u32_e32 v120, vcc, s4, v120
	global_load_dword v132, v[56:57], off
	global_load_dword v133, v[58:59], off
	;; [unrolled: 1-line block ×24, first 2 shown]
	v_addc_co_u32_e32 v121, vcc, v123, v121, vcc
	global_load_dword v157, v[104:105], off
	global_load_dword v158, v[106:107], off
	;; [unrolled: 1-line block ×7, first 2 shown]
	v_ashrrev_i32_e32 v123, 31, v122
	s_waitcnt vmcnt(38)
	buffer_store_dword v126, off, s[0:3], 0 offset:76
	global_load_dword v126, v[120:121], off
	s_nop 0
	global_load_dword v164, v[118:119], off
	v_lshlrev_b64 v[122:123], 2, v[122:123]
	v_mov_b32_e32 v154, s5
	v_add_co_u32_e32 v122, vcc, s4, v122
	v_addc_co_u32_e32 v123, vcc, v154, v123, vcc
	s_waitcnt vmcnt(39)
	buffer_store_dword v128, off, s[0:3], 0 offset:84
	global_load_dword v128, v[122:123], off
	s_cmpk_lg_i32 s13, 0x84
	buffer_store_dword v127, off, s[0:3], 0 offset:80
	v_mov_b32_e32 v154, 0
	s_waitcnt vmcnt(40)
	buffer_store_dword v130, off, s[0:3], 0 offset:92
	buffer_store_dword v129, off, s[0:3], 0 offset:88
	s_waitcnt vmcnt(38)
	buffer_store_dword v132, off, s[0:3], 0 offset:100
	buffer_store_dword v131, off, s[0:3], 0 offset:96
	;; [unrolled: 3-line block ×17, first 2 shown]
	s_waitcnt vmcnt(38)
	buffer_store_dword v126, off, s[0:3], 0 offset:228
	s_waitcnt vmcnt(38)
	buffer_store_dword v164, off, s[0:3], 0 offset:224
	buffer_store_dword v124, off, s[0:3], 0 offset:236
	s_waitcnt vmcnt(38)
	buffer_store_dword v128, off, s[0:3], 0 offset:232
	buffer_store_dword v125, off, s[0:3], 0 offset:240
	s_cselect_b64 s[10:11], -1, 0
	s_cmpk_eq_i32 s13, 0x84
	v_mov_b32_e32 v124, -1.0
	s_cbranch_scc1 .LBB60_3
; %bb.2:
	v_lshl_add_u32 v124, v0, 2, v154
	buffer_load_dword v125, v124, s[0:3], 0 offen
	s_waitcnt vmcnt(0)
	v_div_scale_f32 v126, s[4:5], v125, v125, 1.0
	v_rcp_f32_e32 v127, v126
	v_div_scale_f32 v128, vcc, 1.0, v125, 1.0
	v_fma_f32 v129, -v126, v127, 1.0
	v_fmac_f32_e32 v127, v129, v127
	v_mul_f32_e32 v129, v128, v127
	v_fma_f32 v130, -v126, v129, v128
	v_fmac_f32_e32 v129, v130, v127
	v_fma_f32 v126, -v126, v129, v128
	v_div_fmas_f32 v126, v126, v127, v129
	v_div_fixup_f32 v125, v126, v125, 1.0
	buffer_store_dword v125, v124, s[0:3], 0 offen
	v_xor_b32_e32 v124, 0x80000000, v125
.LBB60_3:
	ds_write_b32 v1, v124
	s_cmpk_eq_i32 s12, 0x79
	v_or_b32_e32 v124, 0x100, v1
	v_add_u32_e32 v125, 0, v1
	s_mov_b64 s[4:5], -1
	s_cbranch_scc1 .LBB60_597
; %bb.4:
	buffer_load_dword v126, off, s[0:3], 0 offset:236
	v_cmp_eq_u32_e64 s[4:5], 60, v0
	s_waitcnt vmcnt(0)
	ds_write_b32 v124, v126
	s_waitcnt lgkmcnt(0)
	; wave barrier
	s_waitcnt lgkmcnt(0)
	s_and_saveexec_b64 s[6:7], s[4:5]
	s_cbranch_execz .LBB60_10
; %bb.5:
	s_and_b64 vcc, exec, s[10:11]
	s_cbranch_vccz .LBB60_7
; %bb.6:
	buffer_load_dword v126, v125, s[0:3], 0 offen
	ds_read_b32 v127, v124
	s_waitcnt vmcnt(0) lgkmcnt(0)
	v_mul_f32_e32 v126, v126, v127
	s_cbranch_execz .LBB60_8
	s_branch .LBB60_9
.LBB60_7:
                                        ; implicit-def: $vgpr126
.LBB60_8:
	ds_read_b32 v126, v124
.LBB60_9:
	v_mov_b32_e32 v127, 0
	ds_read_b32 v127, v127 offset:236
	s_waitcnt lgkmcnt(0)
	v_mul_f32_e32 v126, v126, v127
	buffer_store_dword v126, off, s[0:3], 0 offset:236
.LBB60_10:
	s_or_b64 exec, exec, s[6:7]
	buffer_load_dword v155, off, s[0:3], 0 offset:232
	v_or_b32_e32 v126, 8, v154
	v_add_u32_e32 v127, 16, v154
	v_add_u32_e32 v128, 24, v154
	;; [unrolled: 1-line block ×28, first 2 shown]
	v_cmp_lt_u32_e64 s[8:9], 58, v0
	s_waitcnt vmcnt(0)
	ds_write_b32 v124, v155
	s_waitcnt lgkmcnt(0)
	; wave barrier
	s_waitcnt lgkmcnt(0)
	s_and_saveexec_b64 s[6:7], s[8:9]
	s_cbranch_execz .LBB60_16
; %bb.11:
	s_andn2_b64 vcc, exec, s[10:11]
	s_cbranch_vccnz .LBB60_13
; %bb.12:
	buffer_load_dword v155, v125, s[0:3], 0 offen
	ds_read_b32 v156, v124
	s_waitcnt vmcnt(0) lgkmcnt(0)
	v_mul_f32_e32 v155, v155, v156
	s_cbranch_execz .LBB60_14
	s_branch .LBB60_15
.LBB60_13:
                                        ; implicit-def: $vgpr155
.LBB60_14:
	ds_read_b32 v155, v124
.LBB60_15:
	buffer_load_dword v158, off, s[0:3], 0 offset:236
	v_mov_b32_e32 v156, 0
	ds_read2_b32 v[156:157], v156 offset0:58 offset1:123
	s_waitcnt vmcnt(0) lgkmcnt(0)
	v_fma_f32 v157, v158, v157, v155
	v_cndmask_b32_e64 v155, v155, v157, s[4:5]
	v_mul_f32_e32 v155, v155, v156
	buffer_store_dword v155, off, s[0:3], 0 offset:232
.LBB60_16:
	s_or_b64 exec, exec, s[6:7]
	buffer_load_dword v155, off, s[0:3], 0 offset:228
	v_cmp_lt_u32_e64 s[6:7], 57, v0
	s_waitcnt vmcnt(0)
	ds_write_b32 v124, v155
	s_waitcnt lgkmcnt(0)
	; wave barrier
	s_waitcnt lgkmcnt(0)
	s_and_saveexec_b64 s[4:5], s[6:7]
	s_cbranch_execz .LBB60_26
; %bb.17:
	s_andn2_b64 vcc, exec, s[10:11]
	s_cbranch_vccnz .LBB60_19
; %bb.18:
	buffer_load_dword v155, v125, s[0:3], 0 offen
	ds_read_b32 v156, v124
	s_waitcnt vmcnt(0) lgkmcnt(0)
	v_mul_f32_e32 v155, v155, v156
	s_cbranch_execz .LBB60_20
	s_branch .LBB60_21
.LBB60_19:
                                        ; implicit-def: $vgpr155
.LBB60_20:
	ds_read_b32 v155, v124
.LBB60_21:
	s_and_saveexec_b64 s[12:13], s[8:9]
	s_cbranch_execz .LBB60_25
; %bb.22:
	v_subrev_u32_e32 v156, 58, v0
	s_movk_i32 s14, 0x1e8
	s_mov_b64 s[8:9], 0
.LBB60_23:                              ; =>This Inner Loop Header: Depth=1
	buffer_load_dword v157, v154, s[0:3], 0 offen
	v_mov_b32_e32 v158, s14
	ds_read_b32 v158, v158
	v_add_u32_e32 v156, -1, v156
	s_add_i32 s14, s14, 4
	v_cmp_eq_u32_e32 vcc, 0, v156
	v_add_u32_e32 v154, 4, v154
	s_or_b64 s[8:9], vcc, s[8:9]
	s_waitcnt vmcnt(0) lgkmcnt(0)
	v_fmac_f32_e32 v155, v157, v158
	s_andn2_b64 exec, exec, s[8:9]
	s_cbranch_execnz .LBB60_23
; %bb.24:
	s_or_b64 exec, exec, s[8:9]
.LBB60_25:
	s_or_b64 exec, exec, s[12:13]
	v_mov_b32_e32 v154, 0
	ds_read_b32 v154, v154 offset:228
	s_waitcnt lgkmcnt(0)
	v_mul_f32_e32 v154, v155, v154
	buffer_store_dword v154, off, s[0:3], 0 offset:228
.LBB60_26:
	s_or_b64 exec, exec, s[4:5]
	buffer_load_dword v154, off, s[0:3], 0 offset:224
	v_cmp_lt_u32_e64 s[4:5], 56, v0
	s_waitcnt vmcnt(0)
	ds_write_b32 v124, v154
	s_waitcnt lgkmcnt(0)
	; wave barrier
	s_waitcnt lgkmcnt(0)
	s_and_saveexec_b64 s[8:9], s[4:5]
	s_cbranch_execz .LBB60_36
; %bb.27:
	s_andn2_b64 vcc, exec, s[10:11]
	s_cbranch_vccnz .LBB60_29
; %bb.28:
	buffer_load_dword v154, v125, s[0:3], 0 offen
	ds_read_b32 v155, v124
	s_waitcnt vmcnt(0) lgkmcnt(0)
	v_mul_f32_e32 v154, v154, v155
	s_cbranch_execz .LBB60_30
	s_branch .LBB60_31
.LBB60_29:
                                        ; implicit-def: $vgpr154
.LBB60_30:
	ds_read_b32 v154, v124
.LBB60_31:
	s_and_saveexec_b64 s[12:13], s[6:7]
	s_cbranch_execz .LBB60_35
; %bb.32:
	v_mov_b32_e32 v155, 0
	v_add_u32_e32 v155, 0xe4, v155
	v_subrev_u32_e32 v156, 57, v0
	s_movk_i32 s14, 0x1e4
	s_mov_b64 s[6:7], 0
.LBB60_33:                              ; =>This Inner Loop Header: Depth=1
	buffer_load_dword v157, v155, s[0:3], 0 offen
	v_mov_b32_e32 v158, s14
	ds_read_b32 v158, v158
	v_add_u32_e32 v156, -1, v156
	s_add_i32 s14, s14, 4
	v_cmp_eq_u32_e32 vcc, 0, v156
	v_add_u32_e32 v155, 4, v155
	s_or_b64 s[6:7], vcc, s[6:7]
	s_waitcnt vmcnt(0) lgkmcnt(0)
	v_fmac_f32_e32 v154, v157, v158
	s_andn2_b64 exec, exec, s[6:7]
	s_cbranch_execnz .LBB60_33
; %bb.34:
	s_or_b64 exec, exec, s[6:7]
.LBB60_35:
	s_or_b64 exec, exec, s[12:13]
	v_mov_b32_e32 v155, 0
	ds_read_b32 v155, v155 offset:224
	s_waitcnt lgkmcnt(0)
	v_mul_f32_e32 v154, v154, v155
	buffer_store_dword v154, off, s[0:3], 0 offset:224
.LBB60_36:
	s_or_b64 exec, exec, s[8:9]
	buffer_load_dword v154, off, s[0:3], 0 offset:220
	v_cmp_lt_u32_e64 s[6:7], 55, v0
	s_waitcnt vmcnt(0)
	ds_write_b32 v124, v154
	s_waitcnt lgkmcnt(0)
	; wave barrier
	s_waitcnt lgkmcnt(0)
	s_and_saveexec_b64 s[8:9], s[6:7]
	s_cbranch_execz .LBB60_46
; %bb.37:
	s_andn2_b64 vcc, exec, s[10:11]
	s_cbranch_vccnz .LBB60_39
; %bb.38:
	buffer_load_dword v154, v125, s[0:3], 0 offen
	ds_read_b32 v155, v124
	s_waitcnt vmcnt(0) lgkmcnt(0)
	v_mul_f32_e32 v154, v154, v155
	s_cbranch_execz .LBB60_40
	s_branch .LBB60_41
.LBB60_39:
                                        ; implicit-def: $vgpr154
.LBB60_40:
	ds_read_b32 v154, v124
.LBB60_41:
	s_and_saveexec_b64 s[12:13], s[4:5]
	s_cbranch_execz .LBB60_45
; %bb.42:
	v_subrev_u32_e32 v155, 56, v0
	s_movk_i32 s14, 0x1e0
	s_mov_b64 s[4:5], 0
.LBB60_43:                              ; =>This Inner Loop Header: Depth=1
	buffer_load_dword v156, v153, s[0:3], 0 offen
	v_mov_b32_e32 v157, s14
	ds_read_b32 v157, v157
	v_add_u32_e32 v155, -1, v155
	s_add_i32 s14, s14, 4
	v_cmp_eq_u32_e32 vcc, 0, v155
	v_add_u32_e32 v153, 4, v153
	s_or_b64 s[4:5], vcc, s[4:5]
	s_waitcnt vmcnt(0) lgkmcnt(0)
	v_fmac_f32_e32 v154, v156, v157
	s_andn2_b64 exec, exec, s[4:5]
	s_cbranch_execnz .LBB60_43
; %bb.44:
	s_or_b64 exec, exec, s[4:5]
.LBB60_45:
	s_or_b64 exec, exec, s[12:13]
	v_mov_b32_e32 v153, 0
	ds_read_b32 v153, v153 offset:220
	s_waitcnt lgkmcnt(0)
	v_mul_f32_e32 v153, v154, v153
	buffer_store_dword v153, off, s[0:3], 0 offset:220
.LBB60_46:
	s_or_b64 exec, exec, s[8:9]
	buffer_load_dword v153, off, s[0:3], 0 offset:216
	v_cmp_lt_u32_e64 s[4:5], 54, v0
	s_waitcnt vmcnt(0)
	ds_write_b32 v124, v153
	s_waitcnt lgkmcnt(0)
	; wave barrier
	s_waitcnt lgkmcnt(0)
	s_and_saveexec_b64 s[8:9], s[4:5]
	s_cbranch_execz .LBB60_56
; %bb.47:
	s_andn2_b64 vcc, exec, s[10:11]
	s_cbranch_vccnz .LBB60_49
; %bb.48:
	buffer_load_dword v153, v125, s[0:3], 0 offen
	ds_read_b32 v154, v124
	s_waitcnt vmcnt(0) lgkmcnt(0)
	v_mul_f32_e32 v153, v153, v154
	s_cbranch_execz .LBB60_50
	s_branch .LBB60_51
.LBB60_49:
                                        ; implicit-def: $vgpr153
.LBB60_50:
	ds_read_b32 v153, v124
.LBB60_51:
	s_and_saveexec_b64 s[12:13], s[6:7]
	s_cbranch_execz .LBB60_55
; %bb.52:
	v_mov_b32_e32 v154, 0
	v_add_u32_e32 v154, 0xdc, v154
	v_subrev_u32_e32 v155, 55, v0
	s_movk_i32 s14, 0x1dc
	s_mov_b64 s[6:7], 0
.LBB60_53:                              ; =>This Inner Loop Header: Depth=1
	buffer_load_dword v156, v154, s[0:3], 0 offen
	v_mov_b32_e32 v157, s14
	ds_read_b32 v157, v157
	v_add_u32_e32 v155, -1, v155
	s_add_i32 s14, s14, 4
	v_cmp_eq_u32_e32 vcc, 0, v155
	v_add_u32_e32 v154, 4, v154
	s_or_b64 s[6:7], vcc, s[6:7]
	s_waitcnt vmcnt(0) lgkmcnt(0)
	v_fmac_f32_e32 v153, v156, v157
	s_andn2_b64 exec, exec, s[6:7]
	s_cbranch_execnz .LBB60_53
; %bb.54:
	s_or_b64 exec, exec, s[6:7]
.LBB60_55:
	s_or_b64 exec, exec, s[12:13]
	v_mov_b32_e32 v154, 0
	ds_read_b32 v154, v154 offset:216
	s_waitcnt lgkmcnt(0)
	v_mul_f32_e32 v153, v153, v154
	buffer_store_dword v153, off, s[0:3], 0 offset:216
.LBB60_56:
	s_or_b64 exec, exec, s[8:9]
	buffer_load_dword v153, off, s[0:3], 0 offset:212
	v_cmp_lt_u32_e64 s[6:7], 53, v0
	s_waitcnt vmcnt(0)
	ds_write_b32 v124, v153
	s_waitcnt lgkmcnt(0)
	; wave barrier
	s_waitcnt lgkmcnt(0)
	s_and_saveexec_b64 s[8:9], s[6:7]
	s_cbranch_execz .LBB60_66
; %bb.57:
	s_andn2_b64 vcc, exec, s[10:11]
	s_cbranch_vccnz .LBB60_59
; %bb.58:
	buffer_load_dword v153, v125, s[0:3], 0 offen
	ds_read_b32 v154, v124
	s_waitcnt vmcnt(0) lgkmcnt(0)
	v_mul_f32_e32 v153, v153, v154
	s_cbranch_execz .LBB60_60
	s_branch .LBB60_61
.LBB60_59:
                                        ; implicit-def: $vgpr153
.LBB60_60:
	ds_read_b32 v153, v124
.LBB60_61:
	s_and_saveexec_b64 s[12:13], s[4:5]
	s_cbranch_execz .LBB60_65
; %bb.62:
	v_subrev_u32_e32 v154, 54, v0
	s_movk_i32 s14, 0x1d8
	s_mov_b64 s[4:5], 0
.LBB60_63:                              ; =>This Inner Loop Header: Depth=1
	buffer_load_dword v155, v152, s[0:3], 0 offen
	v_mov_b32_e32 v156, s14
	ds_read_b32 v156, v156
	v_add_u32_e32 v154, -1, v154
	s_add_i32 s14, s14, 4
	v_cmp_eq_u32_e32 vcc, 0, v154
	v_add_u32_e32 v152, 4, v152
	s_or_b64 s[4:5], vcc, s[4:5]
	s_waitcnt vmcnt(0) lgkmcnt(0)
	v_fmac_f32_e32 v153, v155, v156
	s_andn2_b64 exec, exec, s[4:5]
	s_cbranch_execnz .LBB60_63
; %bb.64:
	s_or_b64 exec, exec, s[4:5]
.LBB60_65:
	s_or_b64 exec, exec, s[12:13]
	v_mov_b32_e32 v152, 0
	ds_read_b32 v152, v152 offset:212
	s_waitcnt lgkmcnt(0)
	v_mul_f32_e32 v152, v153, v152
	buffer_store_dword v152, off, s[0:3], 0 offset:212
.LBB60_66:
	s_or_b64 exec, exec, s[8:9]
	buffer_load_dword v152, off, s[0:3], 0 offset:208
	v_cmp_lt_u32_e64 s[4:5], 52, v0
	s_waitcnt vmcnt(0)
	ds_write_b32 v124, v152
	s_waitcnt lgkmcnt(0)
	; wave barrier
	s_waitcnt lgkmcnt(0)
	s_and_saveexec_b64 s[8:9], s[4:5]
	s_cbranch_execz .LBB60_76
; %bb.67:
	s_andn2_b64 vcc, exec, s[10:11]
	s_cbranch_vccnz .LBB60_69
; %bb.68:
	buffer_load_dword v152, v125, s[0:3], 0 offen
	ds_read_b32 v153, v124
	s_waitcnt vmcnt(0) lgkmcnt(0)
	v_mul_f32_e32 v152, v152, v153
	s_cbranch_execz .LBB60_70
	s_branch .LBB60_71
.LBB60_69:
                                        ; implicit-def: $vgpr152
.LBB60_70:
	ds_read_b32 v152, v124
.LBB60_71:
	s_and_saveexec_b64 s[12:13], s[6:7]
	s_cbranch_execz .LBB60_75
; %bb.72:
	v_mov_b32_e32 v153, 0
	v_add_u32_e32 v153, 0xd4, v153
	v_subrev_u32_e32 v154, 53, v0
	s_movk_i32 s14, 0x1d4
	s_mov_b64 s[6:7], 0
.LBB60_73:                              ; =>This Inner Loop Header: Depth=1
	buffer_load_dword v155, v153, s[0:3], 0 offen
	v_mov_b32_e32 v156, s14
	ds_read_b32 v156, v156
	v_add_u32_e32 v154, -1, v154
	s_add_i32 s14, s14, 4
	v_cmp_eq_u32_e32 vcc, 0, v154
	v_add_u32_e32 v153, 4, v153
	s_or_b64 s[6:7], vcc, s[6:7]
	s_waitcnt vmcnt(0) lgkmcnt(0)
	v_fmac_f32_e32 v152, v155, v156
	s_andn2_b64 exec, exec, s[6:7]
	s_cbranch_execnz .LBB60_73
; %bb.74:
	s_or_b64 exec, exec, s[6:7]
.LBB60_75:
	s_or_b64 exec, exec, s[12:13]
	v_mov_b32_e32 v153, 0
	ds_read_b32 v153, v153 offset:208
	s_waitcnt lgkmcnt(0)
	v_mul_f32_e32 v152, v152, v153
	buffer_store_dword v152, off, s[0:3], 0 offset:208
.LBB60_76:
	s_or_b64 exec, exec, s[8:9]
	buffer_load_dword v152, off, s[0:3], 0 offset:204
	v_cmp_lt_u32_e64 s[6:7], 51, v0
	s_waitcnt vmcnt(0)
	ds_write_b32 v124, v152
	s_waitcnt lgkmcnt(0)
	; wave barrier
	s_waitcnt lgkmcnt(0)
	s_and_saveexec_b64 s[8:9], s[6:7]
	s_cbranch_execz .LBB60_86
; %bb.77:
	s_andn2_b64 vcc, exec, s[10:11]
	s_cbranch_vccnz .LBB60_79
; %bb.78:
	buffer_load_dword v152, v125, s[0:3], 0 offen
	ds_read_b32 v153, v124
	s_waitcnt vmcnt(0) lgkmcnt(0)
	v_mul_f32_e32 v152, v152, v153
	s_cbranch_execz .LBB60_80
	s_branch .LBB60_81
.LBB60_79:
                                        ; implicit-def: $vgpr152
.LBB60_80:
	ds_read_b32 v152, v124
.LBB60_81:
	s_and_saveexec_b64 s[12:13], s[4:5]
	s_cbranch_execz .LBB60_85
; %bb.82:
	v_subrev_u32_e32 v153, 52, v0
	s_movk_i32 s14, 0x1d0
	s_mov_b64 s[4:5], 0
.LBB60_83:                              ; =>This Inner Loop Header: Depth=1
	buffer_load_dword v154, v151, s[0:3], 0 offen
	v_mov_b32_e32 v155, s14
	ds_read_b32 v155, v155
	v_add_u32_e32 v153, -1, v153
	s_add_i32 s14, s14, 4
	v_cmp_eq_u32_e32 vcc, 0, v153
	v_add_u32_e32 v151, 4, v151
	s_or_b64 s[4:5], vcc, s[4:5]
	s_waitcnt vmcnt(0) lgkmcnt(0)
	v_fmac_f32_e32 v152, v154, v155
	s_andn2_b64 exec, exec, s[4:5]
	s_cbranch_execnz .LBB60_83
; %bb.84:
	s_or_b64 exec, exec, s[4:5]
.LBB60_85:
	s_or_b64 exec, exec, s[12:13]
	v_mov_b32_e32 v151, 0
	ds_read_b32 v151, v151 offset:204
	s_waitcnt lgkmcnt(0)
	v_mul_f32_e32 v151, v152, v151
	buffer_store_dword v151, off, s[0:3], 0 offset:204
.LBB60_86:
	s_or_b64 exec, exec, s[8:9]
	buffer_load_dword v151, off, s[0:3], 0 offset:200
	v_cmp_lt_u32_e64 s[4:5], 50, v0
	s_waitcnt vmcnt(0)
	ds_write_b32 v124, v151
	s_waitcnt lgkmcnt(0)
	; wave barrier
	s_waitcnt lgkmcnt(0)
	s_and_saveexec_b64 s[8:9], s[4:5]
	s_cbranch_execz .LBB60_96
; %bb.87:
	s_andn2_b64 vcc, exec, s[10:11]
	s_cbranch_vccnz .LBB60_89
; %bb.88:
	buffer_load_dword v151, v125, s[0:3], 0 offen
	ds_read_b32 v152, v124
	s_waitcnt vmcnt(0) lgkmcnt(0)
	v_mul_f32_e32 v151, v151, v152
	s_cbranch_execz .LBB60_90
	s_branch .LBB60_91
.LBB60_89:
                                        ; implicit-def: $vgpr151
.LBB60_90:
	ds_read_b32 v151, v124
.LBB60_91:
	s_and_saveexec_b64 s[12:13], s[6:7]
	s_cbranch_execz .LBB60_95
; %bb.92:
	v_mov_b32_e32 v152, 0
	v_add_u32_e32 v152, 0xcc, v152
	v_subrev_u32_e32 v153, 51, v0
	s_movk_i32 s14, 0x1cc
	s_mov_b64 s[6:7], 0
.LBB60_93:                              ; =>This Inner Loop Header: Depth=1
	buffer_load_dword v154, v152, s[0:3], 0 offen
	v_mov_b32_e32 v155, s14
	ds_read_b32 v155, v155
	v_add_u32_e32 v153, -1, v153
	s_add_i32 s14, s14, 4
	v_cmp_eq_u32_e32 vcc, 0, v153
	v_add_u32_e32 v152, 4, v152
	s_or_b64 s[6:7], vcc, s[6:7]
	s_waitcnt vmcnt(0) lgkmcnt(0)
	v_fmac_f32_e32 v151, v154, v155
	s_andn2_b64 exec, exec, s[6:7]
	s_cbranch_execnz .LBB60_93
; %bb.94:
	s_or_b64 exec, exec, s[6:7]
.LBB60_95:
	s_or_b64 exec, exec, s[12:13]
	v_mov_b32_e32 v152, 0
	ds_read_b32 v152, v152 offset:200
	s_waitcnt lgkmcnt(0)
	v_mul_f32_e32 v151, v151, v152
	buffer_store_dword v151, off, s[0:3], 0 offset:200
.LBB60_96:
	s_or_b64 exec, exec, s[8:9]
	buffer_load_dword v151, off, s[0:3], 0 offset:196
	v_cmp_lt_u32_e64 s[6:7], 49, v0
	s_waitcnt vmcnt(0)
	ds_write_b32 v124, v151
	s_waitcnt lgkmcnt(0)
	; wave barrier
	s_waitcnt lgkmcnt(0)
	s_and_saveexec_b64 s[8:9], s[6:7]
	s_cbranch_execz .LBB60_106
; %bb.97:
	s_andn2_b64 vcc, exec, s[10:11]
	s_cbranch_vccnz .LBB60_99
; %bb.98:
	buffer_load_dword v151, v125, s[0:3], 0 offen
	ds_read_b32 v152, v124
	s_waitcnt vmcnt(0) lgkmcnt(0)
	v_mul_f32_e32 v151, v151, v152
	s_cbranch_execz .LBB60_100
	s_branch .LBB60_101
.LBB60_99:
                                        ; implicit-def: $vgpr151
.LBB60_100:
	ds_read_b32 v151, v124
.LBB60_101:
	s_and_saveexec_b64 s[12:13], s[4:5]
	s_cbranch_execz .LBB60_105
; %bb.102:
	v_subrev_u32_e32 v152, 50, v0
	s_movk_i32 s14, 0x1c8
	s_mov_b64 s[4:5], 0
.LBB60_103:                             ; =>This Inner Loop Header: Depth=1
	buffer_load_dword v153, v150, s[0:3], 0 offen
	v_mov_b32_e32 v154, s14
	ds_read_b32 v154, v154
	v_add_u32_e32 v152, -1, v152
	s_add_i32 s14, s14, 4
	v_cmp_eq_u32_e32 vcc, 0, v152
	v_add_u32_e32 v150, 4, v150
	s_or_b64 s[4:5], vcc, s[4:5]
	s_waitcnt vmcnt(0) lgkmcnt(0)
	v_fmac_f32_e32 v151, v153, v154
	s_andn2_b64 exec, exec, s[4:5]
	s_cbranch_execnz .LBB60_103
; %bb.104:
	s_or_b64 exec, exec, s[4:5]
.LBB60_105:
	s_or_b64 exec, exec, s[12:13]
	v_mov_b32_e32 v150, 0
	ds_read_b32 v150, v150 offset:196
	s_waitcnt lgkmcnt(0)
	v_mul_f32_e32 v150, v151, v150
	buffer_store_dword v150, off, s[0:3], 0 offset:196
.LBB60_106:
	s_or_b64 exec, exec, s[8:9]
	buffer_load_dword v150, off, s[0:3], 0 offset:192
	v_cmp_lt_u32_e64 s[4:5], 48, v0
	s_waitcnt vmcnt(0)
	ds_write_b32 v124, v150
	s_waitcnt lgkmcnt(0)
	; wave barrier
	s_waitcnt lgkmcnt(0)
	s_and_saveexec_b64 s[8:9], s[4:5]
	s_cbranch_execz .LBB60_116
; %bb.107:
	s_andn2_b64 vcc, exec, s[10:11]
	s_cbranch_vccnz .LBB60_109
; %bb.108:
	buffer_load_dword v150, v125, s[0:3], 0 offen
	ds_read_b32 v151, v124
	s_waitcnt vmcnt(0) lgkmcnt(0)
	v_mul_f32_e32 v150, v150, v151
	s_cbranch_execz .LBB60_110
	s_branch .LBB60_111
.LBB60_109:
                                        ; implicit-def: $vgpr150
.LBB60_110:
	ds_read_b32 v150, v124
.LBB60_111:
	s_and_saveexec_b64 s[12:13], s[6:7]
	s_cbranch_execz .LBB60_115
; %bb.112:
	v_mov_b32_e32 v151, 0
	v_add_u32_e32 v151, 0xc4, v151
	v_subrev_u32_e32 v152, 49, v0
	s_movk_i32 s14, 0x1c4
	s_mov_b64 s[6:7], 0
.LBB60_113:                             ; =>This Inner Loop Header: Depth=1
	buffer_load_dword v153, v151, s[0:3], 0 offen
	v_mov_b32_e32 v154, s14
	ds_read_b32 v154, v154
	v_add_u32_e32 v152, -1, v152
	s_add_i32 s14, s14, 4
	v_cmp_eq_u32_e32 vcc, 0, v152
	v_add_u32_e32 v151, 4, v151
	s_or_b64 s[6:7], vcc, s[6:7]
	s_waitcnt vmcnt(0) lgkmcnt(0)
	v_fmac_f32_e32 v150, v153, v154
	s_andn2_b64 exec, exec, s[6:7]
	s_cbranch_execnz .LBB60_113
; %bb.114:
	s_or_b64 exec, exec, s[6:7]
.LBB60_115:
	s_or_b64 exec, exec, s[12:13]
	v_mov_b32_e32 v151, 0
	ds_read_b32 v151, v151 offset:192
	s_waitcnt lgkmcnt(0)
	v_mul_f32_e32 v150, v150, v151
	buffer_store_dword v150, off, s[0:3], 0 offset:192
.LBB60_116:
	s_or_b64 exec, exec, s[8:9]
	buffer_load_dword v150, off, s[0:3], 0 offset:188
	v_cmp_lt_u32_e64 s[6:7], 47, v0
	s_waitcnt vmcnt(0)
	ds_write_b32 v124, v150
	s_waitcnt lgkmcnt(0)
	; wave barrier
	s_waitcnt lgkmcnt(0)
	s_and_saveexec_b64 s[8:9], s[6:7]
	s_cbranch_execz .LBB60_126
; %bb.117:
	s_andn2_b64 vcc, exec, s[10:11]
	s_cbranch_vccnz .LBB60_119
; %bb.118:
	buffer_load_dword v150, v125, s[0:3], 0 offen
	ds_read_b32 v151, v124
	s_waitcnt vmcnt(0) lgkmcnt(0)
	v_mul_f32_e32 v150, v150, v151
	s_cbranch_execz .LBB60_120
	s_branch .LBB60_121
.LBB60_119:
                                        ; implicit-def: $vgpr150
.LBB60_120:
	ds_read_b32 v150, v124
.LBB60_121:
	s_and_saveexec_b64 s[12:13], s[4:5]
	s_cbranch_execz .LBB60_125
; %bb.122:
	v_subrev_u32_e32 v151, 48, v0
	s_movk_i32 s14, 0x1c0
	s_mov_b64 s[4:5], 0
.LBB60_123:                             ; =>This Inner Loop Header: Depth=1
	buffer_load_dword v152, v149, s[0:3], 0 offen
	v_mov_b32_e32 v153, s14
	ds_read_b32 v153, v153
	v_add_u32_e32 v151, -1, v151
	s_add_i32 s14, s14, 4
	v_cmp_eq_u32_e32 vcc, 0, v151
	v_add_u32_e32 v149, 4, v149
	s_or_b64 s[4:5], vcc, s[4:5]
	s_waitcnt vmcnt(0) lgkmcnt(0)
	v_fmac_f32_e32 v150, v152, v153
	s_andn2_b64 exec, exec, s[4:5]
	s_cbranch_execnz .LBB60_123
; %bb.124:
	s_or_b64 exec, exec, s[4:5]
.LBB60_125:
	s_or_b64 exec, exec, s[12:13]
	v_mov_b32_e32 v149, 0
	ds_read_b32 v149, v149 offset:188
	s_waitcnt lgkmcnt(0)
	v_mul_f32_e32 v149, v150, v149
	buffer_store_dword v149, off, s[0:3], 0 offset:188
.LBB60_126:
	s_or_b64 exec, exec, s[8:9]
	buffer_load_dword v149, off, s[0:3], 0 offset:184
	v_cmp_lt_u32_e64 s[4:5], 46, v0
	s_waitcnt vmcnt(0)
	ds_write_b32 v124, v149
	s_waitcnt lgkmcnt(0)
	; wave barrier
	s_waitcnt lgkmcnt(0)
	s_and_saveexec_b64 s[8:9], s[4:5]
	s_cbranch_execz .LBB60_136
; %bb.127:
	s_andn2_b64 vcc, exec, s[10:11]
	s_cbranch_vccnz .LBB60_129
; %bb.128:
	buffer_load_dword v149, v125, s[0:3], 0 offen
	ds_read_b32 v150, v124
	s_waitcnt vmcnt(0) lgkmcnt(0)
	v_mul_f32_e32 v149, v149, v150
	s_cbranch_execz .LBB60_130
	s_branch .LBB60_131
.LBB60_129:
                                        ; implicit-def: $vgpr149
.LBB60_130:
	ds_read_b32 v149, v124
.LBB60_131:
	s_and_saveexec_b64 s[12:13], s[6:7]
	s_cbranch_execz .LBB60_135
; %bb.132:
	v_mov_b32_e32 v150, 0
	v_add_u32_e32 v150, 0xbc, v150
	v_subrev_u32_e32 v151, 47, v0
	s_movk_i32 s14, 0x1bc
	s_mov_b64 s[6:7], 0
.LBB60_133:                             ; =>This Inner Loop Header: Depth=1
	buffer_load_dword v152, v150, s[0:3], 0 offen
	v_mov_b32_e32 v153, s14
	ds_read_b32 v153, v153
	v_add_u32_e32 v151, -1, v151
	s_add_i32 s14, s14, 4
	v_cmp_eq_u32_e32 vcc, 0, v151
	v_add_u32_e32 v150, 4, v150
	s_or_b64 s[6:7], vcc, s[6:7]
	s_waitcnt vmcnt(0) lgkmcnt(0)
	v_fmac_f32_e32 v149, v152, v153
	s_andn2_b64 exec, exec, s[6:7]
	s_cbranch_execnz .LBB60_133
; %bb.134:
	s_or_b64 exec, exec, s[6:7]
.LBB60_135:
	s_or_b64 exec, exec, s[12:13]
	v_mov_b32_e32 v150, 0
	ds_read_b32 v150, v150 offset:184
	s_waitcnt lgkmcnt(0)
	v_mul_f32_e32 v149, v149, v150
	buffer_store_dword v149, off, s[0:3], 0 offset:184
.LBB60_136:
	s_or_b64 exec, exec, s[8:9]
	buffer_load_dword v149, off, s[0:3], 0 offset:180
	v_cmp_lt_u32_e64 s[6:7], 45, v0
	s_waitcnt vmcnt(0)
	ds_write_b32 v124, v149
	s_waitcnt lgkmcnt(0)
	; wave barrier
	s_waitcnt lgkmcnt(0)
	s_and_saveexec_b64 s[8:9], s[6:7]
	s_cbranch_execz .LBB60_146
; %bb.137:
	s_andn2_b64 vcc, exec, s[10:11]
	s_cbranch_vccnz .LBB60_139
; %bb.138:
	buffer_load_dword v149, v125, s[0:3], 0 offen
	ds_read_b32 v150, v124
	s_waitcnt vmcnt(0) lgkmcnt(0)
	v_mul_f32_e32 v149, v149, v150
	s_cbranch_execz .LBB60_140
	s_branch .LBB60_141
.LBB60_139:
                                        ; implicit-def: $vgpr149
.LBB60_140:
	ds_read_b32 v149, v124
.LBB60_141:
	s_and_saveexec_b64 s[12:13], s[4:5]
	s_cbranch_execz .LBB60_145
; %bb.142:
	v_subrev_u32_e32 v150, 46, v0
	s_movk_i32 s14, 0x1b8
	s_mov_b64 s[4:5], 0
.LBB60_143:                             ; =>This Inner Loop Header: Depth=1
	buffer_load_dword v151, v148, s[0:3], 0 offen
	v_mov_b32_e32 v152, s14
	ds_read_b32 v152, v152
	v_add_u32_e32 v150, -1, v150
	s_add_i32 s14, s14, 4
	v_cmp_eq_u32_e32 vcc, 0, v150
	v_add_u32_e32 v148, 4, v148
	s_or_b64 s[4:5], vcc, s[4:5]
	s_waitcnt vmcnt(0) lgkmcnt(0)
	v_fmac_f32_e32 v149, v151, v152
	s_andn2_b64 exec, exec, s[4:5]
	s_cbranch_execnz .LBB60_143
; %bb.144:
	s_or_b64 exec, exec, s[4:5]
.LBB60_145:
	s_or_b64 exec, exec, s[12:13]
	v_mov_b32_e32 v148, 0
	ds_read_b32 v148, v148 offset:180
	s_waitcnt lgkmcnt(0)
	v_mul_f32_e32 v148, v149, v148
	buffer_store_dword v148, off, s[0:3], 0 offset:180
.LBB60_146:
	s_or_b64 exec, exec, s[8:9]
	buffer_load_dword v148, off, s[0:3], 0 offset:176
	v_cmp_lt_u32_e64 s[4:5], 44, v0
	s_waitcnt vmcnt(0)
	ds_write_b32 v124, v148
	s_waitcnt lgkmcnt(0)
	; wave barrier
	s_waitcnt lgkmcnt(0)
	s_and_saveexec_b64 s[8:9], s[4:5]
	s_cbranch_execz .LBB60_156
; %bb.147:
	s_andn2_b64 vcc, exec, s[10:11]
	s_cbranch_vccnz .LBB60_149
; %bb.148:
	buffer_load_dword v148, v125, s[0:3], 0 offen
	ds_read_b32 v149, v124
	s_waitcnt vmcnt(0) lgkmcnt(0)
	v_mul_f32_e32 v148, v148, v149
	s_cbranch_execz .LBB60_150
	s_branch .LBB60_151
.LBB60_149:
                                        ; implicit-def: $vgpr148
.LBB60_150:
	ds_read_b32 v148, v124
.LBB60_151:
	s_and_saveexec_b64 s[12:13], s[6:7]
	s_cbranch_execz .LBB60_155
; %bb.152:
	v_mov_b32_e32 v149, 0
	v_add_u32_e32 v149, 0xb4, v149
	v_subrev_u32_e32 v150, 45, v0
	s_movk_i32 s14, 0x1b4
	s_mov_b64 s[6:7], 0
.LBB60_153:                             ; =>This Inner Loop Header: Depth=1
	buffer_load_dword v151, v149, s[0:3], 0 offen
	v_mov_b32_e32 v152, s14
	ds_read_b32 v152, v152
	v_add_u32_e32 v150, -1, v150
	s_add_i32 s14, s14, 4
	v_cmp_eq_u32_e32 vcc, 0, v150
	v_add_u32_e32 v149, 4, v149
	s_or_b64 s[6:7], vcc, s[6:7]
	s_waitcnt vmcnt(0) lgkmcnt(0)
	v_fmac_f32_e32 v148, v151, v152
	s_andn2_b64 exec, exec, s[6:7]
	s_cbranch_execnz .LBB60_153
; %bb.154:
	s_or_b64 exec, exec, s[6:7]
.LBB60_155:
	s_or_b64 exec, exec, s[12:13]
	v_mov_b32_e32 v149, 0
	ds_read_b32 v149, v149 offset:176
	s_waitcnt lgkmcnt(0)
	v_mul_f32_e32 v148, v148, v149
	buffer_store_dword v148, off, s[0:3], 0 offset:176
.LBB60_156:
	s_or_b64 exec, exec, s[8:9]
	buffer_load_dword v148, off, s[0:3], 0 offset:172
	v_cmp_lt_u32_e64 s[6:7], 43, v0
	s_waitcnt vmcnt(0)
	ds_write_b32 v124, v148
	s_waitcnt lgkmcnt(0)
	; wave barrier
	s_waitcnt lgkmcnt(0)
	s_and_saveexec_b64 s[8:9], s[6:7]
	s_cbranch_execz .LBB60_166
; %bb.157:
	s_andn2_b64 vcc, exec, s[10:11]
	s_cbranch_vccnz .LBB60_159
; %bb.158:
	buffer_load_dword v148, v125, s[0:3], 0 offen
	ds_read_b32 v149, v124
	s_waitcnt vmcnt(0) lgkmcnt(0)
	v_mul_f32_e32 v148, v148, v149
	s_cbranch_execz .LBB60_160
	s_branch .LBB60_161
.LBB60_159:
                                        ; implicit-def: $vgpr148
.LBB60_160:
	ds_read_b32 v148, v124
.LBB60_161:
	s_and_saveexec_b64 s[12:13], s[4:5]
	s_cbranch_execz .LBB60_165
; %bb.162:
	v_subrev_u32_e32 v149, 44, v0
	s_movk_i32 s14, 0x1b0
	s_mov_b64 s[4:5], 0
.LBB60_163:                             ; =>This Inner Loop Header: Depth=1
	buffer_load_dword v150, v147, s[0:3], 0 offen
	v_mov_b32_e32 v151, s14
	ds_read_b32 v151, v151
	v_add_u32_e32 v149, -1, v149
	s_add_i32 s14, s14, 4
	v_cmp_eq_u32_e32 vcc, 0, v149
	v_add_u32_e32 v147, 4, v147
	s_or_b64 s[4:5], vcc, s[4:5]
	s_waitcnt vmcnt(0) lgkmcnt(0)
	v_fmac_f32_e32 v148, v150, v151
	s_andn2_b64 exec, exec, s[4:5]
	s_cbranch_execnz .LBB60_163
; %bb.164:
	s_or_b64 exec, exec, s[4:5]
.LBB60_165:
	s_or_b64 exec, exec, s[12:13]
	v_mov_b32_e32 v147, 0
	ds_read_b32 v147, v147 offset:172
	s_waitcnt lgkmcnt(0)
	v_mul_f32_e32 v147, v148, v147
	buffer_store_dword v147, off, s[0:3], 0 offset:172
.LBB60_166:
	s_or_b64 exec, exec, s[8:9]
	buffer_load_dword v147, off, s[0:3], 0 offset:168
	v_cmp_lt_u32_e64 s[4:5], 42, v0
	s_waitcnt vmcnt(0)
	ds_write_b32 v124, v147
	s_waitcnt lgkmcnt(0)
	; wave barrier
	s_waitcnt lgkmcnt(0)
	s_and_saveexec_b64 s[8:9], s[4:5]
	s_cbranch_execz .LBB60_176
; %bb.167:
	s_andn2_b64 vcc, exec, s[10:11]
	s_cbranch_vccnz .LBB60_169
; %bb.168:
	buffer_load_dword v147, v125, s[0:3], 0 offen
	ds_read_b32 v148, v124
	s_waitcnt vmcnt(0) lgkmcnt(0)
	v_mul_f32_e32 v147, v147, v148
	s_cbranch_execz .LBB60_170
	s_branch .LBB60_171
.LBB60_169:
                                        ; implicit-def: $vgpr147
.LBB60_170:
	ds_read_b32 v147, v124
.LBB60_171:
	s_and_saveexec_b64 s[12:13], s[6:7]
	s_cbranch_execz .LBB60_175
; %bb.172:
	v_mov_b32_e32 v148, 0
	v_add_u32_e32 v148, 0xac, v148
	v_subrev_u32_e32 v149, 43, v0
	s_movk_i32 s14, 0x1ac
	s_mov_b64 s[6:7], 0
.LBB60_173:                             ; =>This Inner Loop Header: Depth=1
	buffer_load_dword v150, v148, s[0:3], 0 offen
	v_mov_b32_e32 v151, s14
	ds_read_b32 v151, v151
	v_add_u32_e32 v149, -1, v149
	s_add_i32 s14, s14, 4
	v_cmp_eq_u32_e32 vcc, 0, v149
	v_add_u32_e32 v148, 4, v148
	s_or_b64 s[6:7], vcc, s[6:7]
	s_waitcnt vmcnt(0) lgkmcnt(0)
	v_fmac_f32_e32 v147, v150, v151
	s_andn2_b64 exec, exec, s[6:7]
	s_cbranch_execnz .LBB60_173
; %bb.174:
	s_or_b64 exec, exec, s[6:7]
.LBB60_175:
	s_or_b64 exec, exec, s[12:13]
	v_mov_b32_e32 v148, 0
	ds_read_b32 v148, v148 offset:168
	s_waitcnt lgkmcnt(0)
	v_mul_f32_e32 v147, v147, v148
	buffer_store_dword v147, off, s[0:3], 0 offset:168
.LBB60_176:
	s_or_b64 exec, exec, s[8:9]
	buffer_load_dword v147, off, s[0:3], 0 offset:164
	v_cmp_lt_u32_e64 s[6:7], 41, v0
	s_waitcnt vmcnt(0)
	ds_write_b32 v124, v147
	s_waitcnt lgkmcnt(0)
	; wave barrier
	s_waitcnt lgkmcnt(0)
	s_and_saveexec_b64 s[8:9], s[6:7]
	s_cbranch_execz .LBB60_186
; %bb.177:
	s_andn2_b64 vcc, exec, s[10:11]
	s_cbranch_vccnz .LBB60_179
; %bb.178:
	buffer_load_dword v147, v125, s[0:3], 0 offen
	ds_read_b32 v148, v124
	s_waitcnt vmcnt(0) lgkmcnt(0)
	v_mul_f32_e32 v147, v147, v148
	s_cbranch_execz .LBB60_180
	s_branch .LBB60_181
.LBB60_179:
                                        ; implicit-def: $vgpr147
.LBB60_180:
	ds_read_b32 v147, v124
.LBB60_181:
	s_and_saveexec_b64 s[12:13], s[4:5]
	s_cbranch_execz .LBB60_185
; %bb.182:
	v_subrev_u32_e32 v148, 42, v0
	s_movk_i32 s14, 0x1a8
	s_mov_b64 s[4:5], 0
.LBB60_183:                             ; =>This Inner Loop Header: Depth=1
	buffer_load_dword v149, v146, s[0:3], 0 offen
	v_mov_b32_e32 v150, s14
	ds_read_b32 v150, v150
	v_add_u32_e32 v148, -1, v148
	s_add_i32 s14, s14, 4
	v_cmp_eq_u32_e32 vcc, 0, v148
	v_add_u32_e32 v146, 4, v146
	s_or_b64 s[4:5], vcc, s[4:5]
	s_waitcnt vmcnt(0) lgkmcnt(0)
	v_fmac_f32_e32 v147, v149, v150
	s_andn2_b64 exec, exec, s[4:5]
	s_cbranch_execnz .LBB60_183
; %bb.184:
	s_or_b64 exec, exec, s[4:5]
.LBB60_185:
	s_or_b64 exec, exec, s[12:13]
	v_mov_b32_e32 v146, 0
	ds_read_b32 v146, v146 offset:164
	s_waitcnt lgkmcnt(0)
	v_mul_f32_e32 v146, v147, v146
	buffer_store_dword v146, off, s[0:3], 0 offset:164
.LBB60_186:
	s_or_b64 exec, exec, s[8:9]
	buffer_load_dword v146, off, s[0:3], 0 offset:160
	v_cmp_lt_u32_e64 s[4:5], 40, v0
	s_waitcnt vmcnt(0)
	ds_write_b32 v124, v146
	s_waitcnt lgkmcnt(0)
	; wave barrier
	s_waitcnt lgkmcnt(0)
	s_and_saveexec_b64 s[8:9], s[4:5]
	s_cbranch_execz .LBB60_196
; %bb.187:
	s_andn2_b64 vcc, exec, s[10:11]
	s_cbranch_vccnz .LBB60_189
; %bb.188:
	buffer_load_dword v146, v125, s[0:3], 0 offen
	ds_read_b32 v147, v124
	s_waitcnt vmcnt(0) lgkmcnt(0)
	v_mul_f32_e32 v146, v146, v147
	s_cbranch_execz .LBB60_190
	s_branch .LBB60_191
.LBB60_189:
                                        ; implicit-def: $vgpr146
.LBB60_190:
	ds_read_b32 v146, v124
.LBB60_191:
	s_and_saveexec_b64 s[12:13], s[6:7]
	s_cbranch_execz .LBB60_195
; %bb.192:
	v_mov_b32_e32 v147, 0
	v_add_u32_e32 v147, 0xa4, v147
	v_subrev_u32_e32 v148, 41, v0
	s_movk_i32 s14, 0x1a4
	s_mov_b64 s[6:7], 0
.LBB60_193:                             ; =>This Inner Loop Header: Depth=1
	buffer_load_dword v149, v147, s[0:3], 0 offen
	v_mov_b32_e32 v150, s14
	ds_read_b32 v150, v150
	v_add_u32_e32 v148, -1, v148
	s_add_i32 s14, s14, 4
	v_cmp_eq_u32_e32 vcc, 0, v148
	v_add_u32_e32 v147, 4, v147
	s_or_b64 s[6:7], vcc, s[6:7]
	s_waitcnt vmcnt(0) lgkmcnt(0)
	v_fmac_f32_e32 v146, v149, v150
	s_andn2_b64 exec, exec, s[6:7]
	s_cbranch_execnz .LBB60_193
; %bb.194:
	s_or_b64 exec, exec, s[6:7]
.LBB60_195:
	s_or_b64 exec, exec, s[12:13]
	v_mov_b32_e32 v147, 0
	ds_read_b32 v147, v147 offset:160
	s_waitcnt lgkmcnt(0)
	v_mul_f32_e32 v146, v146, v147
	buffer_store_dword v146, off, s[0:3], 0 offset:160
.LBB60_196:
	s_or_b64 exec, exec, s[8:9]
	buffer_load_dword v146, off, s[0:3], 0 offset:156
	v_cmp_lt_u32_e64 s[6:7], 39, v0
	s_waitcnt vmcnt(0)
	ds_write_b32 v124, v146
	s_waitcnt lgkmcnt(0)
	; wave barrier
	s_waitcnt lgkmcnt(0)
	s_and_saveexec_b64 s[8:9], s[6:7]
	s_cbranch_execz .LBB60_206
; %bb.197:
	s_andn2_b64 vcc, exec, s[10:11]
	s_cbranch_vccnz .LBB60_199
; %bb.198:
	buffer_load_dword v146, v125, s[0:3], 0 offen
	ds_read_b32 v147, v124
	s_waitcnt vmcnt(0) lgkmcnt(0)
	v_mul_f32_e32 v146, v146, v147
	s_cbranch_execz .LBB60_200
	s_branch .LBB60_201
.LBB60_199:
                                        ; implicit-def: $vgpr146
.LBB60_200:
	ds_read_b32 v146, v124
.LBB60_201:
	s_and_saveexec_b64 s[12:13], s[4:5]
	s_cbranch_execz .LBB60_205
; %bb.202:
	v_subrev_u32_e32 v147, 40, v0
	s_movk_i32 s14, 0x1a0
	s_mov_b64 s[4:5], 0
.LBB60_203:                             ; =>This Inner Loop Header: Depth=1
	buffer_load_dword v148, v145, s[0:3], 0 offen
	v_mov_b32_e32 v149, s14
	ds_read_b32 v149, v149
	v_add_u32_e32 v147, -1, v147
	s_add_i32 s14, s14, 4
	v_cmp_eq_u32_e32 vcc, 0, v147
	v_add_u32_e32 v145, 4, v145
	s_or_b64 s[4:5], vcc, s[4:5]
	s_waitcnt vmcnt(0) lgkmcnt(0)
	v_fmac_f32_e32 v146, v148, v149
	s_andn2_b64 exec, exec, s[4:5]
	s_cbranch_execnz .LBB60_203
; %bb.204:
	s_or_b64 exec, exec, s[4:5]
.LBB60_205:
	s_or_b64 exec, exec, s[12:13]
	v_mov_b32_e32 v145, 0
	ds_read_b32 v145, v145 offset:156
	s_waitcnt lgkmcnt(0)
	v_mul_f32_e32 v145, v146, v145
	buffer_store_dword v145, off, s[0:3], 0 offset:156
.LBB60_206:
	s_or_b64 exec, exec, s[8:9]
	buffer_load_dword v145, off, s[0:3], 0 offset:152
	v_cmp_lt_u32_e64 s[4:5], 38, v0
	s_waitcnt vmcnt(0)
	ds_write_b32 v124, v145
	s_waitcnt lgkmcnt(0)
	; wave barrier
	s_waitcnt lgkmcnt(0)
	s_and_saveexec_b64 s[8:9], s[4:5]
	s_cbranch_execz .LBB60_216
; %bb.207:
	s_andn2_b64 vcc, exec, s[10:11]
	s_cbranch_vccnz .LBB60_209
; %bb.208:
	buffer_load_dword v145, v125, s[0:3], 0 offen
	ds_read_b32 v146, v124
	s_waitcnt vmcnt(0) lgkmcnt(0)
	v_mul_f32_e32 v145, v145, v146
	s_cbranch_execz .LBB60_210
	s_branch .LBB60_211
.LBB60_209:
                                        ; implicit-def: $vgpr145
.LBB60_210:
	ds_read_b32 v145, v124
.LBB60_211:
	s_and_saveexec_b64 s[12:13], s[6:7]
	s_cbranch_execz .LBB60_215
; %bb.212:
	v_mov_b32_e32 v146, 0
	v_add_u32_e32 v146, 0x9c, v146
	v_subrev_u32_e32 v147, 39, v0
	s_movk_i32 s14, 0x19c
	s_mov_b64 s[6:7], 0
.LBB60_213:                             ; =>This Inner Loop Header: Depth=1
	buffer_load_dword v148, v146, s[0:3], 0 offen
	v_mov_b32_e32 v149, s14
	ds_read_b32 v149, v149
	v_add_u32_e32 v147, -1, v147
	s_add_i32 s14, s14, 4
	v_cmp_eq_u32_e32 vcc, 0, v147
	v_add_u32_e32 v146, 4, v146
	s_or_b64 s[6:7], vcc, s[6:7]
	s_waitcnt vmcnt(0) lgkmcnt(0)
	v_fmac_f32_e32 v145, v148, v149
	s_andn2_b64 exec, exec, s[6:7]
	s_cbranch_execnz .LBB60_213
; %bb.214:
	s_or_b64 exec, exec, s[6:7]
.LBB60_215:
	s_or_b64 exec, exec, s[12:13]
	v_mov_b32_e32 v146, 0
	ds_read_b32 v146, v146 offset:152
	s_waitcnt lgkmcnt(0)
	v_mul_f32_e32 v145, v145, v146
	buffer_store_dword v145, off, s[0:3], 0 offset:152
.LBB60_216:
	s_or_b64 exec, exec, s[8:9]
	buffer_load_dword v145, off, s[0:3], 0 offset:148
	v_cmp_lt_u32_e64 s[6:7], 37, v0
	s_waitcnt vmcnt(0)
	ds_write_b32 v124, v145
	s_waitcnt lgkmcnt(0)
	; wave barrier
	s_waitcnt lgkmcnt(0)
	s_and_saveexec_b64 s[8:9], s[6:7]
	s_cbranch_execz .LBB60_226
; %bb.217:
	s_andn2_b64 vcc, exec, s[10:11]
	s_cbranch_vccnz .LBB60_219
; %bb.218:
	buffer_load_dword v145, v125, s[0:3], 0 offen
	ds_read_b32 v146, v124
	s_waitcnt vmcnt(0) lgkmcnt(0)
	v_mul_f32_e32 v145, v145, v146
	s_cbranch_execz .LBB60_220
	s_branch .LBB60_221
.LBB60_219:
                                        ; implicit-def: $vgpr145
.LBB60_220:
	ds_read_b32 v145, v124
.LBB60_221:
	s_and_saveexec_b64 s[12:13], s[4:5]
	s_cbranch_execz .LBB60_225
; %bb.222:
	v_subrev_u32_e32 v146, 38, v0
	s_movk_i32 s14, 0x198
	s_mov_b64 s[4:5], 0
.LBB60_223:                             ; =>This Inner Loop Header: Depth=1
	buffer_load_dword v147, v144, s[0:3], 0 offen
	v_mov_b32_e32 v148, s14
	ds_read_b32 v148, v148
	v_add_u32_e32 v146, -1, v146
	s_add_i32 s14, s14, 4
	v_cmp_eq_u32_e32 vcc, 0, v146
	v_add_u32_e32 v144, 4, v144
	s_or_b64 s[4:5], vcc, s[4:5]
	s_waitcnt vmcnt(0) lgkmcnt(0)
	v_fmac_f32_e32 v145, v147, v148
	s_andn2_b64 exec, exec, s[4:5]
	s_cbranch_execnz .LBB60_223
; %bb.224:
	s_or_b64 exec, exec, s[4:5]
.LBB60_225:
	s_or_b64 exec, exec, s[12:13]
	v_mov_b32_e32 v144, 0
	ds_read_b32 v144, v144 offset:148
	s_waitcnt lgkmcnt(0)
	v_mul_f32_e32 v144, v145, v144
	buffer_store_dword v144, off, s[0:3], 0 offset:148
.LBB60_226:
	s_or_b64 exec, exec, s[8:9]
	buffer_load_dword v144, off, s[0:3], 0 offset:144
	v_cmp_lt_u32_e64 s[4:5], 36, v0
	s_waitcnt vmcnt(0)
	ds_write_b32 v124, v144
	s_waitcnt lgkmcnt(0)
	; wave barrier
	s_waitcnt lgkmcnt(0)
	s_and_saveexec_b64 s[8:9], s[4:5]
	s_cbranch_execz .LBB60_236
; %bb.227:
	s_andn2_b64 vcc, exec, s[10:11]
	s_cbranch_vccnz .LBB60_229
; %bb.228:
	buffer_load_dword v144, v125, s[0:3], 0 offen
	ds_read_b32 v145, v124
	s_waitcnt vmcnt(0) lgkmcnt(0)
	v_mul_f32_e32 v144, v144, v145
	s_cbranch_execz .LBB60_230
	s_branch .LBB60_231
.LBB60_229:
                                        ; implicit-def: $vgpr144
.LBB60_230:
	ds_read_b32 v144, v124
.LBB60_231:
	s_and_saveexec_b64 s[12:13], s[6:7]
	s_cbranch_execz .LBB60_235
; %bb.232:
	v_mov_b32_e32 v145, 0
	v_add_u32_e32 v145, 0x94, v145
	v_subrev_u32_e32 v146, 37, v0
	s_movk_i32 s14, 0x194
	s_mov_b64 s[6:7], 0
.LBB60_233:                             ; =>This Inner Loop Header: Depth=1
	buffer_load_dword v147, v145, s[0:3], 0 offen
	v_mov_b32_e32 v148, s14
	ds_read_b32 v148, v148
	v_add_u32_e32 v146, -1, v146
	s_add_i32 s14, s14, 4
	v_cmp_eq_u32_e32 vcc, 0, v146
	v_add_u32_e32 v145, 4, v145
	s_or_b64 s[6:7], vcc, s[6:7]
	s_waitcnt vmcnt(0) lgkmcnt(0)
	v_fmac_f32_e32 v144, v147, v148
	s_andn2_b64 exec, exec, s[6:7]
	s_cbranch_execnz .LBB60_233
; %bb.234:
	s_or_b64 exec, exec, s[6:7]
.LBB60_235:
	s_or_b64 exec, exec, s[12:13]
	v_mov_b32_e32 v145, 0
	ds_read_b32 v145, v145 offset:144
	s_waitcnt lgkmcnt(0)
	v_mul_f32_e32 v144, v144, v145
	buffer_store_dword v144, off, s[0:3], 0 offset:144
.LBB60_236:
	s_or_b64 exec, exec, s[8:9]
	buffer_load_dword v144, off, s[0:3], 0 offset:140
	v_cmp_lt_u32_e64 s[6:7], 35, v0
	s_waitcnt vmcnt(0)
	ds_write_b32 v124, v144
	s_waitcnt lgkmcnt(0)
	; wave barrier
	s_waitcnt lgkmcnt(0)
	s_and_saveexec_b64 s[8:9], s[6:7]
	s_cbranch_execz .LBB60_246
; %bb.237:
	s_andn2_b64 vcc, exec, s[10:11]
	s_cbranch_vccnz .LBB60_239
; %bb.238:
	buffer_load_dword v144, v125, s[0:3], 0 offen
	ds_read_b32 v145, v124
	s_waitcnt vmcnt(0) lgkmcnt(0)
	v_mul_f32_e32 v144, v144, v145
	s_cbranch_execz .LBB60_240
	s_branch .LBB60_241
.LBB60_239:
                                        ; implicit-def: $vgpr144
.LBB60_240:
	ds_read_b32 v144, v124
.LBB60_241:
	s_and_saveexec_b64 s[12:13], s[4:5]
	s_cbranch_execz .LBB60_245
; %bb.242:
	v_subrev_u32_e32 v145, 36, v0
	s_movk_i32 s14, 0x190
	s_mov_b64 s[4:5], 0
.LBB60_243:                             ; =>This Inner Loop Header: Depth=1
	buffer_load_dword v146, v143, s[0:3], 0 offen
	v_mov_b32_e32 v147, s14
	ds_read_b32 v147, v147
	v_add_u32_e32 v145, -1, v145
	s_add_i32 s14, s14, 4
	v_cmp_eq_u32_e32 vcc, 0, v145
	v_add_u32_e32 v143, 4, v143
	s_or_b64 s[4:5], vcc, s[4:5]
	s_waitcnt vmcnt(0) lgkmcnt(0)
	v_fmac_f32_e32 v144, v146, v147
	s_andn2_b64 exec, exec, s[4:5]
	s_cbranch_execnz .LBB60_243
; %bb.244:
	s_or_b64 exec, exec, s[4:5]
.LBB60_245:
	s_or_b64 exec, exec, s[12:13]
	v_mov_b32_e32 v143, 0
	ds_read_b32 v143, v143 offset:140
	s_waitcnt lgkmcnt(0)
	v_mul_f32_e32 v143, v144, v143
	buffer_store_dword v143, off, s[0:3], 0 offset:140
.LBB60_246:
	s_or_b64 exec, exec, s[8:9]
	buffer_load_dword v143, off, s[0:3], 0 offset:136
	v_cmp_lt_u32_e64 s[4:5], 34, v0
	s_waitcnt vmcnt(0)
	ds_write_b32 v124, v143
	s_waitcnt lgkmcnt(0)
	; wave barrier
	s_waitcnt lgkmcnt(0)
	s_and_saveexec_b64 s[8:9], s[4:5]
	s_cbranch_execz .LBB60_256
; %bb.247:
	s_andn2_b64 vcc, exec, s[10:11]
	s_cbranch_vccnz .LBB60_249
; %bb.248:
	buffer_load_dword v143, v125, s[0:3], 0 offen
	ds_read_b32 v144, v124
	s_waitcnt vmcnt(0) lgkmcnt(0)
	v_mul_f32_e32 v143, v143, v144
	s_cbranch_execz .LBB60_250
	s_branch .LBB60_251
.LBB60_249:
                                        ; implicit-def: $vgpr143
.LBB60_250:
	ds_read_b32 v143, v124
.LBB60_251:
	s_and_saveexec_b64 s[12:13], s[6:7]
	s_cbranch_execz .LBB60_255
; %bb.252:
	v_mov_b32_e32 v144, 0
	v_add_u32_e32 v144, 0x8c, v144
	v_subrev_u32_e32 v145, 35, v0
	s_movk_i32 s14, 0x18c
	s_mov_b64 s[6:7], 0
.LBB60_253:                             ; =>This Inner Loop Header: Depth=1
	buffer_load_dword v146, v144, s[0:3], 0 offen
	v_mov_b32_e32 v147, s14
	ds_read_b32 v147, v147
	v_add_u32_e32 v145, -1, v145
	s_add_i32 s14, s14, 4
	v_cmp_eq_u32_e32 vcc, 0, v145
	v_add_u32_e32 v144, 4, v144
	s_or_b64 s[6:7], vcc, s[6:7]
	s_waitcnt vmcnt(0) lgkmcnt(0)
	v_fmac_f32_e32 v143, v146, v147
	s_andn2_b64 exec, exec, s[6:7]
	s_cbranch_execnz .LBB60_253
; %bb.254:
	s_or_b64 exec, exec, s[6:7]
.LBB60_255:
	s_or_b64 exec, exec, s[12:13]
	v_mov_b32_e32 v144, 0
	ds_read_b32 v144, v144 offset:136
	s_waitcnt lgkmcnt(0)
	v_mul_f32_e32 v143, v143, v144
	buffer_store_dword v143, off, s[0:3], 0 offset:136
.LBB60_256:
	s_or_b64 exec, exec, s[8:9]
	buffer_load_dword v143, off, s[0:3], 0 offset:132
	v_cmp_lt_u32_e64 s[6:7], 33, v0
	s_waitcnt vmcnt(0)
	ds_write_b32 v124, v143
	s_waitcnt lgkmcnt(0)
	; wave barrier
	s_waitcnt lgkmcnt(0)
	s_and_saveexec_b64 s[8:9], s[6:7]
	s_cbranch_execz .LBB60_266
; %bb.257:
	s_andn2_b64 vcc, exec, s[10:11]
	s_cbranch_vccnz .LBB60_259
; %bb.258:
	buffer_load_dword v143, v125, s[0:3], 0 offen
	ds_read_b32 v144, v124
	s_waitcnt vmcnt(0) lgkmcnt(0)
	v_mul_f32_e32 v143, v143, v144
	s_cbranch_execz .LBB60_260
	s_branch .LBB60_261
.LBB60_259:
                                        ; implicit-def: $vgpr143
.LBB60_260:
	ds_read_b32 v143, v124
.LBB60_261:
	s_and_saveexec_b64 s[12:13], s[4:5]
	s_cbranch_execz .LBB60_265
; %bb.262:
	v_subrev_u32_e32 v144, 34, v0
	s_movk_i32 s14, 0x188
	s_mov_b64 s[4:5], 0
.LBB60_263:                             ; =>This Inner Loop Header: Depth=1
	buffer_load_dword v145, v142, s[0:3], 0 offen
	v_mov_b32_e32 v146, s14
	ds_read_b32 v146, v146
	v_add_u32_e32 v144, -1, v144
	s_add_i32 s14, s14, 4
	v_cmp_eq_u32_e32 vcc, 0, v144
	v_add_u32_e32 v142, 4, v142
	s_or_b64 s[4:5], vcc, s[4:5]
	s_waitcnt vmcnt(0) lgkmcnt(0)
	v_fmac_f32_e32 v143, v145, v146
	s_andn2_b64 exec, exec, s[4:5]
	s_cbranch_execnz .LBB60_263
; %bb.264:
	s_or_b64 exec, exec, s[4:5]
.LBB60_265:
	s_or_b64 exec, exec, s[12:13]
	v_mov_b32_e32 v142, 0
	ds_read_b32 v142, v142 offset:132
	s_waitcnt lgkmcnt(0)
	v_mul_f32_e32 v142, v143, v142
	buffer_store_dword v142, off, s[0:3], 0 offset:132
.LBB60_266:
	s_or_b64 exec, exec, s[8:9]
	buffer_load_dword v142, off, s[0:3], 0 offset:128
	v_cmp_lt_u32_e64 s[4:5], 32, v0
	s_waitcnt vmcnt(0)
	ds_write_b32 v124, v142
	s_waitcnt lgkmcnt(0)
	; wave barrier
	s_waitcnt lgkmcnt(0)
	s_and_saveexec_b64 s[8:9], s[4:5]
	s_cbranch_execz .LBB60_276
; %bb.267:
	s_andn2_b64 vcc, exec, s[10:11]
	s_cbranch_vccnz .LBB60_269
; %bb.268:
	buffer_load_dword v142, v125, s[0:3], 0 offen
	ds_read_b32 v143, v124
	s_waitcnt vmcnt(0) lgkmcnt(0)
	v_mul_f32_e32 v142, v142, v143
	s_cbranch_execz .LBB60_270
	s_branch .LBB60_271
.LBB60_269:
                                        ; implicit-def: $vgpr142
.LBB60_270:
	ds_read_b32 v142, v124
.LBB60_271:
	s_and_saveexec_b64 s[12:13], s[6:7]
	s_cbranch_execz .LBB60_275
; %bb.272:
	v_mov_b32_e32 v143, 0
	v_add_u32_e32 v143, 0x84, v143
	v_subrev_u32_e32 v144, 33, v0
	s_movk_i32 s14, 0x184
	s_mov_b64 s[6:7], 0
.LBB60_273:                             ; =>This Inner Loop Header: Depth=1
	buffer_load_dword v145, v143, s[0:3], 0 offen
	v_mov_b32_e32 v146, s14
	ds_read_b32 v146, v146
	v_add_u32_e32 v144, -1, v144
	s_add_i32 s14, s14, 4
	v_cmp_eq_u32_e32 vcc, 0, v144
	v_add_u32_e32 v143, 4, v143
	s_or_b64 s[6:7], vcc, s[6:7]
	s_waitcnt vmcnt(0) lgkmcnt(0)
	v_fmac_f32_e32 v142, v145, v146
	s_andn2_b64 exec, exec, s[6:7]
	s_cbranch_execnz .LBB60_273
; %bb.274:
	s_or_b64 exec, exec, s[6:7]
.LBB60_275:
	s_or_b64 exec, exec, s[12:13]
	v_mov_b32_e32 v143, 0
	ds_read_b32 v143, v143 offset:128
	s_waitcnt lgkmcnt(0)
	v_mul_f32_e32 v142, v142, v143
	buffer_store_dword v142, off, s[0:3], 0 offset:128
.LBB60_276:
	s_or_b64 exec, exec, s[8:9]
	buffer_load_dword v142, off, s[0:3], 0 offset:124
	v_cmp_lt_u32_e64 s[6:7], 31, v0
	s_waitcnt vmcnt(0)
	ds_write_b32 v124, v142
	s_waitcnt lgkmcnt(0)
	; wave barrier
	s_waitcnt lgkmcnt(0)
	s_and_saveexec_b64 s[8:9], s[6:7]
	s_cbranch_execz .LBB60_286
; %bb.277:
	s_andn2_b64 vcc, exec, s[10:11]
	s_cbranch_vccnz .LBB60_279
; %bb.278:
	buffer_load_dword v142, v125, s[0:3], 0 offen
	ds_read_b32 v143, v124
	s_waitcnt vmcnt(0) lgkmcnt(0)
	v_mul_f32_e32 v142, v142, v143
	s_cbranch_execz .LBB60_280
	s_branch .LBB60_281
.LBB60_279:
                                        ; implicit-def: $vgpr142
.LBB60_280:
	ds_read_b32 v142, v124
.LBB60_281:
	s_and_saveexec_b64 s[12:13], s[4:5]
	s_cbranch_execz .LBB60_285
; %bb.282:
	v_subrev_u32_e32 v143, 32, v0
	s_movk_i32 s14, 0x180
	s_mov_b64 s[4:5], 0
.LBB60_283:                             ; =>This Inner Loop Header: Depth=1
	buffer_load_dword v144, v141, s[0:3], 0 offen
	v_mov_b32_e32 v145, s14
	ds_read_b32 v145, v145
	v_add_u32_e32 v143, -1, v143
	s_add_i32 s14, s14, 4
	v_cmp_eq_u32_e32 vcc, 0, v143
	v_add_u32_e32 v141, 4, v141
	s_or_b64 s[4:5], vcc, s[4:5]
	s_waitcnt vmcnt(0) lgkmcnt(0)
	v_fmac_f32_e32 v142, v144, v145
	s_andn2_b64 exec, exec, s[4:5]
	s_cbranch_execnz .LBB60_283
; %bb.284:
	s_or_b64 exec, exec, s[4:5]
.LBB60_285:
	s_or_b64 exec, exec, s[12:13]
	v_mov_b32_e32 v141, 0
	ds_read_b32 v141, v141 offset:124
	s_waitcnt lgkmcnt(0)
	v_mul_f32_e32 v141, v142, v141
	buffer_store_dword v141, off, s[0:3], 0 offset:124
.LBB60_286:
	s_or_b64 exec, exec, s[8:9]
	buffer_load_dword v141, off, s[0:3], 0 offset:120
	v_cmp_lt_u32_e64 s[4:5], 30, v0
	s_waitcnt vmcnt(0)
	ds_write_b32 v124, v141
	s_waitcnt lgkmcnt(0)
	; wave barrier
	s_waitcnt lgkmcnt(0)
	s_and_saveexec_b64 s[8:9], s[4:5]
	s_cbranch_execz .LBB60_296
; %bb.287:
	s_andn2_b64 vcc, exec, s[10:11]
	s_cbranch_vccnz .LBB60_289
; %bb.288:
	buffer_load_dword v141, v125, s[0:3], 0 offen
	ds_read_b32 v142, v124
	s_waitcnt vmcnt(0) lgkmcnt(0)
	v_mul_f32_e32 v141, v141, v142
	s_cbranch_execz .LBB60_290
	s_branch .LBB60_291
.LBB60_289:
                                        ; implicit-def: $vgpr141
.LBB60_290:
	ds_read_b32 v141, v124
.LBB60_291:
	s_and_saveexec_b64 s[12:13], s[6:7]
	s_cbranch_execz .LBB60_295
; %bb.292:
	v_mov_b32_e32 v142, 0
	v_add_u32_e32 v142, 0x7c, v142
	v_subrev_u32_e32 v143, 31, v0
	s_movk_i32 s14, 0x17c
	s_mov_b64 s[6:7], 0
.LBB60_293:                             ; =>This Inner Loop Header: Depth=1
	buffer_load_dword v144, v142, s[0:3], 0 offen
	v_mov_b32_e32 v145, s14
	ds_read_b32 v145, v145
	v_add_u32_e32 v143, -1, v143
	s_add_i32 s14, s14, 4
	v_cmp_eq_u32_e32 vcc, 0, v143
	v_add_u32_e32 v142, 4, v142
	s_or_b64 s[6:7], vcc, s[6:7]
	s_waitcnt vmcnt(0) lgkmcnt(0)
	v_fmac_f32_e32 v141, v144, v145
	s_andn2_b64 exec, exec, s[6:7]
	s_cbranch_execnz .LBB60_293
; %bb.294:
	s_or_b64 exec, exec, s[6:7]
.LBB60_295:
	s_or_b64 exec, exec, s[12:13]
	v_mov_b32_e32 v142, 0
	ds_read_b32 v142, v142 offset:120
	s_waitcnt lgkmcnt(0)
	v_mul_f32_e32 v141, v141, v142
	buffer_store_dword v141, off, s[0:3], 0 offset:120
.LBB60_296:
	s_or_b64 exec, exec, s[8:9]
	buffer_load_dword v141, off, s[0:3], 0 offset:116
	v_cmp_lt_u32_e64 s[6:7], 29, v0
	s_waitcnt vmcnt(0)
	ds_write_b32 v124, v141
	s_waitcnt lgkmcnt(0)
	; wave barrier
	s_waitcnt lgkmcnt(0)
	s_and_saveexec_b64 s[8:9], s[6:7]
	s_cbranch_execz .LBB60_306
; %bb.297:
	s_andn2_b64 vcc, exec, s[10:11]
	s_cbranch_vccnz .LBB60_299
; %bb.298:
	buffer_load_dword v141, v125, s[0:3], 0 offen
	ds_read_b32 v142, v124
	s_waitcnt vmcnt(0) lgkmcnt(0)
	v_mul_f32_e32 v141, v141, v142
	s_cbranch_execz .LBB60_300
	s_branch .LBB60_301
.LBB60_299:
                                        ; implicit-def: $vgpr141
.LBB60_300:
	ds_read_b32 v141, v124
.LBB60_301:
	s_and_saveexec_b64 s[12:13], s[4:5]
	s_cbranch_execz .LBB60_305
; %bb.302:
	v_subrev_u32_e32 v142, 30, v0
	s_movk_i32 s14, 0x178
	s_mov_b64 s[4:5], 0
.LBB60_303:                             ; =>This Inner Loop Header: Depth=1
	buffer_load_dword v143, v140, s[0:3], 0 offen
	v_mov_b32_e32 v144, s14
	ds_read_b32 v144, v144
	v_add_u32_e32 v142, -1, v142
	s_add_i32 s14, s14, 4
	v_cmp_eq_u32_e32 vcc, 0, v142
	v_add_u32_e32 v140, 4, v140
	s_or_b64 s[4:5], vcc, s[4:5]
	s_waitcnt vmcnt(0) lgkmcnt(0)
	v_fmac_f32_e32 v141, v143, v144
	s_andn2_b64 exec, exec, s[4:5]
	s_cbranch_execnz .LBB60_303
; %bb.304:
	s_or_b64 exec, exec, s[4:5]
.LBB60_305:
	s_or_b64 exec, exec, s[12:13]
	v_mov_b32_e32 v140, 0
	ds_read_b32 v140, v140 offset:116
	s_waitcnt lgkmcnt(0)
	v_mul_f32_e32 v140, v141, v140
	buffer_store_dword v140, off, s[0:3], 0 offset:116
.LBB60_306:
	s_or_b64 exec, exec, s[8:9]
	buffer_load_dword v140, off, s[0:3], 0 offset:112
	v_cmp_lt_u32_e64 s[4:5], 28, v0
	s_waitcnt vmcnt(0)
	ds_write_b32 v124, v140
	s_waitcnt lgkmcnt(0)
	; wave barrier
	s_waitcnt lgkmcnt(0)
	s_and_saveexec_b64 s[8:9], s[4:5]
	s_cbranch_execz .LBB60_316
; %bb.307:
	s_andn2_b64 vcc, exec, s[10:11]
	s_cbranch_vccnz .LBB60_309
; %bb.308:
	buffer_load_dword v140, v125, s[0:3], 0 offen
	ds_read_b32 v141, v124
	s_waitcnt vmcnt(0) lgkmcnt(0)
	v_mul_f32_e32 v140, v140, v141
	s_cbranch_execz .LBB60_310
	s_branch .LBB60_311
.LBB60_309:
                                        ; implicit-def: $vgpr140
.LBB60_310:
	ds_read_b32 v140, v124
.LBB60_311:
	s_and_saveexec_b64 s[12:13], s[6:7]
	s_cbranch_execz .LBB60_315
; %bb.312:
	v_mov_b32_e32 v141, 0
	v_add_u32_e32 v141, 0x74, v141
	v_subrev_u32_e32 v142, 29, v0
	s_movk_i32 s14, 0x174
	s_mov_b64 s[6:7], 0
.LBB60_313:                             ; =>This Inner Loop Header: Depth=1
	buffer_load_dword v143, v141, s[0:3], 0 offen
	v_mov_b32_e32 v144, s14
	ds_read_b32 v144, v144
	v_add_u32_e32 v142, -1, v142
	s_add_i32 s14, s14, 4
	v_cmp_eq_u32_e32 vcc, 0, v142
	v_add_u32_e32 v141, 4, v141
	s_or_b64 s[6:7], vcc, s[6:7]
	s_waitcnt vmcnt(0) lgkmcnt(0)
	v_fmac_f32_e32 v140, v143, v144
	s_andn2_b64 exec, exec, s[6:7]
	s_cbranch_execnz .LBB60_313
; %bb.314:
	s_or_b64 exec, exec, s[6:7]
.LBB60_315:
	s_or_b64 exec, exec, s[12:13]
	v_mov_b32_e32 v141, 0
	ds_read_b32 v141, v141 offset:112
	s_waitcnt lgkmcnt(0)
	v_mul_f32_e32 v140, v140, v141
	buffer_store_dword v140, off, s[0:3], 0 offset:112
.LBB60_316:
	s_or_b64 exec, exec, s[8:9]
	buffer_load_dword v140, off, s[0:3], 0 offset:108
	v_cmp_lt_u32_e64 s[6:7], 27, v0
	s_waitcnt vmcnt(0)
	ds_write_b32 v124, v140
	s_waitcnt lgkmcnt(0)
	; wave barrier
	s_waitcnt lgkmcnt(0)
	s_and_saveexec_b64 s[8:9], s[6:7]
	s_cbranch_execz .LBB60_326
; %bb.317:
	s_andn2_b64 vcc, exec, s[10:11]
	s_cbranch_vccnz .LBB60_319
; %bb.318:
	buffer_load_dword v140, v125, s[0:3], 0 offen
	ds_read_b32 v141, v124
	s_waitcnt vmcnt(0) lgkmcnt(0)
	v_mul_f32_e32 v140, v140, v141
	s_cbranch_execz .LBB60_320
	s_branch .LBB60_321
.LBB60_319:
                                        ; implicit-def: $vgpr140
.LBB60_320:
	ds_read_b32 v140, v124
.LBB60_321:
	s_and_saveexec_b64 s[12:13], s[4:5]
	s_cbranch_execz .LBB60_325
; %bb.322:
	v_subrev_u32_e32 v141, 28, v0
	s_movk_i32 s14, 0x170
	s_mov_b64 s[4:5], 0
.LBB60_323:                             ; =>This Inner Loop Header: Depth=1
	buffer_load_dword v142, v139, s[0:3], 0 offen
	v_mov_b32_e32 v143, s14
	ds_read_b32 v143, v143
	v_add_u32_e32 v141, -1, v141
	s_add_i32 s14, s14, 4
	v_cmp_eq_u32_e32 vcc, 0, v141
	v_add_u32_e32 v139, 4, v139
	s_or_b64 s[4:5], vcc, s[4:5]
	s_waitcnt vmcnt(0) lgkmcnt(0)
	v_fmac_f32_e32 v140, v142, v143
	s_andn2_b64 exec, exec, s[4:5]
	s_cbranch_execnz .LBB60_323
; %bb.324:
	s_or_b64 exec, exec, s[4:5]
.LBB60_325:
	s_or_b64 exec, exec, s[12:13]
	v_mov_b32_e32 v139, 0
	ds_read_b32 v139, v139 offset:108
	s_waitcnt lgkmcnt(0)
	v_mul_f32_e32 v139, v140, v139
	buffer_store_dword v139, off, s[0:3], 0 offset:108
.LBB60_326:
	s_or_b64 exec, exec, s[8:9]
	buffer_load_dword v139, off, s[0:3], 0 offset:104
	v_cmp_lt_u32_e64 s[4:5], 26, v0
	s_waitcnt vmcnt(0)
	ds_write_b32 v124, v139
	s_waitcnt lgkmcnt(0)
	; wave barrier
	s_waitcnt lgkmcnt(0)
	s_and_saveexec_b64 s[8:9], s[4:5]
	s_cbranch_execz .LBB60_336
; %bb.327:
	s_andn2_b64 vcc, exec, s[10:11]
	s_cbranch_vccnz .LBB60_329
; %bb.328:
	buffer_load_dword v139, v125, s[0:3], 0 offen
	ds_read_b32 v140, v124
	s_waitcnt vmcnt(0) lgkmcnt(0)
	v_mul_f32_e32 v139, v139, v140
	s_cbranch_execz .LBB60_330
	s_branch .LBB60_331
.LBB60_329:
                                        ; implicit-def: $vgpr139
.LBB60_330:
	ds_read_b32 v139, v124
.LBB60_331:
	s_and_saveexec_b64 s[12:13], s[6:7]
	s_cbranch_execz .LBB60_335
; %bb.332:
	v_mov_b32_e32 v140, 0
	v_add_u32_e32 v140, 0x6c, v140
	v_subrev_u32_e32 v141, 27, v0
	s_movk_i32 s14, 0x16c
	s_mov_b64 s[6:7], 0
.LBB60_333:                             ; =>This Inner Loop Header: Depth=1
	buffer_load_dword v142, v140, s[0:3], 0 offen
	v_mov_b32_e32 v143, s14
	ds_read_b32 v143, v143
	v_add_u32_e32 v141, -1, v141
	s_add_i32 s14, s14, 4
	v_cmp_eq_u32_e32 vcc, 0, v141
	v_add_u32_e32 v140, 4, v140
	s_or_b64 s[6:7], vcc, s[6:7]
	s_waitcnt vmcnt(0) lgkmcnt(0)
	v_fmac_f32_e32 v139, v142, v143
	s_andn2_b64 exec, exec, s[6:7]
	s_cbranch_execnz .LBB60_333
; %bb.334:
	s_or_b64 exec, exec, s[6:7]
.LBB60_335:
	s_or_b64 exec, exec, s[12:13]
	v_mov_b32_e32 v140, 0
	ds_read_b32 v140, v140 offset:104
	s_waitcnt lgkmcnt(0)
	v_mul_f32_e32 v139, v139, v140
	buffer_store_dword v139, off, s[0:3], 0 offset:104
.LBB60_336:
	s_or_b64 exec, exec, s[8:9]
	buffer_load_dword v139, off, s[0:3], 0 offset:100
	v_cmp_lt_u32_e64 s[6:7], 25, v0
	s_waitcnt vmcnt(0)
	ds_write_b32 v124, v139
	s_waitcnt lgkmcnt(0)
	; wave barrier
	s_waitcnt lgkmcnt(0)
	s_and_saveexec_b64 s[8:9], s[6:7]
	s_cbranch_execz .LBB60_346
; %bb.337:
	s_andn2_b64 vcc, exec, s[10:11]
	s_cbranch_vccnz .LBB60_339
; %bb.338:
	buffer_load_dword v139, v125, s[0:3], 0 offen
	ds_read_b32 v140, v124
	s_waitcnt vmcnt(0) lgkmcnt(0)
	v_mul_f32_e32 v139, v139, v140
	s_cbranch_execz .LBB60_340
	s_branch .LBB60_341
.LBB60_339:
                                        ; implicit-def: $vgpr139
.LBB60_340:
	ds_read_b32 v139, v124
.LBB60_341:
	s_and_saveexec_b64 s[12:13], s[4:5]
	s_cbranch_execz .LBB60_345
; %bb.342:
	v_subrev_u32_e32 v140, 26, v0
	s_movk_i32 s14, 0x168
	s_mov_b64 s[4:5], 0
.LBB60_343:                             ; =>This Inner Loop Header: Depth=1
	buffer_load_dword v141, v138, s[0:3], 0 offen
	v_mov_b32_e32 v142, s14
	ds_read_b32 v142, v142
	v_add_u32_e32 v140, -1, v140
	s_add_i32 s14, s14, 4
	v_cmp_eq_u32_e32 vcc, 0, v140
	v_add_u32_e32 v138, 4, v138
	s_or_b64 s[4:5], vcc, s[4:5]
	s_waitcnt vmcnt(0) lgkmcnt(0)
	v_fmac_f32_e32 v139, v141, v142
	s_andn2_b64 exec, exec, s[4:5]
	s_cbranch_execnz .LBB60_343
; %bb.344:
	s_or_b64 exec, exec, s[4:5]
.LBB60_345:
	s_or_b64 exec, exec, s[12:13]
	v_mov_b32_e32 v138, 0
	ds_read_b32 v138, v138 offset:100
	s_waitcnt lgkmcnt(0)
	v_mul_f32_e32 v138, v139, v138
	buffer_store_dword v138, off, s[0:3], 0 offset:100
.LBB60_346:
	s_or_b64 exec, exec, s[8:9]
	buffer_load_dword v138, off, s[0:3], 0 offset:96
	v_cmp_lt_u32_e64 s[4:5], 24, v0
	s_waitcnt vmcnt(0)
	ds_write_b32 v124, v138
	s_waitcnt lgkmcnt(0)
	; wave barrier
	s_waitcnt lgkmcnt(0)
	s_and_saveexec_b64 s[8:9], s[4:5]
	s_cbranch_execz .LBB60_356
; %bb.347:
	s_andn2_b64 vcc, exec, s[10:11]
	s_cbranch_vccnz .LBB60_349
; %bb.348:
	buffer_load_dword v138, v125, s[0:3], 0 offen
	ds_read_b32 v139, v124
	s_waitcnt vmcnt(0) lgkmcnt(0)
	v_mul_f32_e32 v138, v138, v139
	s_cbranch_execz .LBB60_350
	s_branch .LBB60_351
.LBB60_349:
                                        ; implicit-def: $vgpr138
.LBB60_350:
	ds_read_b32 v138, v124
.LBB60_351:
	s_and_saveexec_b64 s[12:13], s[6:7]
	s_cbranch_execz .LBB60_355
; %bb.352:
	v_mov_b32_e32 v139, 0
	v_add_u32_e32 v139, 0x64, v139
	v_subrev_u32_e32 v140, 25, v0
	s_movk_i32 s14, 0x164
	s_mov_b64 s[6:7], 0
.LBB60_353:                             ; =>This Inner Loop Header: Depth=1
	buffer_load_dword v141, v139, s[0:3], 0 offen
	v_mov_b32_e32 v142, s14
	ds_read_b32 v142, v142
	v_add_u32_e32 v140, -1, v140
	s_add_i32 s14, s14, 4
	v_cmp_eq_u32_e32 vcc, 0, v140
	v_add_u32_e32 v139, 4, v139
	s_or_b64 s[6:7], vcc, s[6:7]
	s_waitcnt vmcnt(0) lgkmcnt(0)
	v_fmac_f32_e32 v138, v141, v142
	s_andn2_b64 exec, exec, s[6:7]
	s_cbranch_execnz .LBB60_353
; %bb.354:
	s_or_b64 exec, exec, s[6:7]
.LBB60_355:
	s_or_b64 exec, exec, s[12:13]
	v_mov_b32_e32 v139, 0
	ds_read_b32 v139, v139 offset:96
	s_waitcnt lgkmcnt(0)
	v_mul_f32_e32 v138, v138, v139
	buffer_store_dword v138, off, s[0:3], 0 offset:96
.LBB60_356:
	s_or_b64 exec, exec, s[8:9]
	buffer_load_dword v138, off, s[0:3], 0 offset:92
	v_cmp_lt_u32_e64 s[6:7], 23, v0
	s_waitcnt vmcnt(0)
	ds_write_b32 v124, v138
	s_waitcnt lgkmcnt(0)
	; wave barrier
	s_waitcnt lgkmcnt(0)
	s_and_saveexec_b64 s[8:9], s[6:7]
	s_cbranch_execz .LBB60_366
; %bb.357:
	s_andn2_b64 vcc, exec, s[10:11]
	s_cbranch_vccnz .LBB60_359
; %bb.358:
	buffer_load_dword v138, v125, s[0:3], 0 offen
	ds_read_b32 v139, v124
	s_waitcnt vmcnt(0) lgkmcnt(0)
	v_mul_f32_e32 v138, v138, v139
	s_cbranch_execz .LBB60_360
	s_branch .LBB60_361
.LBB60_359:
                                        ; implicit-def: $vgpr138
.LBB60_360:
	ds_read_b32 v138, v124
.LBB60_361:
	s_and_saveexec_b64 s[12:13], s[4:5]
	s_cbranch_execz .LBB60_365
; %bb.362:
	v_subrev_u32_e32 v139, 24, v0
	s_movk_i32 s14, 0x160
	s_mov_b64 s[4:5], 0
.LBB60_363:                             ; =>This Inner Loop Header: Depth=1
	buffer_load_dword v140, v137, s[0:3], 0 offen
	v_mov_b32_e32 v141, s14
	ds_read_b32 v141, v141
	v_add_u32_e32 v139, -1, v139
	s_add_i32 s14, s14, 4
	v_cmp_eq_u32_e32 vcc, 0, v139
	v_add_u32_e32 v137, 4, v137
	s_or_b64 s[4:5], vcc, s[4:5]
	s_waitcnt vmcnt(0) lgkmcnt(0)
	v_fmac_f32_e32 v138, v140, v141
	s_andn2_b64 exec, exec, s[4:5]
	s_cbranch_execnz .LBB60_363
; %bb.364:
	s_or_b64 exec, exec, s[4:5]
.LBB60_365:
	s_or_b64 exec, exec, s[12:13]
	v_mov_b32_e32 v137, 0
	ds_read_b32 v137, v137 offset:92
	s_waitcnt lgkmcnt(0)
	v_mul_f32_e32 v137, v138, v137
	buffer_store_dword v137, off, s[0:3], 0 offset:92
.LBB60_366:
	s_or_b64 exec, exec, s[8:9]
	buffer_load_dword v137, off, s[0:3], 0 offset:88
	v_cmp_lt_u32_e64 s[4:5], 22, v0
	s_waitcnt vmcnt(0)
	ds_write_b32 v124, v137
	s_waitcnt lgkmcnt(0)
	; wave barrier
	s_waitcnt lgkmcnt(0)
	s_and_saveexec_b64 s[8:9], s[4:5]
	s_cbranch_execz .LBB60_376
; %bb.367:
	s_andn2_b64 vcc, exec, s[10:11]
	s_cbranch_vccnz .LBB60_369
; %bb.368:
	buffer_load_dword v137, v125, s[0:3], 0 offen
	ds_read_b32 v138, v124
	s_waitcnt vmcnt(0) lgkmcnt(0)
	v_mul_f32_e32 v137, v137, v138
	s_cbranch_execz .LBB60_370
	s_branch .LBB60_371
.LBB60_369:
                                        ; implicit-def: $vgpr137
.LBB60_370:
	ds_read_b32 v137, v124
.LBB60_371:
	s_and_saveexec_b64 s[12:13], s[6:7]
	s_cbranch_execz .LBB60_375
; %bb.372:
	v_mov_b32_e32 v138, 0
	v_add_u32_e32 v138, 0x5c, v138
	v_subrev_u32_e32 v139, 23, v0
	s_movk_i32 s14, 0x15c
	s_mov_b64 s[6:7], 0
.LBB60_373:                             ; =>This Inner Loop Header: Depth=1
	buffer_load_dword v140, v138, s[0:3], 0 offen
	v_mov_b32_e32 v141, s14
	ds_read_b32 v141, v141
	v_add_u32_e32 v139, -1, v139
	s_add_i32 s14, s14, 4
	v_cmp_eq_u32_e32 vcc, 0, v139
	v_add_u32_e32 v138, 4, v138
	s_or_b64 s[6:7], vcc, s[6:7]
	s_waitcnt vmcnt(0) lgkmcnt(0)
	v_fmac_f32_e32 v137, v140, v141
	s_andn2_b64 exec, exec, s[6:7]
	s_cbranch_execnz .LBB60_373
; %bb.374:
	s_or_b64 exec, exec, s[6:7]
.LBB60_375:
	s_or_b64 exec, exec, s[12:13]
	v_mov_b32_e32 v138, 0
	ds_read_b32 v138, v138 offset:88
	s_waitcnt lgkmcnt(0)
	v_mul_f32_e32 v137, v137, v138
	buffer_store_dword v137, off, s[0:3], 0 offset:88
.LBB60_376:
	s_or_b64 exec, exec, s[8:9]
	buffer_load_dword v137, off, s[0:3], 0 offset:84
	v_cmp_lt_u32_e64 s[6:7], 21, v0
	s_waitcnt vmcnt(0)
	ds_write_b32 v124, v137
	s_waitcnt lgkmcnt(0)
	; wave barrier
	s_waitcnt lgkmcnt(0)
	s_and_saveexec_b64 s[8:9], s[6:7]
	s_cbranch_execz .LBB60_386
; %bb.377:
	s_andn2_b64 vcc, exec, s[10:11]
	s_cbranch_vccnz .LBB60_379
; %bb.378:
	buffer_load_dword v137, v125, s[0:3], 0 offen
	ds_read_b32 v138, v124
	s_waitcnt vmcnt(0) lgkmcnt(0)
	v_mul_f32_e32 v137, v137, v138
	s_cbranch_execz .LBB60_380
	s_branch .LBB60_381
.LBB60_379:
                                        ; implicit-def: $vgpr137
.LBB60_380:
	ds_read_b32 v137, v124
.LBB60_381:
	s_and_saveexec_b64 s[12:13], s[4:5]
	s_cbranch_execz .LBB60_385
; %bb.382:
	v_subrev_u32_e32 v138, 22, v0
	s_movk_i32 s14, 0x158
	s_mov_b64 s[4:5], 0
.LBB60_383:                             ; =>This Inner Loop Header: Depth=1
	buffer_load_dword v139, v136, s[0:3], 0 offen
	v_mov_b32_e32 v140, s14
	ds_read_b32 v140, v140
	v_add_u32_e32 v138, -1, v138
	s_add_i32 s14, s14, 4
	v_cmp_eq_u32_e32 vcc, 0, v138
	v_add_u32_e32 v136, 4, v136
	s_or_b64 s[4:5], vcc, s[4:5]
	s_waitcnt vmcnt(0) lgkmcnt(0)
	v_fmac_f32_e32 v137, v139, v140
	s_andn2_b64 exec, exec, s[4:5]
	s_cbranch_execnz .LBB60_383
; %bb.384:
	s_or_b64 exec, exec, s[4:5]
.LBB60_385:
	s_or_b64 exec, exec, s[12:13]
	v_mov_b32_e32 v136, 0
	ds_read_b32 v136, v136 offset:84
	s_waitcnt lgkmcnt(0)
	v_mul_f32_e32 v136, v137, v136
	buffer_store_dword v136, off, s[0:3], 0 offset:84
.LBB60_386:
	s_or_b64 exec, exec, s[8:9]
	buffer_load_dword v136, off, s[0:3], 0 offset:80
	v_cmp_lt_u32_e64 s[4:5], 20, v0
	s_waitcnt vmcnt(0)
	ds_write_b32 v124, v136
	s_waitcnt lgkmcnt(0)
	; wave barrier
	s_waitcnt lgkmcnt(0)
	s_and_saveexec_b64 s[8:9], s[4:5]
	s_cbranch_execz .LBB60_396
; %bb.387:
	s_andn2_b64 vcc, exec, s[10:11]
	s_cbranch_vccnz .LBB60_389
; %bb.388:
	buffer_load_dword v136, v125, s[0:3], 0 offen
	ds_read_b32 v137, v124
	s_waitcnt vmcnt(0) lgkmcnt(0)
	v_mul_f32_e32 v136, v136, v137
	s_cbranch_execz .LBB60_390
	s_branch .LBB60_391
.LBB60_389:
                                        ; implicit-def: $vgpr136
.LBB60_390:
	ds_read_b32 v136, v124
.LBB60_391:
	s_and_saveexec_b64 s[12:13], s[6:7]
	s_cbranch_execz .LBB60_395
; %bb.392:
	v_mov_b32_e32 v137, 0
	v_add_u32_e32 v137, 0x54, v137
	v_subrev_u32_e32 v138, 21, v0
	s_movk_i32 s14, 0x154
	s_mov_b64 s[6:7], 0
.LBB60_393:                             ; =>This Inner Loop Header: Depth=1
	buffer_load_dword v139, v137, s[0:3], 0 offen
	v_mov_b32_e32 v140, s14
	ds_read_b32 v140, v140
	v_add_u32_e32 v138, -1, v138
	s_add_i32 s14, s14, 4
	v_cmp_eq_u32_e32 vcc, 0, v138
	v_add_u32_e32 v137, 4, v137
	s_or_b64 s[6:7], vcc, s[6:7]
	s_waitcnt vmcnt(0) lgkmcnt(0)
	v_fmac_f32_e32 v136, v139, v140
	s_andn2_b64 exec, exec, s[6:7]
	s_cbranch_execnz .LBB60_393
; %bb.394:
	s_or_b64 exec, exec, s[6:7]
.LBB60_395:
	s_or_b64 exec, exec, s[12:13]
	v_mov_b32_e32 v137, 0
	ds_read_b32 v137, v137 offset:80
	s_waitcnt lgkmcnt(0)
	v_mul_f32_e32 v136, v136, v137
	buffer_store_dword v136, off, s[0:3], 0 offset:80
.LBB60_396:
	s_or_b64 exec, exec, s[8:9]
	buffer_load_dword v136, off, s[0:3], 0 offset:76
	v_cmp_lt_u32_e64 s[6:7], 19, v0
	s_waitcnt vmcnt(0)
	ds_write_b32 v124, v136
	s_waitcnt lgkmcnt(0)
	; wave barrier
	s_waitcnt lgkmcnt(0)
	s_and_saveexec_b64 s[8:9], s[6:7]
	s_cbranch_execz .LBB60_406
; %bb.397:
	s_andn2_b64 vcc, exec, s[10:11]
	s_cbranch_vccnz .LBB60_399
; %bb.398:
	buffer_load_dword v136, v125, s[0:3], 0 offen
	ds_read_b32 v137, v124
	s_waitcnt vmcnt(0) lgkmcnt(0)
	v_mul_f32_e32 v136, v136, v137
	s_cbranch_execz .LBB60_400
	s_branch .LBB60_401
.LBB60_399:
                                        ; implicit-def: $vgpr136
.LBB60_400:
	ds_read_b32 v136, v124
.LBB60_401:
	s_and_saveexec_b64 s[12:13], s[4:5]
	s_cbranch_execz .LBB60_405
; %bb.402:
	v_subrev_u32_e32 v137, 20, v0
	s_movk_i32 s14, 0x150
	s_mov_b64 s[4:5], 0
.LBB60_403:                             ; =>This Inner Loop Header: Depth=1
	buffer_load_dword v138, v135, s[0:3], 0 offen
	v_mov_b32_e32 v139, s14
	ds_read_b32 v139, v139
	v_add_u32_e32 v137, -1, v137
	s_add_i32 s14, s14, 4
	v_cmp_eq_u32_e32 vcc, 0, v137
	v_add_u32_e32 v135, 4, v135
	s_or_b64 s[4:5], vcc, s[4:5]
	s_waitcnt vmcnt(0) lgkmcnt(0)
	v_fmac_f32_e32 v136, v138, v139
	s_andn2_b64 exec, exec, s[4:5]
	s_cbranch_execnz .LBB60_403
; %bb.404:
	s_or_b64 exec, exec, s[4:5]
.LBB60_405:
	s_or_b64 exec, exec, s[12:13]
	v_mov_b32_e32 v135, 0
	ds_read_b32 v135, v135 offset:76
	s_waitcnt lgkmcnt(0)
	v_mul_f32_e32 v135, v136, v135
	buffer_store_dword v135, off, s[0:3], 0 offset:76
.LBB60_406:
	s_or_b64 exec, exec, s[8:9]
	buffer_load_dword v135, off, s[0:3], 0 offset:72
	v_cmp_lt_u32_e64 s[4:5], 18, v0
	s_waitcnt vmcnt(0)
	ds_write_b32 v124, v135
	s_waitcnt lgkmcnt(0)
	; wave barrier
	s_waitcnt lgkmcnt(0)
	s_and_saveexec_b64 s[8:9], s[4:5]
	s_cbranch_execz .LBB60_416
; %bb.407:
	s_andn2_b64 vcc, exec, s[10:11]
	s_cbranch_vccnz .LBB60_409
; %bb.408:
	buffer_load_dword v135, v125, s[0:3], 0 offen
	ds_read_b32 v136, v124
	s_waitcnt vmcnt(0) lgkmcnt(0)
	v_mul_f32_e32 v135, v135, v136
	s_cbranch_execz .LBB60_410
	s_branch .LBB60_411
.LBB60_409:
                                        ; implicit-def: $vgpr135
.LBB60_410:
	ds_read_b32 v135, v124
.LBB60_411:
	s_and_saveexec_b64 s[12:13], s[6:7]
	s_cbranch_execz .LBB60_415
; %bb.412:
	v_mov_b32_e32 v136, 0
	v_add_u32_e32 v136, 0x4c, v136
	v_subrev_u32_e32 v137, 19, v0
	s_movk_i32 s14, 0x14c
	s_mov_b64 s[6:7], 0
.LBB60_413:                             ; =>This Inner Loop Header: Depth=1
	buffer_load_dword v138, v136, s[0:3], 0 offen
	v_mov_b32_e32 v139, s14
	ds_read_b32 v139, v139
	v_add_u32_e32 v137, -1, v137
	s_add_i32 s14, s14, 4
	v_cmp_eq_u32_e32 vcc, 0, v137
	v_add_u32_e32 v136, 4, v136
	s_or_b64 s[6:7], vcc, s[6:7]
	s_waitcnt vmcnt(0) lgkmcnt(0)
	v_fmac_f32_e32 v135, v138, v139
	s_andn2_b64 exec, exec, s[6:7]
	s_cbranch_execnz .LBB60_413
; %bb.414:
	s_or_b64 exec, exec, s[6:7]
.LBB60_415:
	s_or_b64 exec, exec, s[12:13]
	v_mov_b32_e32 v136, 0
	ds_read_b32 v136, v136 offset:72
	s_waitcnt lgkmcnt(0)
	v_mul_f32_e32 v135, v135, v136
	buffer_store_dword v135, off, s[0:3], 0 offset:72
.LBB60_416:
	s_or_b64 exec, exec, s[8:9]
	buffer_load_dword v135, off, s[0:3], 0 offset:68
	v_cmp_lt_u32_e64 s[6:7], 17, v0
	s_waitcnt vmcnt(0)
	ds_write_b32 v124, v135
	s_waitcnt lgkmcnt(0)
	; wave barrier
	s_waitcnt lgkmcnt(0)
	s_and_saveexec_b64 s[8:9], s[6:7]
	s_cbranch_execz .LBB60_426
; %bb.417:
	s_andn2_b64 vcc, exec, s[10:11]
	s_cbranch_vccnz .LBB60_419
; %bb.418:
	buffer_load_dword v135, v125, s[0:3], 0 offen
	ds_read_b32 v136, v124
	s_waitcnt vmcnt(0) lgkmcnt(0)
	v_mul_f32_e32 v135, v135, v136
	s_cbranch_execz .LBB60_420
	s_branch .LBB60_421
.LBB60_419:
                                        ; implicit-def: $vgpr135
.LBB60_420:
	ds_read_b32 v135, v124
.LBB60_421:
	s_and_saveexec_b64 s[12:13], s[4:5]
	s_cbranch_execz .LBB60_425
; %bb.422:
	v_subrev_u32_e32 v136, 18, v0
	s_movk_i32 s14, 0x148
	s_mov_b64 s[4:5], 0
.LBB60_423:                             ; =>This Inner Loop Header: Depth=1
	buffer_load_dword v137, v134, s[0:3], 0 offen
	v_mov_b32_e32 v138, s14
	ds_read_b32 v138, v138
	v_add_u32_e32 v136, -1, v136
	s_add_i32 s14, s14, 4
	v_cmp_eq_u32_e32 vcc, 0, v136
	v_add_u32_e32 v134, 4, v134
	s_or_b64 s[4:5], vcc, s[4:5]
	s_waitcnt vmcnt(0) lgkmcnt(0)
	v_fmac_f32_e32 v135, v137, v138
	s_andn2_b64 exec, exec, s[4:5]
	s_cbranch_execnz .LBB60_423
; %bb.424:
	s_or_b64 exec, exec, s[4:5]
.LBB60_425:
	s_or_b64 exec, exec, s[12:13]
	v_mov_b32_e32 v134, 0
	ds_read_b32 v134, v134 offset:68
	s_waitcnt lgkmcnt(0)
	v_mul_f32_e32 v134, v135, v134
	buffer_store_dword v134, off, s[0:3], 0 offset:68
.LBB60_426:
	s_or_b64 exec, exec, s[8:9]
	buffer_load_dword v134, off, s[0:3], 0 offset:64
	v_cmp_lt_u32_e64 s[4:5], 16, v0
	s_waitcnt vmcnt(0)
	ds_write_b32 v124, v134
	s_waitcnt lgkmcnt(0)
	; wave barrier
	s_waitcnt lgkmcnt(0)
	s_and_saveexec_b64 s[8:9], s[4:5]
	s_cbranch_execz .LBB60_436
; %bb.427:
	s_andn2_b64 vcc, exec, s[10:11]
	s_cbranch_vccnz .LBB60_429
; %bb.428:
	buffer_load_dword v134, v125, s[0:3], 0 offen
	ds_read_b32 v135, v124
	s_waitcnt vmcnt(0) lgkmcnt(0)
	v_mul_f32_e32 v134, v134, v135
	s_cbranch_execz .LBB60_430
	s_branch .LBB60_431
.LBB60_429:
                                        ; implicit-def: $vgpr134
.LBB60_430:
	ds_read_b32 v134, v124
.LBB60_431:
	s_and_saveexec_b64 s[12:13], s[6:7]
	s_cbranch_execz .LBB60_435
; %bb.432:
	v_mov_b32_e32 v135, 0
	v_add_u32_e32 v135, 0x44, v135
	v_subrev_u32_e32 v136, 17, v0
	s_movk_i32 s14, 0x144
	s_mov_b64 s[6:7], 0
.LBB60_433:                             ; =>This Inner Loop Header: Depth=1
	buffer_load_dword v137, v135, s[0:3], 0 offen
	v_mov_b32_e32 v138, s14
	ds_read_b32 v138, v138
	v_add_u32_e32 v136, -1, v136
	s_add_i32 s14, s14, 4
	v_cmp_eq_u32_e32 vcc, 0, v136
	v_add_u32_e32 v135, 4, v135
	s_or_b64 s[6:7], vcc, s[6:7]
	s_waitcnt vmcnt(0) lgkmcnt(0)
	v_fmac_f32_e32 v134, v137, v138
	s_andn2_b64 exec, exec, s[6:7]
	s_cbranch_execnz .LBB60_433
; %bb.434:
	s_or_b64 exec, exec, s[6:7]
.LBB60_435:
	s_or_b64 exec, exec, s[12:13]
	v_mov_b32_e32 v135, 0
	ds_read_b32 v135, v135 offset:64
	s_waitcnt lgkmcnt(0)
	v_mul_f32_e32 v134, v134, v135
	buffer_store_dword v134, off, s[0:3], 0 offset:64
.LBB60_436:
	s_or_b64 exec, exec, s[8:9]
	buffer_load_dword v134, off, s[0:3], 0 offset:60
	v_cmp_lt_u32_e64 s[6:7], 15, v0
	s_waitcnt vmcnt(0)
	ds_write_b32 v124, v134
	s_waitcnt lgkmcnt(0)
	; wave barrier
	s_waitcnt lgkmcnt(0)
	s_and_saveexec_b64 s[8:9], s[6:7]
	s_cbranch_execz .LBB60_446
; %bb.437:
	s_andn2_b64 vcc, exec, s[10:11]
	s_cbranch_vccnz .LBB60_439
; %bb.438:
	buffer_load_dword v134, v125, s[0:3], 0 offen
	ds_read_b32 v135, v124
	s_waitcnt vmcnt(0) lgkmcnt(0)
	v_mul_f32_e32 v134, v134, v135
	s_cbranch_execz .LBB60_440
	s_branch .LBB60_441
.LBB60_439:
                                        ; implicit-def: $vgpr134
.LBB60_440:
	ds_read_b32 v134, v124
.LBB60_441:
	s_and_saveexec_b64 s[12:13], s[4:5]
	s_cbranch_execz .LBB60_445
; %bb.442:
	v_add_u32_e32 v135, -16, v0
	s_movk_i32 s14, 0x140
	s_mov_b64 s[4:5], 0
.LBB60_443:                             ; =>This Inner Loop Header: Depth=1
	buffer_load_dword v136, v133, s[0:3], 0 offen
	v_mov_b32_e32 v137, s14
	ds_read_b32 v137, v137
	v_add_u32_e32 v135, -1, v135
	s_add_i32 s14, s14, 4
	v_cmp_eq_u32_e32 vcc, 0, v135
	v_add_u32_e32 v133, 4, v133
	s_or_b64 s[4:5], vcc, s[4:5]
	s_waitcnt vmcnt(0) lgkmcnt(0)
	v_fmac_f32_e32 v134, v136, v137
	s_andn2_b64 exec, exec, s[4:5]
	s_cbranch_execnz .LBB60_443
; %bb.444:
	s_or_b64 exec, exec, s[4:5]
.LBB60_445:
	s_or_b64 exec, exec, s[12:13]
	v_mov_b32_e32 v133, 0
	ds_read_b32 v133, v133 offset:60
	s_waitcnt lgkmcnt(0)
	v_mul_f32_e32 v133, v134, v133
	buffer_store_dword v133, off, s[0:3], 0 offset:60
.LBB60_446:
	s_or_b64 exec, exec, s[8:9]
	buffer_load_dword v133, off, s[0:3], 0 offset:56
	v_cmp_lt_u32_e64 s[4:5], 14, v0
	s_waitcnt vmcnt(0)
	ds_write_b32 v124, v133
	s_waitcnt lgkmcnt(0)
	; wave barrier
	s_waitcnt lgkmcnt(0)
	s_and_saveexec_b64 s[8:9], s[4:5]
	s_cbranch_execz .LBB60_456
; %bb.447:
	s_andn2_b64 vcc, exec, s[10:11]
	s_cbranch_vccnz .LBB60_449
; %bb.448:
	buffer_load_dword v133, v125, s[0:3], 0 offen
	ds_read_b32 v134, v124
	s_waitcnt vmcnt(0) lgkmcnt(0)
	v_mul_f32_e32 v133, v133, v134
	s_cbranch_execz .LBB60_450
	s_branch .LBB60_451
.LBB60_449:
                                        ; implicit-def: $vgpr133
.LBB60_450:
	ds_read_b32 v133, v124
.LBB60_451:
	s_and_saveexec_b64 s[12:13], s[6:7]
	s_cbranch_execz .LBB60_455
; %bb.452:
	v_mov_b32_e32 v134, 0
	v_add_u32_e32 v134, 60, v134
	v_add_u32_e32 v135, -15, v0
	s_movk_i32 s14, 0x13c
	s_mov_b64 s[6:7], 0
.LBB60_453:                             ; =>This Inner Loop Header: Depth=1
	buffer_load_dword v136, v134, s[0:3], 0 offen
	v_mov_b32_e32 v137, s14
	ds_read_b32 v137, v137
	v_add_u32_e32 v135, -1, v135
	s_add_i32 s14, s14, 4
	v_cmp_eq_u32_e32 vcc, 0, v135
	v_add_u32_e32 v134, 4, v134
	s_or_b64 s[6:7], vcc, s[6:7]
	s_waitcnt vmcnt(0) lgkmcnt(0)
	v_fmac_f32_e32 v133, v136, v137
	s_andn2_b64 exec, exec, s[6:7]
	s_cbranch_execnz .LBB60_453
; %bb.454:
	s_or_b64 exec, exec, s[6:7]
.LBB60_455:
	s_or_b64 exec, exec, s[12:13]
	v_mov_b32_e32 v134, 0
	ds_read_b32 v134, v134 offset:56
	s_waitcnt lgkmcnt(0)
	v_mul_f32_e32 v133, v133, v134
	buffer_store_dword v133, off, s[0:3], 0 offset:56
.LBB60_456:
	s_or_b64 exec, exec, s[8:9]
	buffer_load_dword v133, off, s[0:3], 0 offset:52
	v_cmp_lt_u32_e64 s[6:7], 13, v0
	s_waitcnt vmcnt(0)
	ds_write_b32 v124, v133
	s_waitcnt lgkmcnt(0)
	; wave barrier
	s_waitcnt lgkmcnt(0)
	s_and_saveexec_b64 s[8:9], s[6:7]
	s_cbranch_execz .LBB60_466
; %bb.457:
	s_andn2_b64 vcc, exec, s[10:11]
	s_cbranch_vccnz .LBB60_459
; %bb.458:
	buffer_load_dword v133, v125, s[0:3], 0 offen
	ds_read_b32 v134, v124
	s_waitcnt vmcnt(0) lgkmcnt(0)
	v_mul_f32_e32 v133, v133, v134
	s_cbranch_execz .LBB60_460
	s_branch .LBB60_461
.LBB60_459:
                                        ; implicit-def: $vgpr133
.LBB60_460:
	ds_read_b32 v133, v124
.LBB60_461:
	s_and_saveexec_b64 s[12:13], s[4:5]
	s_cbranch_execz .LBB60_465
; %bb.462:
	v_add_u32_e32 v134, -14, v0
	s_movk_i32 s14, 0x138
	s_mov_b64 s[4:5], 0
.LBB60_463:                             ; =>This Inner Loop Header: Depth=1
	buffer_load_dword v135, v132, s[0:3], 0 offen
	v_mov_b32_e32 v136, s14
	ds_read_b32 v136, v136
	v_add_u32_e32 v134, -1, v134
	s_add_i32 s14, s14, 4
	v_cmp_eq_u32_e32 vcc, 0, v134
	v_add_u32_e32 v132, 4, v132
	s_or_b64 s[4:5], vcc, s[4:5]
	s_waitcnt vmcnt(0) lgkmcnt(0)
	v_fmac_f32_e32 v133, v135, v136
	s_andn2_b64 exec, exec, s[4:5]
	s_cbranch_execnz .LBB60_463
; %bb.464:
	s_or_b64 exec, exec, s[4:5]
.LBB60_465:
	s_or_b64 exec, exec, s[12:13]
	v_mov_b32_e32 v132, 0
	ds_read_b32 v132, v132 offset:52
	s_waitcnt lgkmcnt(0)
	v_mul_f32_e32 v132, v133, v132
	buffer_store_dword v132, off, s[0:3], 0 offset:52
.LBB60_466:
	s_or_b64 exec, exec, s[8:9]
	buffer_load_dword v132, off, s[0:3], 0 offset:48
	v_cmp_lt_u32_e64 s[4:5], 12, v0
	s_waitcnt vmcnt(0)
	ds_write_b32 v124, v132
	s_waitcnt lgkmcnt(0)
	; wave barrier
	s_waitcnt lgkmcnt(0)
	s_and_saveexec_b64 s[8:9], s[4:5]
	s_cbranch_execz .LBB60_476
; %bb.467:
	s_andn2_b64 vcc, exec, s[10:11]
	s_cbranch_vccnz .LBB60_469
; %bb.468:
	buffer_load_dword v132, v125, s[0:3], 0 offen
	ds_read_b32 v133, v124
	s_waitcnt vmcnt(0) lgkmcnt(0)
	v_mul_f32_e32 v132, v132, v133
	s_cbranch_execz .LBB60_470
	s_branch .LBB60_471
.LBB60_469:
                                        ; implicit-def: $vgpr132
.LBB60_470:
	ds_read_b32 v132, v124
.LBB60_471:
	s_and_saveexec_b64 s[12:13], s[6:7]
	s_cbranch_execz .LBB60_475
; %bb.472:
	v_mov_b32_e32 v133, 0
	v_add_u32_e32 v133, 52, v133
	v_add_u32_e32 v134, -13, v0
	s_movk_i32 s14, 0x134
	s_mov_b64 s[6:7], 0
.LBB60_473:                             ; =>This Inner Loop Header: Depth=1
	buffer_load_dword v135, v133, s[0:3], 0 offen
	v_mov_b32_e32 v136, s14
	ds_read_b32 v136, v136
	v_add_u32_e32 v134, -1, v134
	s_add_i32 s14, s14, 4
	v_cmp_eq_u32_e32 vcc, 0, v134
	v_add_u32_e32 v133, 4, v133
	s_or_b64 s[6:7], vcc, s[6:7]
	s_waitcnt vmcnt(0) lgkmcnt(0)
	v_fmac_f32_e32 v132, v135, v136
	s_andn2_b64 exec, exec, s[6:7]
	s_cbranch_execnz .LBB60_473
; %bb.474:
	s_or_b64 exec, exec, s[6:7]
.LBB60_475:
	s_or_b64 exec, exec, s[12:13]
	v_mov_b32_e32 v133, 0
	ds_read_b32 v133, v133 offset:48
	s_waitcnt lgkmcnt(0)
	v_mul_f32_e32 v132, v132, v133
	buffer_store_dword v132, off, s[0:3], 0 offset:48
.LBB60_476:
	s_or_b64 exec, exec, s[8:9]
	buffer_load_dword v132, off, s[0:3], 0 offset:44
	v_cmp_lt_u32_e64 s[6:7], 11, v0
	s_waitcnt vmcnt(0)
	ds_write_b32 v124, v132
	s_waitcnt lgkmcnt(0)
	; wave barrier
	s_waitcnt lgkmcnt(0)
	s_and_saveexec_b64 s[8:9], s[6:7]
	s_cbranch_execz .LBB60_486
; %bb.477:
	s_andn2_b64 vcc, exec, s[10:11]
	s_cbranch_vccnz .LBB60_479
; %bb.478:
	buffer_load_dword v132, v125, s[0:3], 0 offen
	ds_read_b32 v133, v124
	s_waitcnt vmcnt(0) lgkmcnt(0)
	v_mul_f32_e32 v132, v132, v133
	s_cbranch_execz .LBB60_480
	s_branch .LBB60_481
.LBB60_479:
                                        ; implicit-def: $vgpr132
.LBB60_480:
	ds_read_b32 v132, v124
.LBB60_481:
	s_and_saveexec_b64 s[12:13], s[4:5]
	s_cbranch_execz .LBB60_485
; %bb.482:
	v_add_u32_e32 v133, -12, v0
	s_movk_i32 s14, 0x130
	s_mov_b64 s[4:5], 0
.LBB60_483:                             ; =>This Inner Loop Header: Depth=1
	buffer_load_dword v134, v131, s[0:3], 0 offen
	v_mov_b32_e32 v135, s14
	ds_read_b32 v135, v135
	v_add_u32_e32 v133, -1, v133
	s_add_i32 s14, s14, 4
	v_cmp_eq_u32_e32 vcc, 0, v133
	v_add_u32_e32 v131, 4, v131
	s_or_b64 s[4:5], vcc, s[4:5]
	s_waitcnt vmcnt(0) lgkmcnt(0)
	v_fmac_f32_e32 v132, v134, v135
	s_andn2_b64 exec, exec, s[4:5]
	s_cbranch_execnz .LBB60_483
; %bb.484:
	s_or_b64 exec, exec, s[4:5]
.LBB60_485:
	s_or_b64 exec, exec, s[12:13]
	v_mov_b32_e32 v131, 0
	ds_read_b32 v131, v131 offset:44
	s_waitcnt lgkmcnt(0)
	v_mul_f32_e32 v131, v132, v131
	buffer_store_dword v131, off, s[0:3], 0 offset:44
.LBB60_486:
	s_or_b64 exec, exec, s[8:9]
	buffer_load_dword v131, off, s[0:3], 0 offset:40
	v_cmp_lt_u32_e64 s[4:5], 10, v0
	s_waitcnt vmcnt(0)
	ds_write_b32 v124, v131
	s_waitcnt lgkmcnt(0)
	; wave barrier
	s_waitcnt lgkmcnt(0)
	s_and_saveexec_b64 s[8:9], s[4:5]
	s_cbranch_execz .LBB60_496
; %bb.487:
	s_andn2_b64 vcc, exec, s[10:11]
	s_cbranch_vccnz .LBB60_489
; %bb.488:
	buffer_load_dword v131, v125, s[0:3], 0 offen
	ds_read_b32 v132, v124
	s_waitcnt vmcnt(0) lgkmcnt(0)
	v_mul_f32_e32 v131, v131, v132
	s_cbranch_execz .LBB60_490
	s_branch .LBB60_491
.LBB60_489:
                                        ; implicit-def: $vgpr131
.LBB60_490:
	ds_read_b32 v131, v124
.LBB60_491:
	s_and_saveexec_b64 s[12:13], s[6:7]
	s_cbranch_execz .LBB60_495
; %bb.492:
	v_mov_b32_e32 v132, 0
	v_add_u32_e32 v132, 44, v132
	v_add_u32_e32 v133, -11, v0
	s_movk_i32 s14, 0x12c
	s_mov_b64 s[6:7], 0
.LBB60_493:                             ; =>This Inner Loop Header: Depth=1
	buffer_load_dword v134, v132, s[0:3], 0 offen
	v_mov_b32_e32 v135, s14
	ds_read_b32 v135, v135
	v_add_u32_e32 v133, -1, v133
	s_add_i32 s14, s14, 4
	v_cmp_eq_u32_e32 vcc, 0, v133
	v_add_u32_e32 v132, 4, v132
	s_or_b64 s[6:7], vcc, s[6:7]
	s_waitcnt vmcnt(0) lgkmcnt(0)
	v_fmac_f32_e32 v131, v134, v135
	s_andn2_b64 exec, exec, s[6:7]
	s_cbranch_execnz .LBB60_493
; %bb.494:
	s_or_b64 exec, exec, s[6:7]
.LBB60_495:
	s_or_b64 exec, exec, s[12:13]
	v_mov_b32_e32 v132, 0
	ds_read_b32 v132, v132 offset:40
	s_waitcnt lgkmcnt(0)
	v_mul_f32_e32 v131, v131, v132
	buffer_store_dword v131, off, s[0:3], 0 offset:40
.LBB60_496:
	s_or_b64 exec, exec, s[8:9]
	buffer_load_dword v131, off, s[0:3], 0 offset:36
	v_cmp_lt_u32_e64 s[6:7], 9, v0
	s_waitcnt vmcnt(0)
	ds_write_b32 v124, v131
	s_waitcnt lgkmcnt(0)
	; wave barrier
	s_waitcnt lgkmcnt(0)
	s_and_saveexec_b64 s[8:9], s[6:7]
	s_cbranch_execz .LBB60_506
; %bb.497:
	s_andn2_b64 vcc, exec, s[10:11]
	s_cbranch_vccnz .LBB60_499
; %bb.498:
	buffer_load_dword v131, v125, s[0:3], 0 offen
	ds_read_b32 v132, v124
	s_waitcnt vmcnt(0) lgkmcnt(0)
	v_mul_f32_e32 v131, v131, v132
	s_cbranch_execz .LBB60_500
	s_branch .LBB60_501
.LBB60_499:
                                        ; implicit-def: $vgpr131
.LBB60_500:
	ds_read_b32 v131, v124
.LBB60_501:
	s_and_saveexec_b64 s[12:13], s[4:5]
	s_cbranch_execz .LBB60_505
; %bb.502:
	v_add_u32_e32 v132, -10, v0
	s_movk_i32 s14, 0x128
	s_mov_b64 s[4:5], 0
.LBB60_503:                             ; =>This Inner Loop Header: Depth=1
	buffer_load_dword v133, v130, s[0:3], 0 offen
	v_mov_b32_e32 v134, s14
	ds_read_b32 v134, v134
	v_add_u32_e32 v132, -1, v132
	s_add_i32 s14, s14, 4
	v_cmp_eq_u32_e32 vcc, 0, v132
	v_add_u32_e32 v130, 4, v130
	s_or_b64 s[4:5], vcc, s[4:5]
	s_waitcnt vmcnt(0) lgkmcnt(0)
	v_fmac_f32_e32 v131, v133, v134
	s_andn2_b64 exec, exec, s[4:5]
	s_cbranch_execnz .LBB60_503
; %bb.504:
	s_or_b64 exec, exec, s[4:5]
.LBB60_505:
	s_or_b64 exec, exec, s[12:13]
	v_mov_b32_e32 v130, 0
	ds_read_b32 v130, v130 offset:36
	s_waitcnt lgkmcnt(0)
	v_mul_f32_e32 v130, v131, v130
	buffer_store_dword v130, off, s[0:3], 0 offset:36
.LBB60_506:
	s_or_b64 exec, exec, s[8:9]
	buffer_load_dword v130, off, s[0:3], 0 offset:32
	v_cmp_lt_u32_e64 s[4:5], 8, v0
	s_waitcnt vmcnt(0)
	ds_write_b32 v124, v130
	s_waitcnt lgkmcnt(0)
	; wave barrier
	s_waitcnt lgkmcnt(0)
	s_and_saveexec_b64 s[8:9], s[4:5]
	s_cbranch_execz .LBB60_516
; %bb.507:
	s_andn2_b64 vcc, exec, s[10:11]
	s_cbranch_vccnz .LBB60_509
; %bb.508:
	buffer_load_dword v130, v125, s[0:3], 0 offen
	ds_read_b32 v131, v124
	s_waitcnt vmcnt(0) lgkmcnt(0)
	v_mul_f32_e32 v130, v130, v131
	s_cbranch_execz .LBB60_510
	s_branch .LBB60_511
.LBB60_509:
                                        ; implicit-def: $vgpr130
.LBB60_510:
	ds_read_b32 v130, v124
.LBB60_511:
	s_and_saveexec_b64 s[12:13], s[6:7]
	s_cbranch_execz .LBB60_515
; %bb.512:
	v_mov_b32_e32 v131, 0
	v_add_u32_e32 v131, 36, v131
	v_add_u32_e32 v132, -9, v0
	s_movk_i32 s14, 0x124
	s_mov_b64 s[6:7], 0
.LBB60_513:                             ; =>This Inner Loop Header: Depth=1
	buffer_load_dword v133, v131, s[0:3], 0 offen
	v_mov_b32_e32 v134, s14
	ds_read_b32 v134, v134
	v_add_u32_e32 v132, -1, v132
	s_add_i32 s14, s14, 4
	v_cmp_eq_u32_e32 vcc, 0, v132
	v_add_u32_e32 v131, 4, v131
	s_or_b64 s[6:7], vcc, s[6:7]
	s_waitcnt vmcnt(0) lgkmcnt(0)
	v_fmac_f32_e32 v130, v133, v134
	s_andn2_b64 exec, exec, s[6:7]
	s_cbranch_execnz .LBB60_513
; %bb.514:
	s_or_b64 exec, exec, s[6:7]
.LBB60_515:
	s_or_b64 exec, exec, s[12:13]
	v_mov_b32_e32 v131, 0
	ds_read_b32 v131, v131 offset:32
	s_waitcnt lgkmcnt(0)
	v_mul_f32_e32 v130, v130, v131
	buffer_store_dword v130, off, s[0:3], 0 offset:32
.LBB60_516:
	s_or_b64 exec, exec, s[8:9]
	buffer_load_dword v130, off, s[0:3], 0 offset:28
	v_cmp_lt_u32_e64 s[6:7], 7, v0
	s_waitcnt vmcnt(0)
	ds_write_b32 v124, v130
	s_waitcnt lgkmcnt(0)
	; wave barrier
	s_waitcnt lgkmcnt(0)
	s_and_saveexec_b64 s[8:9], s[6:7]
	s_cbranch_execz .LBB60_526
; %bb.517:
	s_andn2_b64 vcc, exec, s[10:11]
	s_cbranch_vccnz .LBB60_519
; %bb.518:
	buffer_load_dword v130, v125, s[0:3], 0 offen
	ds_read_b32 v131, v124
	s_waitcnt vmcnt(0) lgkmcnt(0)
	v_mul_f32_e32 v130, v130, v131
	s_cbranch_execz .LBB60_520
	s_branch .LBB60_521
.LBB60_519:
                                        ; implicit-def: $vgpr130
.LBB60_520:
	ds_read_b32 v130, v124
.LBB60_521:
	s_and_saveexec_b64 s[12:13], s[4:5]
	s_cbranch_execz .LBB60_525
; %bb.522:
	v_add_u32_e32 v131, -8, v0
	s_movk_i32 s14, 0x120
	s_mov_b64 s[4:5], 0
.LBB60_523:                             ; =>This Inner Loop Header: Depth=1
	buffer_load_dword v132, v129, s[0:3], 0 offen
	v_mov_b32_e32 v133, s14
	ds_read_b32 v133, v133
	v_add_u32_e32 v131, -1, v131
	s_add_i32 s14, s14, 4
	v_cmp_eq_u32_e32 vcc, 0, v131
	v_add_u32_e32 v129, 4, v129
	s_or_b64 s[4:5], vcc, s[4:5]
	s_waitcnt vmcnt(0) lgkmcnt(0)
	v_fmac_f32_e32 v130, v132, v133
	s_andn2_b64 exec, exec, s[4:5]
	s_cbranch_execnz .LBB60_523
; %bb.524:
	s_or_b64 exec, exec, s[4:5]
.LBB60_525:
	s_or_b64 exec, exec, s[12:13]
	v_mov_b32_e32 v129, 0
	ds_read_b32 v129, v129 offset:28
	s_waitcnt lgkmcnt(0)
	v_mul_f32_e32 v129, v130, v129
	buffer_store_dword v129, off, s[0:3], 0 offset:28
.LBB60_526:
	s_or_b64 exec, exec, s[8:9]
	buffer_load_dword v129, off, s[0:3], 0 offset:24
	v_cmp_lt_u32_e64 s[4:5], 6, v0
	s_waitcnt vmcnt(0)
	ds_write_b32 v124, v129
	s_waitcnt lgkmcnt(0)
	; wave barrier
	s_waitcnt lgkmcnt(0)
	s_and_saveexec_b64 s[8:9], s[4:5]
	s_cbranch_execz .LBB60_536
; %bb.527:
	s_andn2_b64 vcc, exec, s[10:11]
	s_cbranch_vccnz .LBB60_529
; %bb.528:
	buffer_load_dword v129, v125, s[0:3], 0 offen
	ds_read_b32 v130, v124
	s_waitcnt vmcnt(0) lgkmcnt(0)
	v_mul_f32_e32 v129, v129, v130
	s_cbranch_execz .LBB60_530
	s_branch .LBB60_531
.LBB60_529:
                                        ; implicit-def: $vgpr129
.LBB60_530:
	ds_read_b32 v129, v124
.LBB60_531:
	s_and_saveexec_b64 s[12:13], s[6:7]
	s_cbranch_execz .LBB60_535
; %bb.532:
	v_mov_b32_e32 v130, 0
	v_add_u32_e32 v130, 28, v130
	v_add_u32_e32 v131, -7, v0
	s_movk_i32 s14, 0x11c
	s_mov_b64 s[6:7], 0
.LBB60_533:                             ; =>This Inner Loop Header: Depth=1
	buffer_load_dword v132, v130, s[0:3], 0 offen
	v_mov_b32_e32 v133, s14
	ds_read_b32 v133, v133
	v_add_u32_e32 v131, -1, v131
	s_add_i32 s14, s14, 4
	v_cmp_eq_u32_e32 vcc, 0, v131
	v_add_u32_e32 v130, 4, v130
	s_or_b64 s[6:7], vcc, s[6:7]
	s_waitcnt vmcnt(0) lgkmcnt(0)
	v_fmac_f32_e32 v129, v132, v133
	s_andn2_b64 exec, exec, s[6:7]
	s_cbranch_execnz .LBB60_533
; %bb.534:
	s_or_b64 exec, exec, s[6:7]
.LBB60_535:
	s_or_b64 exec, exec, s[12:13]
	v_mov_b32_e32 v130, 0
	ds_read_b32 v130, v130 offset:24
	s_waitcnt lgkmcnt(0)
	v_mul_f32_e32 v129, v129, v130
	buffer_store_dword v129, off, s[0:3], 0 offset:24
.LBB60_536:
	s_or_b64 exec, exec, s[8:9]
	buffer_load_dword v129, off, s[0:3], 0 offset:20
	v_cmp_lt_u32_e64 s[6:7], 5, v0
	s_waitcnt vmcnt(0)
	ds_write_b32 v124, v129
	s_waitcnt lgkmcnt(0)
	; wave barrier
	s_waitcnt lgkmcnt(0)
	s_and_saveexec_b64 s[8:9], s[6:7]
	s_cbranch_execz .LBB60_546
; %bb.537:
	s_andn2_b64 vcc, exec, s[10:11]
	s_cbranch_vccnz .LBB60_539
; %bb.538:
	buffer_load_dword v129, v125, s[0:3], 0 offen
	ds_read_b32 v130, v124
	s_waitcnt vmcnt(0) lgkmcnt(0)
	v_mul_f32_e32 v129, v129, v130
	s_cbranch_execz .LBB60_540
	s_branch .LBB60_541
.LBB60_539:
                                        ; implicit-def: $vgpr129
.LBB60_540:
	ds_read_b32 v129, v124
.LBB60_541:
	s_and_saveexec_b64 s[12:13], s[4:5]
	s_cbranch_execz .LBB60_545
; %bb.542:
	v_add_u32_e32 v130, -6, v0
	s_movk_i32 s14, 0x118
	s_mov_b64 s[4:5], 0
.LBB60_543:                             ; =>This Inner Loop Header: Depth=1
	buffer_load_dword v131, v128, s[0:3], 0 offen
	v_mov_b32_e32 v132, s14
	ds_read_b32 v132, v132
	v_add_u32_e32 v130, -1, v130
	s_add_i32 s14, s14, 4
	v_cmp_eq_u32_e32 vcc, 0, v130
	v_add_u32_e32 v128, 4, v128
	s_or_b64 s[4:5], vcc, s[4:5]
	s_waitcnt vmcnt(0) lgkmcnt(0)
	v_fmac_f32_e32 v129, v131, v132
	s_andn2_b64 exec, exec, s[4:5]
	s_cbranch_execnz .LBB60_543
; %bb.544:
	s_or_b64 exec, exec, s[4:5]
.LBB60_545:
	s_or_b64 exec, exec, s[12:13]
	v_mov_b32_e32 v128, 0
	ds_read_b32 v128, v128 offset:20
	s_waitcnt lgkmcnt(0)
	v_mul_f32_e32 v128, v129, v128
	buffer_store_dword v128, off, s[0:3], 0 offset:20
.LBB60_546:
	s_or_b64 exec, exec, s[8:9]
	buffer_load_dword v128, off, s[0:3], 0 offset:16
	v_cmp_lt_u32_e64 s[4:5], 4, v0
	s_waitcnt vmcnt(0)
	ds_write_b32 v124, v128
	s_waitcnt lgkmcnt(0)
	; wave barrier
	s_waitcnt lgkmcnt(0)
	s_and_saveexec_b64 s[8:9], s[4:5]
	s_cbranch_execz .LBB60_556
; %bb.547:
	s_andn2_b64 vcc, exec, s[10:11]
	s_cbranch_vccnz .LBB60_549
; %bb.548:
	buffer_load_dword v128, v125, s[0:3], 0 offen
	ds_read_b32 v129, v124
	s_waitcnt vmcnt(0) lgkmcnt(0)
	v_mul_f32_e32 v128, v128, v129
	s_cbranch_execz .LBB60_550
	s_branch .LBB60_551
.LBB60_549:
                                        ; implicit-def: $vgpr128
.LBB60_550:
	ds_read_b32 v128, v124
.LBB60_551:
	s_and_saveexec_b64 s[12:13], s[6:7]
	s_cbranch_execz .LBB60_555
; %bb.552:
	v_mov_b32_e32 v129, 0
	v_add_u32_e32 v129, 20, v129
	v_add_u32_e32 v130, -5, v0
	s_movk_i32 s14, 0x114
	s_mov_b64 s[6:7], 0
.LBB60_553:                             ; =>This Inner Loop Header: Depth=1
	buffer_load_dword v131, v129, s[0:3], 0 offen
	v_mov_b32_e32 v132, s14
	ds_read_b32 v132, v132
	v_add_u32_e32 v130, -1, v130
	s_add_i32 s14, s14, 4
	v_cmp_eq_u32_e32 vcc, 0, v130
	v_add_u32_e32 v129, 4, v129
	s_or_b64 s[6:7], vcc, s[6:7]
	s_waitcnt vmcnt(0) lgkmcnt(0)
	v_fmac_f32_e32 v128, v131, v132
	s_andn2_b64 exec, exec, s[6:7]
	s_cbranch_execnz .LBB60_553
; %bb.554:
	s_or_b64 exec, exec, s[6:7]
.LBB60_555:
	s_or_b64 exec, exec, s[12:13]
	v_mov_b32_e32 v129, 0
	ds_read_b32 v129, v129 offset:16
	s_waitcnt lgkmcnt(0)
	v_mul_f32_e32 v128, v128, v129
	buffer_store_dword v128, off, s[0:3], 0 offset:16
.LBB60_556:
	s_or_b64 exec, exec, s[8:9]
	buffer_load_dword v128, off, s[0:3], 0 offset:12
	v_cmp_lt_u32_e64 s[6:7], 3, v0
	s_waitcnt vmcnt(0)
	ds_write_b32 v124, v128
	s_waitcnt lgkmcnt(0)
	; wave barrier
	s_waitcnt lgkmcnt(0)
	s_and_saveexec_b64 s[8:9], s[6:7]
	s_cbranch_execz .LBB60_566
; %bb.557:
	s_andn2_b64 vcc, exec, s[10:11]
	s_cbranch_vccnz .LBB60_559
; %bb.558:
	buffer_load_dword v128, v125, s[0:3], 0 offen
	ds_read_b32 v129, v124
	s_waitcnt vmcnt(0) lgkmcnt(0)
	v_mul_f32_e32 v128, v128, v129
	s_cbranch_execz .LBB60_560
	s_branch .LBB60_561
.LBB60_559:
                                        ; implicit-def: $vgpr128
.LBB60_560:
	ds_read_b32 v128, v124
.LBB60_561:
	s_and_saveexec_b64 s[12:13], s[4:5]
	s_cbranch_execz .LBB60_565
; %bb.562:
	v_add_u32_e32 v129, -4, v0
	s_movk_i32 s14, 0x110
	s_mov_b64 s[4:5], 0
.LBB60_563:                             ; =>This Inner Loop Header: Depth=1
	buffer_load_dword v130, v127, s[0:3], 0 offen
	v_mov_b32_e32 v131, s14
	ds_read_b32 v131, v131
	v_add_u32_e32 v129, -1, v129
	s_add_i32 s14, s14, 4
	v_cmp_eq_u32_e32 vcc, 0, v129
	v_add_u32_e32 v127, 4, v127
	s_or_b64 s[4:5], vcc, s[4:5]
	s_waitcnt vmcnt(0) lgkmcnt(0)
	v_fmac_f32_e32 v128, v130, v131
	s_andn2_b64 exec, exec, s[4:5]
	s_cbranch_execnz .LBB60_563
; %bb.564:
	s_or_b64 exec, exec, s[4:5]
.LBB60_565:
	s_or_b64 exec, exec, s[12:13]
	v_mov_b32_e32 v127, 0
	ds_read_b32 v127, v127 offset:12
	s_waitcnt lgkmcnt(0)
	v_mul_f32_e32 v127, v128, v127
	buffer_store_dword v127, off, s[0:3], 0 offset:12
.LBB60_566:
	s_or_b64 exec, exec, s[8:9]
	buffer_load_dword v127, off, s[0:3], 0 offset:8
	v_cmp_lt_u32_e64 s[4:5], 2, v0
	s_waitcnt vmcnt(0)
	ds_write_b32 v124, v127
	s_waitcnt lgkmcnt(0)
	; wave barrier
	s_waitcnt lgkmcnt(0)
	s_and_saveexec_b64 s[8:9], s[4:5]
	s_cbranch_execz .LBB60_576
; %bb.567:
	s_andn2_b64 vcc, exec, s[10:11]
	s_cbranch_vccnz .LBB60_569
; %bb.568:
	buffer_load_dword v127, v125, s[0:3], 0 offen
	ds_read_b32 v128, v124
	s_waitcnt vmcnt(0) lgkmcnt(0)
	v_mul_f32_e32 v127, v127, v128
	s_cbranch_execz .LBB60_570
	s_branch .LBB60_571
.LBB60_569:
                                        ; implicit-def: $vgpr127
.LBB60_570:
	ds_read_b32 v127, v124
.LBB60_571:
	s_and_saveexec_b64 s[12:13], s[6:7]
	s_cbranch_execz .LBB60_575
; %bb.572:
	v_mov_b32_e32 v128, 0
	v_or_b32_e32 v128, 12, v128
	v_add_u32_e32 v129, -3, v0
	s_movk_i32 s14, 0x10c
	s_mov_b64 s[6:7], 0
.LBB60_573:                             ; =>This Inner Loop Header: Depth=1
	buffer_load_dword v130, v128, s[0:3], 0 offen
	v_mov_b32_e32 v131, s14
	ds_read_b32 v131, v131
	v_add_u32_e32 v129, -1, v129
	s_add_i32 s14, s14, 4
	v_cmp_eq_u32_e32 vcc, 0, v129
	v_add_u32_e32 v128, 4, v128
	s_or_b64 s[6:7], vcc, s[6:7]
	s_waitcnt vmcnt(0) lgkmcnt(0)
	v_fmac_f32_e32 v127, v130, v131
	s_andn2_b64 exec, exec, s[6:7]
	s_cbranch_execnz .LBB60_573
; %bb.574:
	s_or_b64 exec, exec, s[6:7]
.LBB60_575:
	s_or_b64 exec, exec, s[12:13]
	v_mov_b32_e32 v128, 0
	ds_read_b32 v128, v128 offset:8
	s_waitcnt lgkmcnt(0)
	v_mul_f32_e32 v127, v127, v128
	buffer_store_dword v127, off, s[0:3], 0 offset:8
.LBB60_576:
	s_or_b64 exec, exec, s[8:9]
	buffer_load_dword v127, off, s[0:3], 0 offset:4
	v_cmp_lt_u32_e64 s[6:7], 1, v0
	s_waitcnt vmcnt(0)
	ds_write_b32 v124, v127
	s_waitcnt lgkmcnt(0)
	; wave barrier
	s_waitcnt lgkmcnt(0)
	s_and_saveexec_b64 s[8:9], s[6:7]
	s_cbranch_execz .LBB60_586
; %bb.577:
	s_andn2_b64 vcc, exec, s[10:11]
	s_cbranch_vccnz .LBB60_579
; %bb.578:
	buffer_load_dword v127, v125, s[0:3], 0 offen
	ds_read_b32 v128, v124
	s_waitcnt vmcnt(0) lgkmcnt(0)
	v_mul_f32_e32 v127, v127, v128
	s_cbranch_execz .LBB60_580
	s_branch .LBB60_581
.LBB60_579:
                                        ; implicit-def: $vgpr127
.LBB60_580:
	ds_read_b32 v127, v124
.LBB60_581:
	s_and_saveexec_b64 s[12:13], s[4:5]
	s_cbranch_execz .LBB60_585
; %bb.582:
	v_add_u32_e32 v128, -2, v0
	s_movk_i32 s14, 0x108
	s_mov_b64 s[4:5], 0
.LBB60_583:                             ; =>This Inner Loop Header: Depth=1
	buffer_load_dword v129, v126, s[0:3], 0 offen
	v_mov_b32_e32 v130, s14
	ds_read_b32 v130, v130
	v_add_u32_e32 v128, -1, v128
	s_add_i32 s14, s14, 4
	v_cmp_eq_u32_e32 vcc, 0, v128
	v_add_u32_e32 v126, 4, v126
	s_or_b64 s[4:5], vcc, s[4:5]
	s_waitcnt vmcnt(0) lgkmcnt(0)
	v_fmac_f32_e32 v127, v129, v130
	s_andn2_b64 exec, exec, s[4:5]
	s_cbranch_execnz .LBB60_583
; %bb.584:
	s_or_b64 exec, exec, s[4:5]
.LBB60_585:
	s_or_b64 exec, exec, s[12:13]
	v_mov_b32_e32 v126, 0
	ds_read_b32 v126, v126 offset:4
	s_waitcnt lgkmcnt(0)
	v_mul_f32_e32 v126, v127, v126
	buffer_store_dword v126, off, s[0:3], 0 offset:4
.LBB60_586:
	s_or_b64 exec, exec, s[8:9]
	buffer_load_dword v126, off, s[0:3], 0
	v_cmp_ne_u32_e32 vcc, 0, v0
	s_waitcnt vmcnt(0)
	ds_write_b32 v124, v126
	s_waitcnt lgkmcnt(0)
	; wave barrier
	s_waitcnt lgkmcnt(0)
	s_and_saveexec_b64 s[4:5], vcc
	s_cbranch_execz .LBB60_596
; %bb.587:
	s_andn2_b64 vcc, exec, s[10:11]
	s_cbranch_vccnz .LBB60_589
; %bb.588:
	buffer_load_dword v126, v125, s[0:3], 0 offen
	ds_read_b32 v127, v124
	s_waitcnt vmcnt(0) lgkmcnt(0)
	v_mul_f32_e32 v126, v126, v127
	s_cbranch_execz .LBB60_590
	s_branch .LBB60_591
.LBB60_589:
                                        ; implicit-def: $vgpr126
.LBB60_590:
	ds_read_b32 v126, v124
.LBB60_591:
	s_and_saveexec_b64 s[8:9], s[6:7]
	s_cbranch_execz .LBB60_595
; %bb.592:
	v_mov_b32_e32 v127, 0
	v_or_b32_e32 v127, 4, v127
	v_add_u32_e32 v128, -1, v0
	s_movk_i32 s12, 0x104
	s_mov_b64 s[6:7], 0
.LBB60_593:                             ; =>This Inner Loop Header: Depth=1
	buffer_load_dword v129, v127, s[0:3], 0 offen
	v_mov_b32_e32 v130, s12
	ds_read_b32 v130, v130
	v_add_u32_e32 v128, -1, v128
	s_add_i32 s12, s12, 4
	v_cmp_eq_u32_e32 vcc, 0, v128
	v_add_u32_e32 v127, 4, v127
	s_or_b64 s[6:7], vcc, s[6:7]
	s_waitcnt vmcnt(0) lgkmcnt(0)
	v_fmac_f32_e32 v126, v129, v130
	s_andn2_b64 exec, exec, s[6:7]
	s_cbranch_execnz .LBB60_593
; %bb.594:
	s_or_b64 exec, exec, s[6:7]
.LBB60_595:
	s_or_b64 exec, exec, s[8:9]
	v_mov_b32_e32 v127, 0
	ds_read_b32 v127, v127
	s_waitcnt lgkmcnt(0)
	v_mul_f32_e32 v126, v126, v127
	buffer_store_dword v126, off, s[0:3], 0
.LBB60_596:
	s_or_b64 exec, exec, s[4:5]
	s_mov_b64 s[4:5], 0
.LBB60_597:
	s_and_b64 vcc, exec, s[4:5]
	s_cbranch_vccz .LBB60_1191
; %bb.598:
	buffer_load_dword v126, off, s[0:3], 0 offset:4
	v_cmp_eq_u32_e64 s[6:7], 0, v0
	s_waitcnt vmcnt(0)
	ds_write_b32 v124, v126
	s_waitcnt lgkmcnt(0)
	; wave barrier
	s_waitcnt lgkmcnt(0)
	s_and_saveexec_b64 s[4:5], s[6:7]
	s_cbranch_execz .LBB60_604
; %bb.599:
	s_and_b64 vcc, exec, s[10:11]
	s_cbranch_vccz .LBB60_601
; %bb.600:
	buffer_load_dword v126, v125, s[0:3], 0 offen
	ds_read_b32 v127, v124
	s_waitcnt vmcnt(0) lgkmcnt(0)
	v_mul_f32_e32 v126, v126, v127
	s_cbranch_execz .LBB60_602
	s_branch .LBB60_603
.LBB60_601:
                                        ; implicit-def: $vgpr126
.LBB60_602:
	ds_read_b32 v126, v124
.LBB60_603:
	v_mov_b32_e32 v127, 0
	ds_read_b32 v127, v127 offset:4
	s_waitcnt lgkmcnt(0)
	v_mul_f32_e32 v126, v126, v127
	buffer_store_dword v126, off, s[0:3], 0 offset:4
.LBB60_604:
	s_or_b64 exec, exec, s[4:5]
	buffer_load_dword v126, off, s[0:3], 0 offset:8
	v_cndmask_b32_e64 v127, 0, 1, s[10:11]
	v_cmp_gt_u32_e32 vcc, 2, v0
	v_cmp_ne_u32_e64 s[4:5], 1, v127
	s_waitcnt vmcnt(0)
	ds_write_b32 v124, v126
	s_waitcnt lgkmcnt(0)
	; wave barrier
	s_waitcnt lgkmcnt(0)
	s_and_saveexec_b64 s[8:9], vcc
	s_cbranch_execz .LBB60_612
; %bb.605:
	s_and_b64 vcc, exec, s[4:5]
	s_cbranch_vccnz .LBB60_607
; %bb.606:
	buffer_load_dword v126, v125, s[0:3], 0 offen
	ds_read_b32 v127, v124
	s_waitcnt vmcnt(0) lgkmcnt(0)
	v_mul_f32_e32 v126, v126, v127
	s_cbranch_execz .LBB60_608
	s_branch .LBB60_609
.LBB60_607:
                                        ; implicit-def: $vgpr126
.LBB60_608:
	ds_read_b32 v126, v124
.LBB60_609:
	s_and_saveexec_b64 s[10:11], s[6:7]
	s_cbranch_execz .LBB60_611
; %bb.610:
	buffer_load_dword v127, v125, s[0:3], 0 offen offset:4
	ds_read_b32 v128, v124 offset:4
	s_waitcnt vmcnt(0) lgkmcnt(0)
	v_fmac_f32_e32 v126, v127, v128
.LBB60_611:
	s_or_b64 exec, exec, s[10:11]
	v_mov_b32_e32 v127, 0
	ds_read_b32 v127, v127 offset:8
	s_waitcnt lgkmcnt(0)
	v_mul_f32_e32 v126, v126, v127
	buffer_store_dword v126, off, s[0:3], 0 offset:8
.LBB60_612:
	s_or_b64 exec, exec, s[8:9]
	buffer_load_dword v126, off, s[0:3], 0 offset:12
	v_cmp_gt_u32_e32 vcc, 3, v0
	s_waitcnt vmcnt(0)
	ds_write_b32 v124, v126
	s_waitcnt lgkmcnt(0)
	; wave barrier
	s_waitcnt lgkmcnt(0)
	s_and_saveexec_b64 s[8:9], vcc
	s_cbranch_execz .LBB60_620
; %bb.613:
	s_and_b64 vcc, exec, s[4:5]
	s_cbranch_vccnz .LBB60_615
; %bb.614:
	buffer_load_dword v126, v125, s[0:3], 0 offen
	ds_read_b32 v127, v124
	s_waitcnt vmcnt(0) lgkmcnt(0)
	v_mul_f32_e32 v126, v126, v127
	s_cbranch_execz .LBB60_616
	s_branch .LBB60_617
.LBB60_615:
                                        ; implicit-def: $vgpr126
.LBB60_616:
	ds_read_b32 v126, v124
.LBB60_617:
	v_cmp_ne_u32_e32 vcc, 2, v0
	s_and_saveexec_b64 s[10:11], vcc
	s_cbranch_execz .LBB60_619
; %bb.618:
	buffer_load_dword v127, v125, s[0:3], 0 offen offset:4
	buffer_load_dword v128, off, s[0:3], 0 offset:8
	v_mov_b32_e32 v129, 0
	ds_read_b32 v130, v124 offset:4
	ds_read_b32 v129, v129 offset:264
	s_waitcnt vmcnt(1) lgkmcnt(1)
	v_fmac_f32_e32 v126, v127, v130
	s_waitcnt vmcnt(0) lgkmcnt(0)
	v_fma_f32 v127, v128, v129, v126
	v_cndmask_b32_e64 v126, v126, v127, s[6:7]
.LBB60_619:
	s_or_b64 exec, exec, s[10:11]
	v_mov_b32_e32 v127, 0
	ds_read_b32 v127, v127 offset:12
	s_waitcnt lgkmcnt(0)
	v_mul_f32_e32 v126, v126, v127
	buffer_store_dword v126, off, s[0:3], 0 offset:12
.LBB60_620:
	s_or_b64 exec, exec, s[8:9]
	buffer_load_dword v126, off, s[0:3], 0 offset:16
	v_cmp_gt_u32_e32 vcc, 4, v0
	s_waitcnt vmcnt(0)
	ds_write_b32 v124, v126
	s_waitcnt lgkmcnt(0)
	; wave barrier
	s_waitcnt lgkmcnt(0)
	s_and_saveexec_b64 s[6:7], vcc
	s_cbranch_execz .LBB60_630
; %bb.621:
	s_and_b64 vcc, exec, s[4:5]
	s_cbranch_vccnz .LBB60_623
; %bb.622:
	buffer_load_dword v126, v125, s[0:3], 0 offen
	ds_read_b32 v127, v124
	s_waitcnt vmcnt(0) lgkmcnt(0)
	v_mul_f32_e32 v126, v126, v127
	s_cbranch_execz .LBB60_624
	s_branch .LBB60_625
.LBB60_623:
                                        ; implicit-def: $vgpr126
.LBB60_624:
	ds_read_b32 v126, v124
.LBB60_625:
	v_cmp_ne_u32_e32 vcc, 3, v0
	s_and_saveexec_b64 s[8:9], vcc
	s_cbranch_execz .LBB60_629
; %bb.626:
	v_mov_b32_e32 v128, 0
	v_add_u32_e32 v127, 0x104, v1
	v_add3_u32 v128, v1, v128, 4
	s_mov_b64 s[10:11], 0
	v_mov_b32_e32 v129, v0
.LBB60_627:                             ; =>This Inner Loop Header: Depth=1
	buffer_load_dword v130, v128, s[0:3], 0 offen
	ds_read_b32 v131, v127
	v_add_u32_e32 v129, 1, v129
	v_cmp_lt_u32_e32 vcc, 2, v129
	v_add_u32_e32 v127, 4, v127
	v_add_u32_e32 v128, 4, v128
	s_or_b64 s[10:11], vcc, s[10:11]
	s_waitcnt vmcnt(0) lgkmcnt(0)
	v_fmac_f32_e32 v126, v130, v131
	s_andn2_b64 exec, exec, s[10:11]
	s_cbranch_execnz .LBB60_627
; %bb.628:
	s_or_b64 exec, exec, s[10:11]
.LBB60_629:
	s_or_b64 exec, exec, s[8:9]
	v_mov_b32_e32 v127, 0
	ds_read_b32 v127, v127 offset:16
	s_waitcnt lgkmcnt(0)
	v_mul_f32_e32 v126, v126, v127
	buffer_store_dword v126, off, s[0:3], 0 offset:16
.LBB60_630:
	s_or_b64 exec, exec, s[6:7]
	buffer_load_dword v126, off, s[0:3], 0 offset:20
	v_cmp_gt_u32_e32 vcc, 5, v0
	s_waitcnt vmcnt(0)
	ds_write_b32 v124, v126
	s_waitcnt lgkmcnt(0)
	; wave barrier
	s_waitcnt lgkmcnt(0)
	s_and_saveexec_b64 s[6:7], vcc
	s_cbranch_execz .LBB60_640
; %bb.631:
	s_and_b64 vcc, exec, s[4:5]
	s_cbranch_vccnz .LBB60_633
; %bb.632:
	buffer_load_dword v126, v125, s[0:3], 0 offen
	ds_read_b32 v127, v124
	s_waitcnt vmcnt(0) lgkmcnt(0)
	v_mul_f32_e32 v126, v126, v127
	s_cbranch_execz .LBB60_634
	s_branch .LBB60_635
.LBB60_633:
                                        ; implicit-def: $vgpr126
.LBB60_634:
	ds_read_b32 v126, v124
.LBB60_635:
	v_cmp_ne_u32_e32 vcc, 4, v0
	s_and_saveexec_b64 s[8:9], vcc
	s_cbranch_execz .LBB60_639
; %bb.636:
	v_mov_b32_e32 v128, 0
	v_add_u32_e32 v127, 0x104, v1
	v_add3_u32 v128, v1, v128, 4
	s_mov_b64 s[10:11], 0
	v_mov_b32_e32 v129, v0
.LBB60_637:                             ; =>This Inner Loop Header: Depth=1
	buffer_load_dword v130, v128, s[0:3], 0 offen
	ds_read_b32 v131, v127
	v_add_u32_e32 v129, 1, v129
	v_cmp_lt_u32_e32 vcc, 3, v129
	v_add_u32_e32 v127, 4, v127
	v_add_u32_e32 v128, 4, v128
	s_or_b64 s[10:11], vcc, s[10:11]
	s_waitcnt vmcnt(0) lgkmcnt(0)
	v_fmac_f32_e32 v126, v130, v131
	s_andn2_b64 exec, exec, s[10:11]
	s_cbranch_execnz .LBB60_637
; %bb.638:
	s_or_b64 exec, exec, s[10:11]
.LBB60_639:
	s_or_b64 exec, exec, s[8:9]
	v_mov_b32_e32 v127, 0
	ds_read_b32 v127, v127 offset:20
	s_waitcnt lgkmcnt(0)
	v_mul_f32_e32 v126, v126, v127
	buffer_store_dword v126, off, s[0:3], 0 offset:20
.LBB60_640:
	s_or_b64 exec, exec, s[6:7]
	buffer_load_dword v126, off, s[0:3], 0 offset:24
	v_cmp_gt_u32_e32 vcc, 6, v0
	s_waitcnt vmcnt(0)
	ds_write_b32 v124, v126
	s_waitcnt lgkmcnt(0)
	; wave barrier
	s_waitcnt lgkmcnt(0)
	s_and_saveexec_b64 s[6:7], vcc
	s_cbranch_execz .LBB60_650
; %bb.641:
	s_and_b64 vcc, exec, s[4:5]
	s_cbranch_vccnz .LBB60_643
; %bb.642:
	buffer_load_dword v126, v125, s[0:3], 0 offen
	ds_read_b32 v127, v124
	s_waitcnt vmcnt(0) lgkmcnt(0)
	v_mul_f32_e32 v126, v126, v127
	s_cbranch_execz .LBB60_644
	s_branch .LBB60_645
.LBB60_643:
                                        ; implicit-def: $vgpr126
.LBB60_644:
	ds_read_b32 v126, v124
.LBB60_645:
	v_cmp_ne_u32_e32 vcc, 5, v0
	s_and_saveexec_b64 s[8:9], vcc
	s_cbranch_execz .LBB60_649
; %bb.646:
	v_mov_b32_e32 v128, 0
	v_add_u32_e32 v127, 0x104, v1
	v_add3_u32 v128, v1, v128, 4
	s_mov_b64 s[10:11], 0
	v_mov_b32_e32 v129, v0
.LBB60_647:                             ; =>This Inner Loop Header: Depth=1
	buffer_load_dword v130, v128, s[0:3], 0 offen
	ds_read_b32 v131, v127
	v_add_u32_e32 v129, 1, v129
	v_cmp_lt_u32_e32 vcc, 4, v129
	v_add_u32_e32 v127, 4, v127
	v_add_u32_e32 v128, 4, v128
	s_or_b64 s[10:11], vcc, s[10:11]
	s_waitcnt vmcnt(0) lgkmcnt(0)
	v_fmac_f32_e32 v126, v130, v131
	s_andn2_b64 exec, exec, s[10:11]
	s_cbranch_execnz .LBB60_647
; %bb.648:
	s_or_b64 exec, exec, s[10:11]
.LBB60_649:
	s_or_b64 exec, exec, s[8:9]
	v_mov_b32_e32 v127, 0
	ds_read_b32 v127, v127 offset:24
	s_waitcnt lgkmcnt(0)
	v_mul_f32_e32 v126, v126, v127
	buffer_store_dword v126, off, s[0:3], 0 offset:24
.LBB60_650:
	s_or_b64 exec, exec, s[6:7]
	buffer_load_dword v126, off, s[0:3], 0 offset:28
	v_cmp_gt_u32_e32 vcc, 7, v0
	s_waitcnt vmcnt(0)
	ds_write_b32 v124, v126
	s_waitcnt lgkmcnt(0)
	; wave barrier
	s_waitcnt lgkmcnt(0)
	s_and_saveexec_b64 s[6:7], vcc
	s_cbranch_execz .LBB60_660
; %bb.651:
	s_and_b64 vcc, exec, s[4:5]
	s_cbranch_vccnz .LBB60_653
; %bb.652:
	buffer_load_dword v126, v125, s[0:3], 0 offen
	ds_read_b32 v127, v124
	s_waitcnt vmcnt(0) lgkmcnt(0)
	v_mul_f32_e32 v126, v126, v127
	s_cbranch_execz .LBB60_654
	s_branch .LBB60_655
.LBB60_653:
                                        ; implicit-def: $vgpr126
.LBB60_654:
	ds_read_b32 v126, v124
.LBB60_655:
	v_cmp_ne_u32_e32 vcc, 6, v0
	s_and_saveexec_b64 s[8:9], vcc
	s_cbranch_execz .LBB60_659
; %bb.656:
	v_mov_b32_e32 v128, 0
	v_add_u32_e32 v127, 0x104, v1
	v_add3_u32 v128, v1, v128, 4
	s_mov_b64 s[10:11], 0
	v_mov_b32_e32 v129, v0
.LBB60_657:                             ; =>This Inner Loop Header: Depth=1
	buffer_load_dword v130, v128, s[0:3], 0 offen
	ds_read_b32 v131, v127
	v_add_u32_e32 v129, 1, v129
	v_cmp_lt_u32_e32 vcc, 5, v129
	v_add_u32_e32 v127, 4, v127
	v_add_u32_e32 v128, 4, v128
	s_or_b64 s[10:11], vcc, s[10:11]
	s_waitcnt vmcnt(0) lgkmcnt(0)
	v_fmac_f32_e32 v126, v130, v131
	s_andn2_b64 exec, exec, s[10:11]
	s_cbranch_execnz .LBB60_657
; %bb.658:
	s_or_b64 exec, exec, s[10:11]
.LBB60_659:
	s_or_b64 exec, exec, s[8:9]
	v_mov_b32_e32 v127, 0
	ds_read_b32 v127, v127 offset:28
	s_waitcnt lgkmcnt(0)
	v_mul_f32_e32 v126, v126, v127
	buffer_store_dword v126, off, s[0:3], 0 offset:28
.LBB60_660:
	s_or_b64 exec, exec, s[6:7]
	buffer_load_dword v126, off, s[0:3], 0 offset:32
	v_cmp_gt_u32_e32 vcc, 8, v0
	s_waitcnt vmcnt(0)
	ds_write_b32 v124, v126
	s_waitcnt lgkmcnt(0)
	; wave barrier
	s_waitcnt lgkmcnt(0)
	s_and_saveexec_b64 s[6:7], vcc
	s_cbranch_execz .LBB60_670
; %bb.661:
	s_and_b64 vcc, exec, s[4:5]
	s_cbranch_vccnz .LBB60_663
; %bb.662:
	buffer_load_dword v126, v125, s[0:3], 0 offen
	ds_read_b32 v127, v124
	s_waitcnt vmcnt(0) lgkmcnt(0)
	v_mul_f32_e32 v126, v126, v127
	s_cbranch_execz .LBB60_664
	s_branch .LBB60_665
.LBB60_663:
                                        ; implicit-def: $vgpr126
.LBB60_664:
	ds_read_b32 v126, v124
.LBB60_665:
	v_cmp_ne_u32_e32 vcc, 7, v0
	s_and_saveexec_b64 s[8:9], vcc
	s_cbranch_execz .LBB60_669
; %bb.666:
	v_mov_b32_e32 v128, 0
	v_add_u32_e32 v127, 0x104, v1
	v_add3_u32 v128, v1, v128, 4
	s_mov_b64 s[10:11], 0
	v_mov_b32_e32 v129, v0
.LBB60_667:                             ; =>This Inner Loop Header: Depth=1
	buffer_load_dword v130, v128, s[0:3], 0 offen
	ds_read_b32 v131, v127
	v_add_u32_e32 v129, 1, v129
	v_cmp_lt_u32_e32 vcc, 6, v129
	v_add_u32_e32 v127, 4, v127
	v_add_u32_e32 v128, 4, v128
	s_or_b64 s[10:11], vcc, s[10:11]
	s_waitcnt vmcnt(0) lgkmcnt(0)
	v_fmac_f32_e32 v126, v130, v131
	s_andn2_b64 exec, exec, s[10:11]
	s_cbranch_execnz .LBB60_667
; %bb.668:
	s_or_b64 exec, exec, s[10:11]
.LBB60_669:
	s_or_b64 exec, exec, s[8:9]
	v_mov_b32_e32 v127, 0
	ds_read_b32 v127, v127 offset:32
	s_waitcnt lgkmcnt(0)
	v_mul_f32_e32 v126, v126, v127
	buffer_store_dword v126, off, s[0:3], 0 offset:32
.LBB60_670:
	s_or_b64 exec, exec, s[6:7]
	buffer_load_dword v126, off, s[0:3], 0 offset:36
	v_cmp_gt_u32_e32 vcc, 9, v0
	s_waitcnt vmcnt(0)
	ds_write_b32 v124, v126
	s_waitcnt lgkmcnt(0)
	; wave barrier
	s_waitcnt lgkmcnt(0)
	s_and_saveexec_b64 s[6:7], vcc
	s_cbranch_execz .LBB60_680
; %bb.671:
	s_and_b64 vcc, exec, s[4:5]
	s_cbranch_vccnz .LBB60_673
; %bb.672:
	buffer_load_dword v126, v125, s[0:3], 0 offen
	ds_read_b32 v127, v124
	s_waitcnt vmcnt(0) lgkmcnt(0)
	v_mul_f32_e32 v126, v126, v127
	s_cbranch_execz .LBB60_674
	s_branch .LBB60_675
.LBB60_673:
                                        ; implicit-def: $vgpr126
.LBB60_674:
	ds_read_b32 v126, v124
.LBB60_675:
	v_cmp_ne_u32_e32 vcc, 8, v0
	s_and_saveexec_b64 s[8:9], vcc
	s_cbranch_execz .LBB60_679
; %bb.676:
	v_mov_b32_e32 v128, 0
	v_add_u32_e32 v127, 0x104, v1
	v_add3_u32 v128, v1, v128, 4
	s_mov_b64 s[10:11], 0
	v_mov_b32_e32 v129, v0
.LBB60_677:                             ; =>This Inner Loop Header: Depth=1
	buffer_load_dword v130, v128, s[0:3], 0 offen
	ds_read_b32 v131, v127
	v_add_u32_e32 v129, 1, v129
	v_cmp_lt_u32_e32 vcc, 7, v129
	v_add_u32_e32 v127, 4, v127
	v_add_u32_e32 v128, 4, v128
	s_or_b64 s[10:11], vcc, s[10:11]
	s_waitcnt vmcnt(0) lgkmcnt(0)
	v_fmac_f32_e32 v126, v130, v131
	s_andn2_b64 exec, exec, s[10:11]
	s_cbranch_execnz .LBB60_677
; %bb.678:
	s_or_b64 exec, exec, s[10:11]
.LBB60_679:
	s_or_b64 exec, exec, s[8:9]
	v_mov_b32_e32 v127, 0
	ds_read_b32 v127, v127 offset:36
	s_waitcnt lgkmcnt(0)
	v_mul_f32_e32 v126, v126, v127
	buffer_store_dword v126, off, s[0:3], 0 offset:36
.LBB60_680:
	s_or_b64 exec, exec, s[6:7]
	buffer_load_dword v126, off, s[0:3], 0 offset:40
	v_cmp_gt_u32_e32 vcc, 10, v0
	s_waitcnt vmcnt(0)
	ds_write_b32 v124, v126
	s_waitcnt lgkmcnt(0)
	; wave barrier
	s_waitcnt lgkmcnt(0)
	s_and_saveexec_b64 s[6:7], vcc
	s_cbranch_execz .LBB60_690
; %bb.681:
	s_and_b64 vcc, exec, s[4:5]
	s_cbranch_vccnz .LBB60_683
; %bb.682:
	buffer_load_dword v126, v125, s[0:3], 0 offen
	ds_read_b32 v127, v124
	s_waitcnt vmcnt(0) lgkmcnt(0)
	v_mul_f32_e32 v126, v126, v127
	s_cbranch_execz .LBB60_684
	s_branch .LBB60_685
.LBB60_683:
                                        ; implicit-def: $vgpr126
.LBB60_684:
	ds_read_b32 v126, v124
.LBB60_685:
	v_cmp_ne_u32_e32 vcc, 9, v0
	s_and_saveexec_b64 s[8:9], vcc
	s_cbranch_execz .LBB60_689
; %bb.686:
	v_mov_b32_e32 v128, 0
	v_add_u32_e32 v127, 0x104, v1
	v_add3_u32 v128, v1, v128, 4
	s_mov_b64 s[10:11], 0
	v_mov_b32_e32 v129, v0
.LBB60_687:                             ; =>This Inner Loop Header: Depth=1
	buffer_load_dword v130, v128, s[0:3], 0 offen
	ds_read_b32 v131, v127
	v_add_u32_e32 v129, 1, v129
	v_cmp_lt_u32_e32 vcc, 8, v129
	v_add_u32_e32 v127, 4, v127
	v_add_u32_e32 v128, 4, v128
	s_or_b64 s[10:11], vcc, s[10:11]
	s_waitcnt vmcnt(0) lgkmcnt(0)
	v_fmac_f32_e32 v126, v130, v131
	s_andn2_b64 exec, exec, s[10:11]
	s_cbranch_execnz .LBB60_687
; %bb.688:
	s_or_b64 exec, exec, s[10:11]
.LBB60_689:
	s_or_b64 exec, exec, s[8:9]
	v_mov_b32_e32 v127, 0
	ds_read_b32 v127, v127 offset:40
	s_waitcnt lgkmcnt(0)
	v_mul_f32_e32 v126, v126, v127
	buffer_store_dword v126, off, s[0:3], 0 offset:40
.LBB60_690:
	s_or_b64 exec, exec, s[6:7]
	buffer_load_dword v126, off, s[0:3], 0 offset:44
	v_cmp_gt_u32_e32 vcc, 11, v0
	s_waitcnt vmcnt(0)
	ds_write_b32 v124, v126
	s_waitcnt lgkmcnt(0)
	; wave barrier
	s_waitcnt lgkmcnt(0)
	s_and_saveexec_b64 s[6:7], vcc
	s_cbranch_execz .LBB60_700
; %bb.691:
	s_and_b64 vcc, exec, s[4:5]
	s_cbranch_vccnz .LBB60_693
; %bb.692:
	buffer_load_dword v126, v125, s[0:3], 0 offen
	ds_read_b32 v127, v124
	s_waitcnt vmcnt(0) lgkmcnt(0)
	v_mul_f32_e32 v126, v126, v127
	s_cbranch_execz .LBB60_694
	s_branch .LBB60_695
.LBB60_693:
                                        ; implicit-def: $vgpr126
.LBB60_694:
	ds_read_b32 v126, v124
.LBB60_695:
	v_cmp_ne_u32_e32 vcc, 10, v0
	s_and_saveexec_b64 s[8:9], vcc
	s_cbranch_execz .LBB60_699
; %bb.696:
	v_mov_b32_e32 v128, 0
	v_add_u32_e32 v127, 0x104, v1
	v_add3_u32 v128, v1, v128, 4
	s_mov_b64 s[10:11], 0
	v_mov_b32_e32 v129, v0
.LBB60_697:                             ; =>This Inner Loop Header: Depth=1
	buffer_load_dword v130, v128, s[0:3], 0 offen
	ds_read_b32 v131, v127
	v_add_u32_e32 v129, 1, v129
	v_cmp_lt_u32_e32 vcc, 9, v129
	v_add_u32_e32 v127, 4, v127
	v_add_u32_e32 v128, 4, v128
	s_or_b64 s[10:11], vcc, s[10:11]
	s_waitcnt vmcnt(0) lgkmcnt(0)
	v_fmac_f32_e32 v126, v130, v131
	s_andn2_b64 exec, exec, s[10:11]
	s_cbranch_execnz .LBB60_697
; %bb.698:
	s_or_b64 exec, exec, s[10:11]
.LBB60_699:
	s_or_b64 exec, exec, s[8:9]
	v_mov_b32_e32 v127, 0
	ds_read_b32 v127, v127 offset:44
	s_waitcnt lgkmcnt(0)
	v_mul_f32_e32 v126, v126, v127
	buffer_store_dword v126, off, s[0:3], 0 offset:44
.LBB60_700:
	s_or_b64 exec, exec, s[6:7]
	buffer_load_dword v126, off, s[0:3], 0 offset:48
	v_cmp_gt_u32_e32 vcc, 12, v0
	s_waitcnt vmcnt(0)
	ds_write_b32 v124, v126
	s_waitcnt lgkmcnt(0)
	; wave barrier
	s_waitcnt lgkmcnt(0)
	s_and_saveexec_b64 s[6:7], vcc
	s_cbranch_execz .LBB60_710
; %bb.701:
	s_and_b64 vcc, exec, s[4:5]
	s_cbranch_vccnz .LBB60_703
; %bb.702:
	buffer_load_dword v126, v125, s[0:3], 0 offen
	ds_read_b32 v127, v124
	s_waitcnt vmcnt(0) lgkmcnt(0)
	v_mul_f32_e32 v126, v126, v127
	s_cbranch_execz .LBB60_704
	s_branch .LBB60_705
.LBB60_703:
                                        ; implicit-def: $vgpr126
.LBB60_704:
	ds_read_b32 v126, v124
.LBB60_705:
	v_cmp_ne_u32_e32 vcc, 11, v0
	s_and_saveexec_b64 s[8:9], vcc
	s_cbranch_execz .LBB60_709
; %bb.706:
	v_mov_b32_e32 v128, 0
	v_add_u32_e32 v127, 0x104, v1
	v_add3_u32 v128, v1, v128, 4
	s_mov_b64 s[10:11], 0
	v_mov_b32_e32 v129, v0
.LBB60_707:                             ; =>This Inner Loop Header: Depth=1
	buffer_load_dword v130, v128, s[0:3], 0 offen
	ds_read_b32 v131, v127
	v_add_u32_e32 v129, 1, v129
	v_cmp_lt_u32_e32 vcc, 10, v129
	v_add_u32_e32 v127, 4, v127
	v_add_u32_e32 v128, 4, v128
	s_or_b64 s[10:11], vcc, s[10:11]
	s_waitcnt vmcnt(0) lgkmcnt(0)
	v_fmac_f32_e32 v126, v130, v131
	s_andn2_b64 exec, exec, s[10:11]
	s_cbranch_execnz .LBB60_707
; %bb.708:
	s_or_b64 exec, exec, s[10:11]
.LBB60_709:
	s_or_b64 exec, exec, s[8:9]
	v_mov_b32_e32 v127, 0
	ds_read_b32 v127, v127 offset:48
	s_waitcnt lgkmcnt(0)
	v_mul_f32_e32 v126, v126, v127
	buffer_store_dword v126, off, s[0:3], 0 offset:48
.LBB60_710:
	s_or_b64 exec, exec, s[6:7]
	buffer_load_dword v126, off, s[0:3], 0 offset:52
	v_cmp_gt_u32_e32 vcc, 13, v0
	s_waitcnt vmcnt(0)
	ds_write_b32 v124, v126
	s_waitcnt lgkmcnt(0)
	; wave barrier
	s_waitcnt lgkmcnt(0)
	s_and_saveexec_b64 s[6:7], vcc
	s_cbranch_execz .LBB60_720
; %bb.711:
	s_and_b64 vcc, exec, s[4:5]
	s_cbranch_vccnz .LBB60_713
; %bb.712:
	buffer_load_dword v126, v125, s[0:3], 0 offen
	ds_read_b32 v127, v124
	s_waitcnt vmcnt(0) lgkmcnt(0)
	v_mul_f32_e32 v126, v126, v127
	s_cbranch_execz .LBB60_714
	s_branch .LBB60_715
.LBB60_713:
                                        ; implicit-def: $vgpr126
.LBB60_714:
	ds_read_b32 v126, v124
.LBB60_715:
	v_cmp_ne_u32_e32 vcc, 12, v0
	s_and_saveexec_b64 s[8:9], vcc
	s_cbranch_execz .LBB60_719
; %bb.716:
	v_mov_b32_e32 v128, 0
	v_add_u32_e32 v127, 0x104, v1
	v_add3_u32 v128, v1, v128, 4
	s_mov_b64 s[10:11], 0
	v_mov_b32_e32 v129, v0
.LBB60_717:                             ; =>This Inner Loop Header: Depth=1
	buffer_load_dword v130, v128, s[0:3], 0 offen
	ds_read_b32 v131, v127
	v_add_u32_e32 v129, 1, v129
	v_cmp_lt_u32_e32 vcc, 11, v129
	v_add_u32_e32 v127, 4, v127
	v_add_u32_e32 v128, 4, v128
	s_or_b64 s[10:11], vcc, s[10:11]
	s_waitcnt vmcnt(0) lgkmcnt(0)
	v_fmac_f32_e32 v126, v130, v131
	s_andn2_b64 exec, exec, s[10:11]
	s_cbranch_execnz .LBB60_717
; %bb.718:
	s_or_b64 exec, exec, s[10:11]
.LBB60_719:
	s_or_b64 exec, exec, s[8:9]
	v_mov_b32_e32 v127, 0
	ds_read_b32 v127, v127 offset:52
	s_waitcnt lgkmcnt(0)
	v_mul_f32_e32 v126, v126, v127
	buffer_store_dword v126, off, s[0:3], 0 offset:52
.LBB60_720:
	s_or_b64 exec, exec, s[6:7]
	buffer_load_dword v126, off, s[0:3], 0 offset:56
	v_cmp_gt_u32_e32 vcc, 14, v0
	s_waitcnt vmcnt(0)
	ds_write_b32 v124, v126
	s_waitcnt lgkmcnt(0)
	; wave barrier
	s_waitcnt lgkmcnt(0)
	s_and_saveexec_b64 s[6:7], vcc
	s_cbranch_execz .LBB60_730
; %bb.721:
	s_and_b64 vcc, exec, s[4:5]
	s_cbranch_vccnz .LBB60_723
; %bb.722:
	buffer_load_dword v126, v125, s[0:3], 0 offen
	ds_read_b32 v127, v124
	s_waitcnt vmcnt(0) lgkmcnt(0)
	v_mul_f32_e32 v126, v126, v127
	s_cbranch_execz .LBB60_724
	s_branch .LBB60_725
.LBB60_723:
                                        ; implicit-def: $vgpr126
.LBB60_724:
	ds_read_b32 v126, v124
.LBB60_725:
	v_cmp_ne_u32_e32 vcc, 13, v0
	s_and_saveexec_b64 s[8:9], vcc
	s_cbranch_execz .LBB60_729
; %bb.726:
	v_mov_b32_e32 v128, 0
	v_add_u32_e32 v127, 0x104, v1
	v_add3_u32 v128, v1, v128, 4
	s_mov_b64 s[10:11], 0
	v_mov_b32_e32 v129, v0
.LBB60_727:                             ; =>This Inner Loop Header: Depth=1
	buffer_load_dword v130, v128, s[0:3], 0 offen
	ds_read_b32 v131, v127
	v_add_u32_e32 v129, 1, v129
	v_cmp_lt_u32_e32 vcc, 12, v129
	v_add_u32_e32 v127, 4, v127
	v_add_u32_e32 v128, 4, v128
	s_or_b64 s[10:11], vcc, s[10:11]
	s_waitcnt vmcnt(0) lgkmcnt(0)
	v_fmac_f32_e32 v126, v130, v131
	s_andn2_b64 exec, exec, s[10:11]
	s_cbranch_execnz .LBB60_727
; %bb.728:
	s_or_b64 exec, exec, s[10:11]
.LBB60_729:
	s_or_b64 exec, exec, s[8:9]
	v_mov_b32_e32 v127, 0
	ds_read_b32 v127, v127 offset:56
	s_waitcnt lgkmcnt(0)
	v_mul_f32_e32 v126, v126, v127
	buffer_store_dword v126, off, s[0:3], 0 offset:56
.LBB60_730:
	s_or_b64 exec, exec, s[6:7]
	buffer_load_dword v126, off, s[0:3], 0 offset:60
	v_cmp_gt_u32_e32 vcc, 15, v0
	s_waitcnt vmcnt(0)
	ds_write_b32 v124, v126
	s_waitcnt lgkmcnt(0)
	; wave barrier
	s_waitcnt lgkmcnt(0)
	s_and_saveexec_b64 s[6:7], vcc
	s_cbranch_execz .LBB60_740
; %bb.731:
	s_and_b64 vcc, exec, s[4:5]
	s_cbranch_vccnz .LBB60_733
; %bb.732:
	buffer_load_dword v126, v125, s[0:3], 0 offen
	ds_read_b32 v127, v124
	s_waitcnt vmcnt(0) lgkmcnt(0)
	v_mul_f32_e32 v126, v126, v127
	s_cbranch_execz .LBB60_734
	s_branch .LBB60_735
.LBB60_733:
                                        ; implicit-def: $vgpr126
.LBB60_734:
	ds_read_b32 v126, v124
.LBB60_735:
	v_cmp_ne_u32_e32 vcc, 14, v0
	s_and_saveexec_b64 s[8:9], vcc
	s_cbranch_execz .LBB60_739
; %bb.736:
	v_mov_b32_e32 v128, 0
	v_add_u32_e32 v127, 0x104, v1
	v_add3_u32 v128, v1, v128, 4
	s_mov_b64 s[10:11], 0
	v_mov_b32_e32 v129, v0
.LBB60_737:                             ; =>This Inner Loop Header: Depth=1
	buffer_load_dword v130, v128, s[0:3], 0 offen
	ds_read_b32 v131, v127
	v_add_u32_e32 v129, 1, v129
	v_cmp_lt_u32_e32 vcc, 13, v129
	v_add_u32_e32 v127, 4, v127
	v_add_u32_e32 v128, 4, v128
	s_or_b64 s[10:11], vcc, s[10:11]
	s_waitcnt vmcnt(0) lgkmcnt(0)
	v_fmac_f32_e32 v126, v130, v131
	s_andn2_b64 exec, exec, s[10:11]
	s_cbranch_execnz .LBB60_737
; %bb.738:
	s_or_b64 exec, exec, s[10:11]
.LBB60_739:
	s_or_b64 exec, exec, s[8:9]
	v_mov_b32_e32 v127, 0
	ds_read_b32 v127, v127 offset:60
	s_waitcnt lgkmcnt(0)
	v_mul_f32_e32 v126, v126, v127
	buffer_store_dword v126, off, s[0:3], 0 offset:60
.LBB60_740:
	s_or_b64 exec, exec, s[6:7]
	buffer_load_dword v126, off, s[0:3], 0 offset:64
	v_cmp_gt_u32_e32 vcc, 16, v0
	s_waitcnt vmcnt(0)
	ds_write_b32 v124, v126
	s_waitcnt lgkmcnt(0)
	; wave barrier
	s_waitcnt lgkmcnt(0)
	s_and_saveexec_b64 s[6:7], vcc
	s_cbranch_execz .LBB60_750
; %bb.741:
	s_and_b64 vcc, exec, s[4:5]
	s_cbranch_vccnz .LBB60_743
; %bb.742:
	buffer_load_dword v126, v125, s[0:3], 0 offen
	ds_read_b32 v127, v124
	s_waitcnt vmcnt(0) lgkmcnt(0)
	v_mul_f32_e32 v126, v126, v127
	s_cbranch_execz .LBB60_744
	s_branch .LBB60_745
.LBB60_743:
                                        ; implicit-def: $vgpr126
.LBB60_744:
	ds_read_b32 v126, v124
.LBB60_745:
	v_cmp_ne_u32_e32 vcc, 15, v0
	s_and_saveexec_b64 s[8:9], vcc
	s_cbranch_execz .LBB60_749
; %bb.746:
	v_mov_b32_e32 v128, 0
	v_add_u32_e32 v127, 0x104, v1
	v_add3_u32 v128, v1, v128, 4
	s_mov_b64 s[10:11], 0
	v_mov_b32_e32 v129, v0
.LBB60_747:                             ; =>This Inner Loop Header: Depth=1
	buffer_load_dword v130, v128, s[0:3], 0 offen
	ds_read_b32 v131, v127
	v_add_u32_e32 v129, 1, v129
	v_cmp_lt_u32_e32 vcc, 14, v129
	v_add_u32_e32 v127, 4, v127
	v_add_u32_e32 v128, 4, v128
	s_or_b64 s[10:11], vcc, s[10:11]
	s_waitcnt vmcnt(0) lgkmcnt(0)
	v_fmac_f32_e32 v126, v130, v131
	s_andn2_b64 exec, exec, s[10:11]
	s_cbranch_execnz .LBB60_747
; %bb.748:
	s_or_b64 exec, exec, s[10:11]
.LBB60_749:
	s_or_b64 exec, exec, s[8:9]
	v_mov_b32_e32 v127, 0
	ds_read_b32 v127, v127 offset:64
	s_waitcnt lgkmcnt(0)
	v_mul_f32_e32 v126, v126, v127
	buffer_store_dword v126, off, s[0:3], 0 offset:64
.LBB60_750:
	s_or_b64 exec, exec, s[6:7]
	buffer_load_dword v126, off, s[0:3], 0 offset:68
	v_cmp_gt_u32_e32 vcc, 17, v0
	s_waitcnt vmcnt(0)
	ds_write_b32 v124, v126
	s_waitcnt lgkmcnt(0)
	; wave barrier
	s_waitcnt lgkmcnt(0)
	s_and_saveexec_b64 s[6:7], vcc
	s_cbranch_execz .LBB60_760
; %bb.751:
	s_and_b64 vcc, exec, s[4:5]
	s_cbranch_vccnz .LBB60_753
; %bb.752:
	buffer_load_dword v126, v125, s[0:3], 0 offen
	ds_read_b32 v127, v124
	s_waitcnt vmcnt(0) lgkmcnt(0)
	v_mul_f32_e32 v126, v126, v127
	s_cbranch_execz .LBB60_754
	s_branch .LBB60_755
.LBB60_753:
                                        ; implicit-def: $vgpr126
.LBB60_754:
	ds_read_b32 v126, v124
.LBB60_755:
	v_cmp_ne_u32_e32 vcc, 16, v0
	s_and_saveexec_b64 s[8:9], vcc
	s_cbranch_execz .LBB60_759
; %bb.756:
	v_mov_b32_e32 v128, 0
	v_add_u32_e32 v127, 0x104, v1
	v_add3_u32 v128, v1, v128, 4
	s_mov_b64 s[10:11], 0
	v_mov_b32_e32 v129, v0
.LBB60_757:                             ; =>This Inner Loop Header: Depth=1
	buffer_load_dword v130, v128, s[0:3], 0 offen
	ds_read_b32 v131, v127
	v_add_u32_e32 v129, 1, v129
	v_cmp_lt_u32_e32 vcc, 15, v129
	v_add_u32_e32 v127, 4, v127
	v_add_u32_e32 v128, 4, v128
	s_or_b64 s[10:11], vcc, s[10:11]
	s_waitcnt vmcnt(0) lgkmcnt(0)
	v_fmac_f32_e32 v126, v130, v131
	s_andn2_b64 exec, exec, s[10:11]
	s_cbranch_execnz .LBB60_757
; %bb.758:
	s_or_b64 exec, exec, s[10:11]
.LBB60_759:
	s_or_b64 exec, exec, s[8:9]
	v_mov_b32_e32 v127, 0
	ds_read_b32 v127, v127 offset:68
	s_waitcnt lgkmcnt(0)
	v_mul_f32_e32 v126, v126, v127
	buffer_store_dword v126, off, s[0:3], 0 offset:68
.LBB60_760:
	s_or_b64 exec, exec, s[6:7]
	buffer_load_dword v126, off, s[0:3], 0 offset:72
	v_cmp_gt_u32_e32 vcc, 18, v0
	s_waitcnt vmcnt(0)
	ds_write_b32 v124, v126
	s_waitcnt lgkmcnt(0)
	; wave barrier
	s_waitcnt lgkmcnt(0)
	s_and_saveexec_b64 s[6:7], vcc
	s_cbranch_execz .LBB60_770
; %bb.761:
	s_and_b64 vcc, exec, s[4:5]
	s_cbranch_vccnz .LBB60_763
; %bb.762:
	buffer_load_dword v126, v125, s[0:3], 0 offen
	ds_read_b32 v127, v124
	s_waitcnt vmcnt(0) lgkmcnt(0)
	v_mul_f32_e32 v126, v126, v127
	s_cbranch_execz .LBB60_764
	s_branch .LBB60_765
.LBB60_763:
                                        ; implicit-def: $vgpr126
.LBB60_764:
	ds_read_b32 v126, v124
.LBB60_765:
	v_cmp_ne_u32_e32 vcc, 17, v0
	s_and_saveexec_b64 s[8:9], vcc
	s_cbranch_execz .LBB60_769
; %bb.766:
	v_mov_b32_e32 v128, 0
	v_add_u32_e32 v127, 0x104, v1
	v_add3_u32 v128, v1, v128, 4
	s_mov_b64 s[10:11], 0
	v_mov_b32_e32 v129, v0
.LBB60_767:                             ; =>This Inner Loop Header: Depth=1
	buffer_load_dword v130, v128, s[0:3], 0 offen
	ds_read_b32 v131, v127
	v_add_u32_e32 v129, 1, v129
	v_cmp_lt_u32_e32 vcc, 16, v129
	v_add_u32_e32 v127, 4, v127
	v_add_u32_e32 v128, 4, v128
	s_or_b64 s[10:11], vcc, s[10:11]
	s_waitcnt vmcnt(0) lgkmcnt(0)
	v_fmac_f32_e32 v126, v130, v131
	s_andn2_b64 exec, exec, s[10:11]
	s_cbranch_execnz .LBB60_767
; %bb.768:
	s_or_b64 exec, exec, s[10:11]
.LBB60_769:
	s_or_b64 exec, exec, s[8:9]
	v_mov_b32_e32 v127, 0
	ds_read_b32 v127, v127 offset:72
	s_waitcnt lgkmcnt(0)
	v_mul_f32_e32 v126, v126, v127
	buffer_store_dword v126, off, s[0:3], 0 offset:72
.LBB60_770:
	s_or_b64 exec, exec, s[6:7]
	buffer_load_dword v126, off, s[0:3], 0 offset:76
	v_cmp_gt_u32_e32 vcc, 19, v0
	s_waitcnt vmcnt(0)
	ds_write_b32 v124, v126
	s_waitcnt lgkmcnt(0)
	; wave barrier
	s_waitcnt lgkmcnt(0)
	s_and_saveexec_b64 s[6:7], vcc
	s_cbranch_execz .LBB60_780
; %bb.771:
	s_and_b64 vcc, exec, s[4:5]
	s_cbranch_vccnz .LBB60_773
; %bb.772:
	buffer_load_dword v126, v125, s[0:3], 0 offen
	ds_read_b32 v127, v124
	s_waitcnt vmcnt(0) lgkmcnt(0)
	v_mul_f32_e32 v126, v126, v127
	s_cbranch_execz .LBB60_774
	s_branch .LBB60_775
.LBB60_773:
                                        ; implicit-def: $vgpr126
.LBB60_774:
	ds_read_b32 v126, v124
.LBB60_775:
	v_cmp_ne_u32_e32 vcc, 18, v0
	s_and_saveexec_b64 s[8:9], vcc
	s_cbranch_execz .LBB60_779
; %bb.776:
	v_mov_b32_e32 v128, 0
	v_add_u32_e32 v127, 0x104, v1
	v_add3_u32 v128, v1, v128, 4
	s_mov_b64 s[10:11], 0
	v_mov_b32_e32 v129, v0
.LBB60_777:                             ; =>This Inner Loop Header: Depth=1
	buffer_load_dword v130, v128, s[0:3], 0 offen
	ds_read_b32 v131, v127
	v_add_u32_e32 v129, 1, v129
	v_cmp_lt_u32_e32 vcc, 17, v129
	v_add_u32_e32 v127, 4, v127
	v_add_u32_e32 v128, 4, v128
	s_or_b64 s[10:11], vcc, s[10:11]
	s_waitcnt vmcnt(0) lgkmcnt(0)
	v_fmac_f32_e32 v126, v130, v131
	s_andn2_b64 exec, exec, s[10:11]
	s_cbranch_execnz .LBB60_777
; %bb.778:
	s_or_b64 exec, exec, s[10:11]
.LBB60_779:
	s_or_b64 exec, exec, s[8:9]
	v_mov_b32_e32 v127, 0
	ds_read_b32 v127, v127 offset:76
	s_waitcnt lgkmcnt(0)
	v_mul_f32_e32 v126, v126, v127
	buffer_store_dword v126, off, s[0:3], 0 offset:76
.LBB60_780:
	s_or_b64 exec, exec, s[6:7]
	buffer_load_dword v126, off, s[0:3], 0 offset:80
	v_cmp_gt_u32_e32 vcc, 20, v0
	s_waitcnt vmcnt(0)
	ds_write_b32 v124, v126
	s_waitcnt lgkmcnt(0)
	; wave barrier
	s_waitcnt lgkmcnt(0)
	s_and_saveexec_b64 s[6:7], vcc
	s_cbranch_execz .LBB60_790
; %bb.781:
	s_and_b64 vcc, exec, s[4:5]
	s_cbranch_vccnz .LBB60_783
; %bb.782:
	buffer_load_dword v126, v125, s[0:3], 0 offen
	ds_read_b32 v127, v124
	s_waitcnt vmcnt(0) lgkmcnt(0)
	v_mul_f32_e32 v126, v126, v127
	s_cbranch_execz .LBB60_784
	s_branch .LBB60_785
.LBB60_783:
                                        ; implicit-def: $vgpr126
.LBB60_784:
	ds_read_b32 v126, v124
.LBB60_785:
	v_cmp_ne_u32_e32 vcc, 19, v0
	s_and_saveexec_b64 s[8:9], vcc
	s_cbranch_execz .LBB60_789
; %bb.786:
	v_mov_b32_e32 v128, 0
	v_add_u32_e32 v127, 0x104, v1
	v_add3_u32 v128, v1, v128, 4
	s_mov_b64 s[10:11], 0
	v_mov_b32_e32 v129, v0
.LBB60_787:                             ; =>This Inner Loop Header: Depth=1
	buffer_load_dword v130, v128, s[0:3], 0 offen
	ds_read_b32 v131, v127
	v_add_u32_e32 v129, 1, v129
	v_cmp_lt_u32_e32 vcc, 18, v129
	v_add_u32_e32 v127, 4, v127
	v_add_u32_e32 v128, 4, v128
	s_or_b64 s[10:11], vcc, s[10:11]
	s_waitcnt vmcnt(0) lgkmcnt(0)
	v_fmac_f32_e32 v126, v130, v131
	s_andn2_b64 exec, exec, s[10:11]
	s_cbranch_execnz .LBB60_787
; %bb.788:
	s_or_b64 exec, exec, s[10:11]
.LBB60_789:
	s_or_b64 exec, exec, s[8:9]
	v_mov_b32_e32 v127, 0
	ds_read_b32 v127, v127 offset:80
	s_waitcnt lgkmcnt(0)
	v_mul_f32_e32 v126, v126, v127
	buffer_store_dword v126, off, s[0:3], 0 offset:80
.LBB60_790:
	s_or_b64 exec, exec, s[6:7]
	buffer_load_dword v126, off, s[0:3], 0 offset:84
	v_cmp_gt_u32_e32 vcc, 21, v0
	s_waitcnt vmcnt(0)
	ds_write_b32 v124, v126
	s_waitcnt lgkmcnt(0)
	; wave barrier
	s_waitcnt lgkmcnt(0)
	s_and_saveexec_b64 s[6:7], vcc
	s_cbranch_execz .LBB60_800
; %bb.791:
	s_and_b64 vcc, exec, s[4:5]
	s_cbranch_vccnz .LBB60_793
; %bb.792:
	buffer_load_dword v126, v125, s[0:3], 0 offen
	ds_read_b32 v127, v124
	s_waitcnt vmcnt(0) lgkmcnt(0)
	v_mul_f32_e32 v126, v126, v127
	s_cbranch_execz .LBB60_794
	s_branch .LBB60_795
.LBB60_793:
                                        ; implicit-def: $vgpr126
.LBB60_794:
	ds_read_b32 v126, v124
.LBB60_795:
	v_cmp_ne_u32_e32 vcc, 20, v0
	s_and_saveexec_b64 s[8:9], vcc
	s_cbranch_execz .LBB60_799
; %bb.796:
	v_mov_b32_e32 v128, 0
	v_add_u32_e32 v127, 0x104, v1
	v_add3_u32 v128, v1, v128, 4
	s_mov_b64 s[10:11], 0
	v_mov_b32_e32 v129, v0
.LBB60_797:                             ; =>This Inner Loop Header: Depth=1
	buffer_load_dword v130, v128, s[0:3], 0 offen
	ds_read_b32 v131, v127
	v_add_u32_e32 v129, 1, v129
	v_cmp_lt_u32_e32 vcc, 19, v129
	v_add_u32_e32 v127, 4, v127
	v_add_u32_e32 v128, 4, v128
	s_or_b64 s[10:11], vcc, s[10:11]
	s_waitcnt vmcnt(0) lgkmcnt(0)
	v_fmac_f32_e32 v126, v130, v131
	s_andn2_b64 exec, exec, s[10:11]
	s_cbranch_execnz .LBB60_797
; %bb.798:
	s_or_b64 exec, exec, s[10:11]
.LBB60_799:
	s_or_b64 exec, exec, s[8:9]
	v_mov_b32_e32 v127, 0
	ds_read_b32 v127, v127 offset:84
	s_waitcnt lgkmcnt(0)
	v_mul_f32_e32 v126, v126, v127
	buffer_store_dword v126, off, s[0:3], 0 offset:84
.LBB60_800:
	s_or_b64 exec, exec, s[6:7]
	buffer_load_dword v126, off, s[0:3], 0 offset:88
	v_cmp_gt_u32_e32 vcc, 22, v0
	s_waitcnt vmcnt(0)
	ds_write_b32 v124, v126
	s_waitcnt lgkmcnt(0)
	; wave barrier
	s_waitcnt lgkmcnt(0)
	s_and_saveexec_b64 s[6:7], vcc
	s_cbranch_execz .LBB60_810
; %bb.801:
	s_and_b64 vcc, exec, s[4:5]
	s_cbranch_vccnz .LBB60_803
; %bb.802:
	buffer_load_dword v126, v125, s[0:3], 0 offen
	ds_read_b32 v127, v124
	s_waitcnt vmcnt(0) lgkmcnt(0)
	v_mul_f32_e32 v126, v126, v127
	s_cbranch_execz .LBB60_804
	s_branch .LBB60_805
.LBB60_803:
                                        ; implicit-def: $vgpr126
.LBB60_804:
	ds_read_b32 v126, v124
.LBB60_805:
	v_cmp_ne_u32_e32 vcc, 21, v0
	s_and_saveexec_b64 s[8:9], vcc
	s_cbranch_execz .LBB60_809
; %bb.806:
	v_mov_b32_e32 v128, 0
	v_add_u32_e32 v127, 0x104, v1
	v_add3_u32 v128, v1, v128, 4
	s_mov_b64 s[10:11], 0
	v_mov_b32_e32 v129, v0
.LBB60_807:                             ; =>This Inner Loop Header: Depth=1
	buffer_load_dword v130, v128, s[0:3], 0 offen
	ds_read_b32 v131, v127
	v_add_u32_e32 v129, 1, v129
	v_cmp_lt_u32_e32 vcc, 20, v129
	v_add_u32_e32 v127, 4, v127
	v_add_u32_e32 v128, 4, v128
	s_or_b64 s[10:11], vcc, s[10:11]
	s_waitcnt vmcnt(0) lgkmcnt(0)
	v_fmac_f32_e32 v126, v130, v131
	s_andn2_b64 exec, exec, s[10:11]
	s_cbranch_execnz .LBB60_807
; %bb.808:
	s_or_b64 exec, exec, s[10:11]
.LBB60_809:
	s_or_b64 exec, exec, s[8:9]
	v_mov_b32_e32 v127, 0
	ds_read_b32 v127, v127 offset:88
	s_waitcnt lgkmcnt(0)
	v_mul_f32_e32 v126, v126, v127
	buffer_store_dword v126, off, s[0:3], 0 offset:88
.LBB60_810:
	s_or_b64 exec, exec, s[6:7]
	buffer_load_dword v126, off, s[0:3], 0 offset:92
	v_cmp_gt_u32_e32 vcc, 23, v0
	s_waitcnt vmcnt(0)
	ds_write_b32 v124, v126
	s_waitcnt lgkmcnt(0)
	; wave barrier
	s_waitcnt lgkmcnt(0)
	s_and_saveexec_b64 s[6:7], vcc
	s_cbranch_execz .LBB60_820
; %bb.811:
	s_and_b64 vcc, exec, s[4:5]
	s_cbranch_vccnz .LBB60_813
; %bb.812:
	buffer_load_dword v126, v125, s[0:3], 0 offen
	ds_read_b32 v127, v124
	s_waitcnt vmcnt(0) lgkmcnt(0)
	v_mul_f32_e32 v126, v126, v127
	s_cbranch_execz .LBB60_814
	s_branch .LBB60_815
.LBB60_813:
                                        ; implicit-def: $vgpr126
.LBB60_814:
	ds_read_b32 v126, v124
.LBB60_815:
	v_cmp_ne_u32_e32 vcc, 22, v0
	s_and_saveexec_b64 s[8:9], vcc
	s_cbranch_execz .LBB60_819
; %bb.816:
	v_mov_b32_e32 v128, 0
	v_add_u32_e32 v127, 0x104, v1
	v_add3_u32 v128, v1, v128, 4
	s_mov_b64 s[10:11], 0
	v_mov_b32_e32 v129, v0
.LBB60_817:                             ; =>This Inner Loop Header: Depth=1
	buffer_load_dword v130, v128, s[0:3], 0 offen
	ds_read_b32 v131, v127
	v_add_u32_e32 v129, 1, v129
	v_cmp_lt_u32_e32 vcc, 21, v129
	v_add_u32_e32 v127, 4, v127
	v_add_u32_e32 v128, 4, v128
	s_or_b64 s[10:11], vcc, s[10:11]
	s_waitcnt vmcnt(0) lgkmcnt(0)
	v_fmac_f32_e32 v126, v130, v131
	s_andn2_b64 exec, exec, s[10:11]
	s_cbranch_execnz .LBB60_817
; %bb.818:
	s_or_b64 exec, exec, s[10:11]
.LBB60_819:
	s_or_b64 exec, exec, s[8:9]
	v_mov_b32_e32 v127, 0
	ds_read_b32 v127, v127 offset:92
	s_waitcnt lgkmcnt(0)
	v_mul_f32_e32 v126, v126, v127
	buffer_store_dword v126, off, s[0:3], 0 offset:92
.LBB60_820:
	s_or_b64 exec, exec, s[6:7]
	buffer_load_dword v126, off, s[0:3], 0 offset:96
	v_cmp_gt_u32_e32 vcc, 24, v0
	s_waitcnt vmcnt(0)
	ds_write_b32 v124, v126
	s_waitcnt lgkmcnt(0)
	; wave barrier
	s_waitcnt lgkmcnt(0)
	s_and_saveexec_b64 s[6:7], vcc
	s_cbranch_execz .LBB60_830
; %bb.821:
	s_and_b64 vcc, exec, s[4:5]
	s_cbranch_vccnz .LBB60_823
; %bb.822:
	buffer_load_dword v126, v125, s[0:3], 0 offen
	ds_read_b32 v127, v124
	s_waitcnt vmcnt(0) lgkmcnt(0)
	v_mul_f32_e32 v126, v126, v127
	s_cbranch_execz .LBB60_824
	s_branch .LBB60_825
.LBB60_823:
                                        ; implicit-def: $vgpr126
.LBB60_824:
	ds_read_b32 v126, v124
.LBB60_825:
	v_cmp_ne_u32_e32 vcc, 23, v0
	s_and_saveexec_b64 s[8:9], vcc
	s_cbranch_execz .LBB60_829
; %bb.826:
	v_mov_b32_e32 v128, 0
	v_add_u32_e32 v127, 0x104, v1
	v_add3_u32 v128, v1, v128, 4
	s_mov_b64 s[10:11], 0
	v_mov_b32_e32 v129, v0
.LBB60_827:                             ; =>This Inner Loop Header: Depth=1
	buffer_load_dword v130, v128, s[0:3], 0 offen
	ds_read_b32 v131, v127
	v_add_u32_e32 v129, 1, v129
	v_cmp_lt_u32_e32 vcc, 22, v129
	v_add_u32_e32 v127, 4, v127
	v_add_u32_e32 v128, 4, v128
	s_or_b64 s[10:11], vcc, s[10:11]
	s_waitcnt vmcnt(0) lgkmcnt(0)
	v_fmac_f32_e32 v126, v130, v131
	s_andn2_b64 exec, exec, s[10:11]
	s_cbranch_execnz .LBB60_827
; %bb.828:
	s_or_b64 exec, exec, s[10:11]
.LBB60_829:
	s_or_b64 exec, exec, s[8:9]
	v_mov_b32_e32 v127, 0
	ds_read_b32 v127, v127 offset:96
	s_waitcnt lgkmcnt(0)
	v_mul_f32_e32 v126, v126, v127
	buffer_store_dword v126, off, s[0:3], 0 offset:96
.LBB60_830:
	s_or_b64 exec, exec, s[6:7]
	buffer_load_dword v126, off, s[0:3], 0 offset:100
	v_cmp_gt_u32_e32 vcc, 25, v0
	s_waitcnt vmcnt(0)
	ds_write_b32 v124, v126
	s_waitcnt lgkmcnt(0)
	; wave barrier
	s_waitcnt lgkmcnt(0)
	s_and_saveexec_b64 s[6:7], vcc
	s_cbranch_execz .LBB60_840
; %bb.831:
	s_and_b64 vcc, exec, s[4:5]
	s_cbranch_vccnz .LBB60_833
; %bb.832:
	buffer_load_dword v126, v125, s[0:3], 0 offen
	ds_read_b32 v127, v124
	s_waitcnt vmcnt(0) lgkmcnt(0)
	v_mul_f32_e32 v126, v126, v127
	s_cbranch_execz .LBB60_834
	s_branch .LBB60_835
.LBB60_833:
                                        ; implicit-def: $vgpr126
.LBB60_834:
	ds_read_b32 v126, v124
.LBB60_835:
	v_cmp_ne_u32_e32 vcc, 24, v0
	s_and_saveexec_b64 s[8:9], vcc
	s_cbranch_execz .LBB60_839
; %bb.836:
	v_mov_b32_e32 v128, 0
	v_add_u32_e32 v127, 0x104, v1
	v_add3_u32 v128, v1, v128, 4
	s_mov_b64 s[10:11], 0
	v_mov_b32_e32 v129, v0
.LBB60_837:                             ; =>This Inner Loop Header: Depth=1
	buffer_load_dword v130, v128, s[0:3], 0 offen
	ds_read_b32 v131, v127
	v_add_u32_e32 v129, 1, v129
	v_cmp_lt_u32_e32 vcc, 23, v129
	v_add_u32_e32 v127, 4, v127
	v_add_u32_e32 v128, 4, v128
	s_or_b64 s[10:11], vcc, s[10:11]
	s_waitcnt vmcnt(0) lgkmcnt(0)
	v_fmac_f32_e32 v126, v130, v131
	s_andn2_b64 exec, exec, s[10:11]
	s_cbranch_execnz .LBB60_837
; %bb.838:
	s_or_b64 exec, exec, s[10:11]
.LBB60_839:
	s_or_b64 exec, exec, s[8:9]
	v_mov_b32_e32 v127, 0
	ds_read_b32 v127, v127 offset:100
	s_waitcnt lgkmcnt(0)
	v_mul_f32_e32 v126, v126, v127
	buffer_store_dword v126, off, s[0:3], 0 offset:100
.LBB60_840:
	s_or_b64 exec, exec, s[6:7]
	buffer_load_dword v126, off, s[0:3], 0 offset:104
	v_cmp_gt_u32_e32 vcc, 26, v0
	s_waitcnt vmcnt(0)
	ds_write_b32 v124, v126
	s_waitcnt lgkmcnt(0)
	; wave barrier
	s_waitcnt lgkmcnt(0)
	s_and_saveexec_b64 s[6:7], vcc
	s_cbranch_execz .LBB60_850
; %bb.841:
	s_and_b64 vcc, exec, s[4:5]
	s_cbranch_vccnz .LBB60_843
; %bb.842:
	buffer_load_dword v126, v125, s[0:3], 0 offen
	ds_read_b32 v127, v124
	s_waitcnt vmcnt(0) lgkmcnt(0)
	v_mul_f32_e32 v126, v126, v127
	s_cbranch_execz .LBB60_844
	s_branch .LBB60_845
.LBB60_843:
                                        ; implicit-def: $vgpr126
.LBB60_844:
	ds_read_b32 v126, v124
.LBB60_845:
	v_cmp_ne_u32_e32 vcc, 25, v0
	s_and_saveexec_b64 s[8:9], vcc
	s_cbranch_execz .LBB60_849
; %bb.846:
	v_mov_b32_e32 v128, 0
	v_add_u32_e32 v127, 0x104, v1
	v_add3_u32 v128, v1, v128, 4
	s_mov_b64 s[10:11], 0
	v_mov_b32_e32 v129, v0
.LBB60_847:                             ; =>This Inner Loop Header: Depth=1
	buffer_load_dword v130, v128, s[0:3], 0 offen
	ds_read_b32 v131, v127
	v_add_u32_e32 v129, 1, v129
	v_cmp_lt_u32_e32 vcc, 24, v129
	v_add_u32_e32 v127, 4, v127
	v_add_u32_e32 v128, 4, v128
	s_or_b64 s[10:11], vcc, s[10:11]
	s_waitcnt vmcnt(0) lgkmcnt(0)
	v_fmac_f32_e32 v126, v130, v131
	s_andn2_b64 exec, exec, s[10:11]
	s_cbranch_execnz .LBB60_847
; %bb.848:
	s_or_b64 exec, exec, s[10:11]
.LBB60_849:
	s_or_b64 exec, exec, s[8:9]
	v_mov_b32_e32 v127, 0
	ds_read_b32 v127, v127 offset:104
	s_waitcnt lgkmcnt(0)
	v_mul_f32_e32 v126, v126, v127
	buffer_store_dword v126, off, s[0:3], 0 offset:104
.LBB60_850:
	s_or_b64 exec, exec, s[6:7]
	buffer_load_dword v126, off, s[0:3], 0 offset:108
	v_cmp_gt_u32_e32 vcc, 27, v0
	s_waitcnt vmcnt(0)
	ds_write_b32 v124, v126
	s_waitcnt lgkmcnt(0)
	; wave barrier
	s_waitcnt lgkmcnt(0)
	s_and_saveexec_b64 s[6:7], vcc
	s_cbranch_execz .LBB60_860
; %bb.851:
	s_and_b64 vcc, exec, s[4:5]
	s_cbranch_vccnz .LBB60_853
; %bb.852:
	buffer_load_dword v126, v125, s[0:3], 0 offen
	ds_read_b32 v127, v124
	s_waitcnt vmcnt(0) lgkmcnt(0)
	v_mul_f32_e32 v126, v126, v127
	s_cbranch_execz .LBB60_854
	s_branch .LBB60_855
.LBB60_853:
                                        ; implicit-def: $vgpr126
.LBB60_854:
	ds_read_b32 v126, v124
.LBB60_855:
	v_cmp_ne_u32_e32 vcc, 26, v0
	s_and_saveexec_b64 s[8:9], vcc
	s_cbranch_execz .LBB60_859
; %bb.856:
	v_mov_b32_e32 v128, 0
	v_add_u32_e32 v127, 0x104, v1
	v_add3_u32 v128, v1, v128, 4
	s_mov_b64 s[10:11], 0
	v_mov_b32_e32 v129, v0
.LBB60_857:                             ; =>This Inner Loop Header: Depth=1
	buffer_load_dword v130, v128, s[0:3], 0 offen
	ds_read_b32 v131, v127
	v_add_u32_e32 v129, 1, v129
	v_cmp_lt_u32_e32 vcc, 25, v129
	v_add_u32_e32 v127, 4, v127
	v_add_u32_e32 v128, 4, v128
	s_or_b64 s[10:11], vcc, s[10:11]
	s_waitcnt vmcnt(0) lgkmcnt(0)
	v_fmac_f32_e32 v126, v130, v131
	s_andn2_b64 exec, exec, s[10:11]
	s_cbranch_execnz .LBB60_857
; %bb.858:
	s_or_b64 exec, exec, s[10:11]
.LBB60_859:
	s_or_b64 exec, exec, s[8:9]
	v_mov_b32_e32 v127, 0
	ds_read_b32 v127, v127 offset:108
	s_waitcnt lgkmcnt(0)
	v_mul_f32_e32 v126, v126, v127
	buffer_store_dword v126, off, s[0:3], 0 offset:108
.LBB60_860:
	s_or_b64 exec, exec, s[6:7]
	buffer_load_dword v126, off, s[0:3], 0 offset:112
	v_cmp_gt_u32_e32 vcc, 28, v0
	s_waitcnt vmcnt(0)
	ds_write_b32 v124, v126
	s_waitcnt lgkmcnt(0)
	; wave barrier
	s_waitcnt lgkmcnt(0)
	s_and_saveexec_b64 s[6:7], vcc
	s_cbranch_execz .LBB60_870
; %bb.861:
	s_and_b64 vcc, exec, s[4:5]
	s_cbranch_vccnz .LBB60_863
; %bb.862:
	buffer_load_dword v126, v125, s[0:3], 0 offen
	ds_read_b32 v127, v124
	s_waitcnt vmcnt(0) lgkmcnt(0)
	v_mul_f32_e32 v126, v126, v127
	s_cbranch_execz .LBB60_864
	s_branch .LBB60_865
.LBB60_863:
                                        ; implicit-def: $vgpr126
.LBB60_864:
	ds_read_b32 v126, v124
.LBB60_865:
	v_cmp_ne_u32_e32 vcc, 27, v0
	s_and_saveexec_b64 s[8:9], vcc
	s_cbranch_execz .LBB60_869
; %bb.866:
	v_mov_b32_e32 v128, 0
	v_add_u32_e32 v127, 0x104, v1
	v_add3_u32 v128, v1, v128, 4
	s_mov_b64 s[10:11], 0
	v_mov_b32_e32 v129, v0
.LBB60_867:                             ; =>This Inner Loop Header: Depth=1
	buffer_load_dword v130, v128, s[0:3], 0 offen
	ds_read_b32 v131, v127
	v_add_u32_e32 v129, 1, v129
	v_cmp_lt_u32_e32 vcc, 26, v129
	v_add_u32_e32 v127, 4, v127
	v_add_u32_e32 v128, 4, v128
	s_or_b64 s[10:11], vcc, s[10:11]
	s_waitcnt vmcnt(0) lgkmcnt(0)
	v_fmac_f32_e32 v126, v130, v131
	s_andn2_b64 exec, exec, s[10:11]
	s_cbranch_execnz .LBB60_867
; %bb.868:
	s_or_b64 exec, exec, s[10:11]
.LBB60_869:
	s_or_b64 exec, exec, s[8:9]
	v_mov_b32_e32 v127, 0
	ds_read_b32 v127, v127 offset:112
	s_waitcnt lgkmcnt(0)
	v_mul_f32_e32 v126, v126, v127
	buffer_store_dword v126, off, s[0:3], 0 offset:112
.LBB60_870:
	s_or_b64 exec, exec, s[6:7]
	buffer_load_dword v126, off, s[0:3], 0 offset:116
	v_cmp_gt_u32_e32 vcc, 29, v0
	s_waitcnt vmcnt(0)
	ds_write_b32 v124, v126
	s_waitcnt lgkmcnt(0)
	; wave barrier
	s_waitcnt lgkmcnt(0)
	s_and_saveexec_b64 s[6:7], vcc
	s_cbranch_execz .LBB60_880
; %bb.871:
	s_and_b64 vcc, exec, s[4:5]
	s_cbranch_vccnz .LBB60_873
; %bb.872:
	buffer_load_dword v126, v125, s[0:3], 0 offen
	ds_read_b32 v127, v124
	s_waitcnt vmcnt(0) lgkmcnt(0)
	v_mul_f32_e32 v126, v126, v127
	s_cbranch_execz .LBB60_874
	s_branch .LBB60_875
.LBB60_873:
                                        ; implicit-def: $vgpr126
.LBB60_874:
	ds_read_b32 v126, v124
.LBB60_875:
	v_cmp_ne_u32_e32 vcc, 28, v0
	s_and_saveexec_b64 s[8:9], vcc
	s_cbranch_execz .LBB60_879
; %bb.876:
	v_mov_b32_e32 v128, 0
	v_add_u32_e32 v127, 0x104, v1
	v_add3_u32 v128, v1, v128, 4
	s_mov_b64 s[10:11], 0
	v_mov_b32_e32 v129, v0
.LBB60_877:                             ; =>This Inner Loop Header: Depth=1
	buffer_load_dword v130, v128, s[0:3], 0 offen
	ds_read_b32 v131, v127
	v_add_u32_e32 v129, 1, v129
	v_cmp_lt_u32_e32 vcc, 27, v129
	v_add_u32_e32 v127, 4, v127
	v_add_u32_e32 v128, 4, v128
	s_or_b64 s[10:11], vcc, s[10:11]
	s_waitcnt vmcnt(0) lgkmcnt(0)
	v_fmac_f32_e32 v126, v130, v131
	s_andn2_b64 exec, exec, s[10:11]
	s_cbranch_execnz .LBB60_877
; %bb.878:
	s_or_b64 exec, exec, s[10:11]
.LBB60_879:
	s_or_b64 exec, exec, s[8:9]
	v_mov_b32_e32 v127, 0
	ds_read_b32 v127, v127 offset:116
	s_waitcnt lgkmcnt(0)
	v_mul_f32_e32 v126, v126, v127
	buffer_store_dword v126, off, s[0:3], 0 offset:116
.LBB60_880:
	s_or_b64 exec, exec, s[6:7]
	buffer_load_dword v126, off, s[0:3], 0 offset:120
	v_cmp_gt_u32_e32 vcc, 30, v0
	s_waitcnt vmcnt(0)
	ds_write_b32 v124, v126
	s_waitcnt lgkmcnt(0)
	; wave barrier
	s_waitcnt lgkmcnt(0)
	s_and_saveexec_b64 s[6:7], vcc
	s_cbranch_execz .LBB60_890
; %bb.881:
	s_and_b64 vcc, exec, s[4:5]
	s_cbranch_vccnz .LBB60_883
; %bb.882:
	buffer_load_dword v126, v125, s[0:3], 0 offen
	ds_read_b32 v127, v124
	s_waitcnt vmcnt(0) lgkmcnt(0)
	v_mul_f32_e32 v126, v126, v127
	s_cbranch_execz .LBB60_884
	s_branch .LBB60_885
.LBB60_883:
                                        ; implicit-def: $vgpr126
.LBB60_884:
	ds_read_b32 v126, v124
.LBB60_885:
	v_cmp_ne_u32_e32 vcc, 29, v0
	s_and_saveexec_b64 s[8:9], vcc
	s_cbranch_execz .LBB60_889
; %bb.886:
	v_mov_b32_e32 v128, 0
	v_add_u32_e32 v127, 0x104, v1
	v_add3_u32 v128, v1, v128, 4
	s_mov_b64 s[10:11], 0
	v_mov_b32_e32 v129, v0
.LBB60_887:                             ; =>This Inner Loop Header: Depth=1
	buffer_load_dword v130, v128, s[0:3], 0 offen
	ds_read_b32 v131, v127
	v_add_u32_e32 v129, 1, v129
	v_cmp_lt_u32_e32 vcc, 28, v129
	v_add_u32_e32 v127, 4, v127
	v_add_u32_e32 v128, 4, v128
	s_or_b64 s[10:11], vcc, s[10:11]
	s_waitcnt vmcnt(0) lgkmcnt(0)
	v_fmac_f32_e32 v126, v130, v131
	s_andn2_b64 exec, exec, s[10:11]
	s_cbranch_execnz .LBB60_887
; %bb.888:
	s_or_b64 exec, exec, s[10:11]
.LBB60_889:
	s_or_b64 exec, exec, s[8:9]
	v_mov_b32_e32 v127, 0
	ds_read_b32 v127, v127 offset:120
	s_waitcnt lgkmcnt(0)
	v_mul_f32_e32 v126, v126, v127
	buffer_store_dword v126, off, s[0:3], 0 offset:120
.LBB60_890:
	s_or_b64 exec, exec, s[6:7]
	buffer_load_dword v126, off, s[0:3], 0 offset:124
	v_cmp_gt_u32_e32 vcc, 31, v0
	s_waitcnt vmcnt(0)
	ds_write_b32 v124, v126
	s_waitcnt lgkmcnt(0)
	; wave barrier
	s_waitcnt lgkmcnt(0)
	s_and_saveexec_b64 s[6:7], vcc
	s_cbranch_execz .LBB60_900
; %bb.891:
	s_and_b64 vcc, exec, s[4:5]
	s_cbranch_vccnz .LBB60_893
; %bb.892:
	buffer_load_dword v126, v125, s[0:3], 0 offen
	ds_read_b32 v127, v124
	s_waitcnt vmcnt(0) lgkmcnt(0)
	v_mul_f32_e32 v126, v126, v127
	s_cbranch_execz .LBB60_894
	s_branch .LBB60_895
.LBB60_893:
                                        ; implicit-def: $vgpr126
.LBB60_894:
	ds_read_b32 v126, v124
.LBB60_895:
	v_cmp_ne_u32_e32 vcc, 30, v0
	s_and_saveexec_b64 s[8:9], vcc
	s_cbranch_execz .LBB60_899
; %bb.896:
	v_mov_b32_e32 v128, 0
	v_add_u32_e32 v127, 0x104, v1
	v_add3_u32 v128, v1, v128, 4
	s_mov_b64 s[10:11], 0
	v_mov_b32_e32 v129, v0
.LBB60_897:                             ; =>This Inner Loop Header: Depth=1
	buffer_load_dword v130, v128, s[0:3], 0 offen
	ds_read_b32 v131, v127
	v_add_u32_e32 v129, 1, v129
	v_cmp_lt_u32_e32 vcc, 29, v129
	v_add_u32_e32 v127, 4, v127
	v_add_u32_e32 v128, 4, v128
	s_or_b64 s[10:11], vcc, s[10:11]
	s_waitcnt vmcnt(0) lgkmcnt(0)
	v_fmac_f32_e32 v126, v130, v131
	s_andn2_b64 exec, exec, s[10:11]
	s_cbranch_execnz .LBB60_897
; %bb.898:
	s_or_b64 exec, exec, s[10:11]
.LBB60_899:
	s_or_b64 exec, exec, s[8:9]
	v_mov_b32_e32 v127, 0
	ds_read_b32 v127, v127 offset:124
	s_waitcnt lgkmcnt(0)
	v_mul_f32_e32 v126, v126, v127
	buffer_store_dword v126, off, s[0:3], 0 offset:124
.LBB60_900:
	s_or_b64 exec, exec, s[6:7]
	buffer_load_dword v126, off, s[0:3], 0 offset:128
	v_cmp_gt_u32_e32 vcc, 32, v0
	s_waitcnt vmcnt(0)
	ds_write_b32 v124, v126
	s_waitcnt lgkmcnt(0)
	; wave barrier
	s_waitcnt lgkmcnt(0)
	s_and_saveexec_b64 s[6:7], vcc
	s_cbranch_execz .LBB60_910
; %bb.901:
	s_and_b64 vcc, exec, s[4:5]
	s_cbranch_vccnz .LBB60_903
; %bb.902:
	buffer_load_dword v126, v125, s[0:3], 0 offen
	ds_read_b32 v127, v124
	s_waitcnt vmcnt(0) lgkmcnt(0)
	v_mul_f32_e32 v126, v126, v127
	s_cbranch_execz .LBB60_904
	s_branch .LBB60_905
.LBB60_903:
                                        ; implicit-def: $vgpr126
.LBB60_904:
	ds_read_b32 v126, v124
.LBB60_905:
	v_cmp_ne_u32_e32 vcc, 31, v0
	s_and_saveexec_b64 s[8:9], vcc
	s_cbranch_execz .LBB60_909
; %bb.906:
	v_mov_b32_e32 v128, 0
	v_add_u32_e32 v127, 0x104, v1
	v_add3_u32 v128, v1, v128, 4
	s_mov_b64 s[10:11], 0
	v_mov_b32_e32 v129, v0
.LBB60_907:                             ; =>This Inner Loop Header: Depth=1
	buffer_load_dword v130, v128, s[0:3], 0 offen
	ds_read_b32 v131, v127
	v_add_u32_e32 v129, 1, v129
	v_cmp_lt_u32_e32 vcc, 30, v129
	v_add_u32_e32 v127, 4, v127
	v_add_u32_e32 v128, 4, v128
	s_or_b64 s[10:11], vcc, s[10:11]
	s_waitcnt vmcnt(0) lgkmcnt(0)
	v_fmac_f32_e32 v126, v130, v131
	s_andn2_b64 exec, exec, s[10:11]
	s_cbranch_execnz .LBB60_907
; %bb.908:
	s_or_b64 exec, exec, s[10:11]
.LBB60_909:
	s_or_b64 exec, exec, s[8:9]
	v_mov_b32_e32 v127, 0
	ds_read_b32 v127, v127 offset:128
	s_waitcnt lgkmcnt(0)
	v_mul_f32_e32 v126, v126, v127
	buffer_store_dword v126, off, s[0:3], 0 offset:128
.LBB60_910:
	s_or_b64 exec, exec, s[6:7]
	buffer_load_dword v126, off, s[0:3], 0 offset:132
	v_cmp_gt_u32_e32 vcc, 33, v0
	s_waitcnt vmcnt(0)
	ds_write_b32 v124, v126
	s_waitcnt lgkmcnt(0)
	; wave barrier
	s_waitcnt lgkmcnt(0)
	s_and_saveexec_b64 s[6:7], vcc
	s_cbranch_execz .LBB60_920
; %bb.911:
	s_and_b64 vcc, exec, s[4:5]
	s_cbranch_vccnz .LBB60_913
; %bb.912:
	buffer_load_dword v126, v125, s[0:3], 0 offen
	ds_read_b32 v127, v124
	s_waitcnt vmcnt(0) lgkmcnt(0)
	v_mul_f32_e32 v126, v126, v127
	s_cbranch_execz .LBB60_914
	s_branch .LBB60_915
.LBB60_913:
                                        ; implicit-def: $vgpr126
.LBB60_914:
	ds_read_b32 v126, v124
.LBB60_915:
	v_cmp_ne_u32_e32 vcc, 32, v0
	s_and_saveexec_b64 s[8:9], vcc
	s_cbranch_execz .LBB60_919
; %bb.916:
	v_mov_b32_e32 v128, 0
	v_add_u32_e32 v127, 0x104, v1
	v_add3_u32 v128, v1, v128, 4
	s_mov_b64 s[10:11], 0
	v_mov_b32_e32 v129, v0
.LBB60_917:                             ; =>This Inner Loop Header: Depth=1
	buffer_load_dword v130, v128, s[0:3], 0 offen
	ds_read_b32 v131, v127
	v_add_u32_e32 v129, 1, v129
	v_cmp_lt_u32_e32 vcc, 31, v129
	v_add_u32_e32 v127, 4, v127
	v_add_u32_e32 v128, 4, v128
	s_or_b64 s[10:11], vcc, s[10:11]
	s_waitcnt vmcnt(0) lgkmcnt(0)
	v_fmac_f32_e32 v126, v130, v131
	s_andn2_b64 exec, exec, s[10:11]
	s_cbranch_execnz .LBB60_917
; %bb.918:
	s_or_b64 exec, exec, s[10:11]
.LBB60_919:
	s_or_b64 exec, exec, s[8:9]
	v_mov_b32_e32 v127, 0
	ds_read_b32 v127, v127 offset:132
	s_waitcnt lgkmcnt(0)
	v_mul_f32_e32 v126, v126, v127
	buffer_store_dword v126, off, s[0:3], 0 offset:132
.LBB60_920:
	s_or_b64 exec, exec, s[6:7]
	buffer_load_dword v126, off, s[0:3], 0 offset:136
	v_cmp_gt_u32_e32 vcc, 34, v0
	s_waitcnt vmcnt(0)
	ds_write_b32 v124, v126
	s_waitcnt lgkmcnt(0)
	; wave barrier
	s_waitcnt lgkmcnt(0)
	s_and_saveexec_b64 s[6:7], vcc
	s_cbranch_execz .LBB60_930
; %bb.921:
	s_and_b64 vcc, exec, s[4:5]
	s_cbranch_vccnz .LBB60_923
; %bb.922:
	buffer_load_dword v126, v125, s[0:3], 0 offen
	ds_read_b32 v127, v124
	s_waitcnt vmcnt(0) lgkmcnt(0)
	v_mul_f32_e32 v126, v126, v127
	s_cbranch_execz .LBB60_924
	s_branch .LBB60_925
.LBB60_923:
                                        ; implicit-def: $vgpr126
.LBB60_924:
	ds_read_b32 v126, v124
.LBB60_925:
	v_cmp_ne_u32_e32 vcc, 33, v0
	s_and_saveexec_b64 s[8:9], vcc
	s_cbranch_execz .LBB60_929
; %bb.926:
	v_mov_b32_e32 v128, 0
	v_add_u32_e32 v127, 0x104, v1
	v_add3_u32 v128, v1, v128, 4
	s_mov_b64 s[10:11], 0
	v_mov_b32_e32 v129, v0
.LBB60_927:                             ; =>This Inner Loop Header: Depth=1
	buffer_load_dword v130, v128, s[0:3], 0 offen
	ds_read_b32 v131, v127
	v_add_u32_e32 v129, 1, v129
	v_cmp_lt_u32_e32 vcc, 32, v129
	v_add_u32_e32 v127, 4, v127
	v_add_u32_e32 v128, 4, v128
	s_or_b64 s[10:11], vcc, s[10:11]
	s_waitcnt vmcnt(0) lgkmcnt(0)
	v_fmac_f32_e32 v126, v130, v131
	s_andn2_b64 exec, exec, s[10:11]
	s_cbranch_execnz .LBB60_927
; %bb.928:
	s_or_b64 exec, exec, s[10:11]
.LBB60_929:
	s_or_b64 exec, exec, s[8:9]
	v_mov_b32_e32 v127, 0
	ds_read_b32 v127, v127 offset:136
	s_waitcnt lgkmcnt(0)
	v_mul_f32_e32 v126, v126, v127
	buffer_store_dword v126, off, s[0:3], 0 offset:136
.LBB60_930:
	s_or_b64 exec, exec, s[6:7]
	buffer_load_dword v126, off, s[0:3], 0 offset:140
	v_cmp_gt_u32_e32 vcc, 35, v0
	s_waitcnt vmcnt(0)
	ds_write_b32 v124, v126
	s_waitcnt lgkmcnt(0)
	; wave barrier
	s_waitcnt lgkmcnt(0)
	s_and_saveexec_b64 s[6:7], vcc
	s_cbranch_execz .LBB60_940
; %bb.931:
	s_and_b64 vcc, exec, s[4:5]
	s_cbranch_vccnz .LBB60_933
; %bb.932:
	buffer_load_dword v126, v125, s[0:3], 0 offen
	ds_read_b32 v127, v124
	s_waitcnt vmcnt(0) lgkmcnt(0)
	v_mul_f32_e32 v126, v126, v127
	s_cbranch_execz .LBB60_934
	s_branch .LBB60_935
.LBB60_933:
                                        ; implicit-def: $vgpr126
.LBB60_934:
	ds_read_b32 v126, v124
.LBB60_935:
	v_cmp_ne_u32_e32 vcc, 34, v0
	s_and_saveexec_b64 s[8:9], vcc
	s_cbranch_execz .LBB60_939
; %bb.936:
	v_mov_b32_e32 v128, 0
	v_add_u32_e32 v127, 0x104, v1
	v_add3_u32 v128, v1, v128, 4
	s_mov_b64 s[10:11], 0
	v_mov_b32_e32 v129, v0
.LBB60_937:                             ; =>This Inner Loop Header: Depth=1
	buffer_load_dword v130, v128, s[0:3], 0 offen
	ds_read_b32 v131, v127
	v_add_u32_e32 v129, 1, v129
	v_cmp_lt_u32_e32 vcc, 33, v129
	v_add_u32_e32 v127, 4, v127
	v_add_u32_e32 v128, 4, v128
	s_or_b64 s[10:11], vcc, s[10:11]
	s_waitcnt vmcnt(0) lgkmcnt(0)
	v_fmac_f32_e32 v126, v130, v131
	s_andn2_b64 exec, exec, s[10:11]
	s_cbranch_execnz .LBB60_937
; %bb.938:
	s_or_b64 exec, exec, s[10:11]
.LBB60_939:
	s_or_b64 exec, exec, s[8:9]
	v_mov_b32_e32 v127, 0
	ds_read_b32 v127, v127 offset:140
	s_waitcnt lgkmcnt(0)
	v_mul_f32_e32 v126, v126, v127
	buffer_store_dword v126, off, s[0:3], 0 offset:140
.LBB60_940:
	s_or_b64 exec, exec, s[6:7]
	buffer_load_dword v126, off, s[0:3], 0 offset:144
	v_cmp_gt_u32_e32 vcc, 36, v0
	s_waitcnt vmcnt(0)
	ds_write_b32 v124, v126
	s_waitcnt lgkmcnt(0)
	; wave barrier
	s_waitcnt lgkmcnt(0)
	s_and_saveexec_b64 s[6:7], vcc
	s_cbranch_execz .LBB60_950
; %bb.941:
	s_and_b64 vcc, exec, s[4:5]
	s_cbranch_vccnz .LBB60_943
; %bb.942:
	buffer_load_dword v126, v125, s[0:3], 0 offen
	ds_read_b32 v127, v124
	s_waitcnt vmcnt(0) lgkmcnt(0)
	v_mul_f32_e32 v126, v126, v127
	s_cbranch_execz .LBB60_944
	s_branch .LBB60_945
.LBB60_943:
                                        ; implicit-def: $vgpr126
.LBB60_944:
	ds_read_b32 v126, v124
.LBB60_945:
	v_cmp_ne_u32_e32 vcc, 35, v0
	s_and_saveexec_b64 s[8:9], vcc
	s_cbranch_execz .LBB60_949
; %bb.946:
	v_mov_b32_e32 v128, 0
	v_add_u32_e32 v127, 0x104, v1
	v_add3_u32 v128, v1, v128, 4
	s_mov_b64 s[10:11], 0
	v_mov_b32_e32 v129, v0
.LBB60_947:                             ; =>This Inner Loop Header: Depth=1
	buffer_load_dword v130, v128, s[0:3], 0 offen
	ds_read_b32 v131, v127
	v_add_u32_e32 v129, 1, v129
	v_cmp_lt_u32_e32 vcc, 34, v129
	v_add_u32_e32 v127, 4, v127
	v_add_u32_e32 v128, 4, v128
	s_or_b64 s[10:11], vcc, s[10:11]
	s_waitcnt vmcnt(0) lgkmcnt(0)
	v_fmac_f32_e32 v126, v130, v131
	s_andn2_b64 exec, exec, s[10:11]
	s_cbranch_execnz .LBB60_947
; %bb.948:
	s_or_b64 exec, exec, s[10:11]
.LBB60_949:
	s_or_b64 exec, exec, s[8:9]
	v_mov_b32_e32 v127, 0
	ds_read_b32 v127, v127 offset:144
	s_waitcnt lgkmcnt(0)
	v_mul_f32_e32 v126, v126, v127
	buffer_store_dword v126, off, s[0:3], 0 offset:144
.LBB60_950:
	s_or_b64 exec, exec, s[6:7]
	buffer_load_dword v126, off, s[0:3], 0 offset:148
	v_cmp_gt_u32_e32 vcc, 37, v0
	s_waitcnt vmcnt(0)
	ds_write_b32 v124, v126
	s_waitcnt lgkmcnt(0)
	; wave barrier
	s_waitcnt lgkmcnt(0)
	s_and_saveexec_b64 s[6:7], vcc
	s_cbranch_execz .LBB60_960
; %bb.951:
	s_and_b64 vcc, exec, s[4:5]
	s_cbranch_vccnz .LBB60_953
; %bb.952:
	buffer_load_dword v126, v125, s[0:3], 0 offen
	ds_read_b32 v127, v124
	s_waitcnt vmcnt(0) lgkmcnt(0)
	v_mul_f32_e32 v126, v126, v127
	s_cbranch_execz .LBB60_954
	s_branch .LBB60_955
.LBB60_953:
                                        ; implicit-def: $vgpr126
.LBB60_954:
	ds_read_b32 v126, v124
.LBB60_955:
	v_cmp_ne_u32_e32 vcc, 36, v0
	s_and_saveexec_b64 s[8:9], vcc
	s_cbranch_execz .LBB60_959
; %bb.956:
	v_mov_b32_e32 v128, 0
	v_add_u32_e32 v127, 0x104, v1
	v_add3_u32 v128, v1, v128, 4
	s_mov_b64 s[10:11], 0
	v_mov_b32_e32 v129, v0
.LBB60_957:                             ; =>This Inner Loop Header: Depth=1
	buffer_load_dword v130, v128, s[0:3], 0 offen
	ds_read_b32 v131, v127
	v_add_u32_e32 v129, 1, v129
	v_cmp_lt_u32_e32 vcc, 35, v129
	v_add_u32_e32 v127, 4, v127
	v_add_u32_e32 v128, 4, v128
	s_or_b64 s[10:11], vcc, s[10:11]
	s_waitcnt vmcnt(0) lgkmcnt(0)
	v_fmac_f32_e32 v126, v130, v131
	s_andn2_b64 exec, exec, s[10:11]
	s_cbranch_execnz .LBB60_957
; %bb.958:
	s_or_b64 exec, exec, s[10:11]
.LBB60_959:
	s_or_b64 exec, exec, s[8:9]
	v_mov_b32_e32 v127, 0
	ds_read_b32 v127, v127 offset:148
	s_waitcnt lgkmcnt(0)
	v_mul_f32_e32 v126, v126, v127
	buffer_store_dword v126, off, s[0:3], 0 offset:148
.LBB60_960:
	s_or_b64 exec, exec, s[6:7]
	buffer_load_dword v126, off, s[0:3], 0 offset:152
	v_cmp_gt_u32_e32 vcc, 38, v0
	s_waitcnt vmcnt(0)
	ds_write_b32 v124, v126
	s_waitcnt lgkmcnt(0)
	; wave barrier
	s_waitcnt lgkmcnt(0)
	s_and_saveexec_b64 s[6:7], vcc
	s_cbranch_execz .LBB60_970
; %bb.961:
	s_and_b64 vcc, exec, s[4:5]
	s_cbranch_vccnz .LBB60_963
; %bb.962:
	buffer_load_dword v126, v125, s[0:3], 0 offen
	ds_read_b32 v127, v124
	s_waitcnt vmcnt(0) lgkmcnt(0)
	v_mul_f32_e32 v126, v126, v127
	s_cbranch_execz .LBB60_964
	s_branch .LBB60_965
.LBB60_963:
                                        ; implicit-def: $vgpr126
.LBB60_964:
	ds_read_b32 v126, v124
.LBB60_965:
	v_cmp_ne_u32_e32 vcc, 37, v0
	s_and_saveexec_b64 s[8:9], vcc
	s_cbranch_execz .LBB60_969
; %bb.966:
	v_mov_b32_e32 v128, 0
	v_add_u32_e32 v127, 0x104, v1
	v_add3_u32 v128, v1, v128, 4
	s_mov_b64 s[10:11], 0
	v_mov_b32_e32 v129, v0
.LBB60_967:                             ; =>This Inner Loop Header: Depth=1
	buffer_load_dword v130, v128, s[0:3], 0 offen
	ds_read_b32 v131, v127
	v_add_u32_e32 v129, 1, v129
	v_cmp_lt_u32_e32 vcc, 36, v129
	v_add_u32_e32 v127, 4, v127
	v_add_u32_e32 v128, 4, v128
	s_or_b64 s[10:11], vcc, s[10:11]
	s_waitcnt vmcnt(0) lgkmcnt(0)
	v_fmac_f32_e32 v126, v130, v131
	s_andn2_b64 exec, exec, s[10:11]
	s_cbranch_execnz .LBB60_967
; %bb.968:
	s_or_b64 exec, exec, s[10:11]
.LBB60_969:
	s_or_b64 exec, exec, s[8:9]
	v_mov_b32_e32 v127, 0
	ds_read_b32 v127, v127 offset:152
	s_waitcnt lgkmcnt(0)
	v_mul_f32_e32 v126, v126, v127
	buffer_store_dword v126, off, s[0:3], 0 offset:152
.LBB60_970:
	s_or_b64 exec, exec, s[6:7]
	buffer_load_dword v126, off, s[0:3], 0 offset:156
	v_cmp_gt_u32_e32 vcc, 39, v0
	s_waitcnt vmcnt(0)
	ds_write_b32 v124, v126
	s_waitcnt lgkmcnt(0)
	; wave barrier
	s_waitcnt lgkmcnt(0)
	s_and_saveexec_b64 s[6:7], vcc
	s_cbranch_execz .LBB60_980
; %bb.971:
	s_and_b64 vcc, exec, s[4:5]
	s_cbranch_vccnz .LBB60_973
; %bb.972:
	buffer_load_dword v126, v125, s[0:3], 0 offen
	ds_read_b32 v127, v124
	s_waitcnt vmcnt(0) lgkmcnt(0)
	v_mul_f32_e32 v126, v126, v127
	s_cbranch_execz .LBB60_974
	s_branch .LBB60_975
.LBB60_973:
                                        ; implicit-def: $vgpr126
.LBB60_974:
	ds_read_b32 v126, v124
.LBB60_975:
	v_cmp_ne_u32_e32 vcc, 38, v0
	s_and_saveexec_b64 s[8:9], vcc
	s_cbranch_execz .LBB60_979
; %bb.976:
	v_mov_b32_e32 v128, 0
	v_add_u32_e32 v127, 0x104, v1
	v_add3_u32 v128, v1, v128, 4
	s_mov_b64 s[10:11], 0
	v_mov_b32_e32 v129, v0
.LBB60_977:                             ; =>This Inner Loop Header: Depth=1
	buffer_load_dword v130, v128, s[0:3], 0 offen
	ds_read_b32 v131, v127
	v_add_u32_e32 v129, 1, v129
	v_cmp_lt_u32_e32 vcc, 37, v129
	v_add_u32_e32 v127, 4, v127
	v_add_u32_e32 v128, 4, v128
	s_or_b64 s[10:11], vcc, s[10:11]
	s_waitcnt vmcnt(0) lgkmcnt(0)
	v_fmac_f32_e32 v126, v130, v131
	s_andn2_b64 exec, exec, s[10:11]
	s_cbranch_execnz .LBB60_977
; %bb.978:
	s_or_b64 exec, exec, s[10:11]
.LBB60_979:
	s_or_b64 exec, exec, s[8:9]
	v_mov_b32_e32 v127, 0
	ds_read_b32 v127, v127 offset:156
	s_waitcnt lgkmcnt(0)
	v_mul_f32_e32 v126, v126, v127
	buffer_store_dword v126, off, s[0:3], 0 offset:156
.LBB60_980:
	s_or_b64 exec, exec, s[6:7]
	buffer_load_dword v126, off, s[0:3], 0 offset:160
	v_cmp_gt_u32_e32 vcc, 40, v0
	s_waitcnt vmcnt(0)
	ds_write_b32 v124, v126
	s_waitcnt lgkmcnt(0)
	; wave barrier
	s_waitcnt lgkmcnt(0)
	s_and_saveexec_b64 s[6:7], vcc
	s_cbranch_execz .LBB60_990
; %bb.981:
	s_and_b64 vcc, exec, s[4:5]
	s_cbranch_vccnz .LBB60_983
; %bb.982:
	buffer_load_dword v126, v125, s[0:3], 0 offen
	ds_read_b32 v127, v124
	s_waitcnt vmcnt(0) lgkmcnt(0)
	v_mul_f32_e32 v126, v126, v127
	s_cbranch_execz .LBB60_984
	s_branch .LBB60_985
.LBB60_983:
                                        ; implicit-def: $vgpr126
.LBB60_984:
	ds_read_b32 v126, v124
.LBB60_985:
	v_cmp_ne_u32_e32 vcc, 39, v0
	s_and_saveexec_b64 s[8:9], vcc
	s_cbranch_execz .LBB60_989
; %bb.986:
	v_mov_b32_e32 v128, 0
	v_add_u32_e32 v127, 0x104, v1
	v_add3_u32 v128, v1, v128, 4
	s_mov_b64 s[10:11], 0
	v_mov_b32_e32 v129, v0
.LBB60_987:                             ; =>This Inner Loop Header: Depth=1
	buffer_load_dword v130, v128, s[0:3], 0 offen
	ds_read_b32 v131, v127
	v_add_u32_e32 v129, 1, v129
	v_cmp_lt_u32_e32 vcc, 38, v129
	v_add_u32_e32 v127, 4, v127
	v_add_u32_e32 v128, 4, v128
	s_or_b64 s[10:11], vcc, s[10:11]
	s_waitcnt vmcnt(0) lgkmcnt(0)
	v_fmac_f32_e32 v126, v130, v131
	s_andn2_b64 exec, exec, s[10:11]
	s_cbranch_execnz .LBB60_987
; %bb.988:
	s_or_b64 exec, exec, s[10:11]
.LBB60_989:
	s_or_b64 exec, exec, s[8:9]
	v_mov_b32_e32 v127, 0
	ds_read_b32 v127, v127 offset:160
	s_waitcnt lgkmcnt(0)
	v_mul_f32_e32 v126, v126, v127
	buffer_store_dword v126, off, s[0:3], 0 offset:160
.LBB60_990:
	s_or_b64 exec, exec, s[6:7]
	buffer_load_dword v126, off, s[0:3], 0 offset:164
	v_cmp_gt_u32_e32 vcc, 41, v0
	s_waitcnt vmcnt(0)
	ds_write_b32 v124, v126
	s_waitcnt lgkmcnt(0)
	; wave barrier
	s_waitcnt lgkmcnt(0)
	s_and_saveexec_b64 s[6:7], vcc
	s_cbranch_execz .LBB60_1000
; %bb.991:
	s_and_b64 vcc, exec, s[4:5]
	s_cbranch_vccnz .LBB60_993
; %bb.992:
	buffer_load_dword v126, v125, s[0:3], 0 offen
	ds_read_b32 v127, v124
	s_waitcnt vmcnt(0) lgkmcnt(0)
	v_mul_f32_e32 v126, v126, v127
	s_cbranch_execz .LBB60_994
	s_branch .LBB60_995
.LBB60_993:
                                        ; implicit-def: $vgpr126
.LBB60_994:
	ds_read_b32 v126, v124
.LBB60_995:
	v_cmp_ne_u32_e32 vcc, 40, v0
	s_and_saveexec_b64 s[8:9], vcc
	s_cbranch_execz .LBB60_999
; %bb.996:
	v_mov_b32_e32 v128, 0
	v_add_u32_e32 v127, 0x104, v1
	v_add3_u32 v128, v1, v128, 4
	s_mov_b64 s[10:11], 0
	v_mov_b32_e32 v129, v0
.LBB60_997:                             ; =>This Inner Loop Header: Depth=1
	buffer_load_dword v130, v128, s[0:3], 0 offen
	ds_read_b32 v131, v127
	v_add_u32_e32 v129, 1, v129
	v_cmp_lt_u32_e32 vcc, 39, v129
	v_add_u32_e32 v127, 4, v127
	v_add_u32_e32 v128, 4, v128
	s_or_b64 s[10:11], vcc, s[10:11]
	s_waitcnt vmcnt(0) lgkmcnt(0)
	v_fmac_f32_e32 v126, v130, v131
	s_andn2_b64 exec, exec, s[10:11]
	s_cbranch_execnz .LBB60_997
; %bb.998:
	s_or_b64 exec, exec, s[10:11]
.LBB60_999:
	s_or_b64 exec, exec, s[8:9]
	v_mov_b32_e32 v127, 0
	ds_read_b32 v127, v127 offset:164
	s_waitcnt lgkmcnt(0)
	v_mul_f32_e32 v126, v126, v127
	buffer_store_dword v126, off, s[0:3], 0 offset:164
.LBB60_1000:
	s_or_b64 exec, exec, s[6:7]
	buffer_load_dword v126, off, s[0:3], 0 offset:168
	v_cmp_gt_u32_e32 vcc, 42, v0
	s_waitcnt vmcnt(0)
	ds_write_b32 v124, v126
	s_waitcnt lgkmcnt(0)
	; wave barrier
	s_waitcnt lgkmcnt(0)
	s_and_saveexec_b64 s[6:7], vcc
	s_cbranch_execz .LBB60_1010
; %bb.1001:
	s_and_b64 vcc, exec, s[4:5]
	s_cbranch_vccnz .LBB60_1003
; %bb.1002:
	buffer_load_dword v126, v125, s[0:3], 0 offen
	ds_read_b32 v127, v124
	s_waitcnt vmcnt(0) lgkmcnt(0)
	v_mul_f32_e32 v126, v126, v127
	s_cbranch_execz .LBB60_1004
	s_branch .LBB60_1005
.LBB60_1003:
                                        ; implicit-def: $vgpr126
.LBB60_1004:
	ds_read_b32 v126, v124
.LBB60_1005:
	v_cmp_ne_u32_e32 vcc, 41, v0
	s_and_saveexec_b64 s[8:9], vcc
	s_cbranch_execz .LBB60_1009
; %bb.1006:
	v_mov_b32_e32 v128, 0
	v_add_u32_e32 v127, 0x104, v1
	v_add3_u32 v128, v1, v128, 4
	s_mov_b64 s[10:11], 0
	v_mov_b32_e32 v129, v0
.LBB60_1007:                            ; =>This Inner Loop Header: Depth=1
	buffer_load_dword v130, v128, s[0:3], 0 offen
	ds_read_b32 v131, v127
	v_add_u32_e32 v129, 1, v129
	v_cmp_lt_u32_e32 vcc, 40, v129
	v_add_u32_e32 v127, 4, v127
	v_add_u32_e32 v128, 4, v128
	s_or_b64 s[10:11], vcc, s[10:11]
	s_waitcnt vmcnt(0) lgkmcnt(0)
	v_fmac_f32_e32 v126, v130, v131
	s_andn2_b64 exec, exec, s[10:11]
	s_cbranch_execnz .LBB60_1007
; %bb.1008:
	s_or_b64 exec, exec, s[10:11]
.LBB60_1009:
	s_or_b64 exec, exec, s[8:9]
	v_mov_b32_e32 v127, 0
	ds_read_b32 v127, v127 offset:168
	s_waitcnt lgkmcnt(0)
	v_mul_f32_e32 v126, v126, v127
	buffer_store_dword v126, off, s[0:3], 0 offset:168
.LBB60_1010:
	s_or_b64 exec, exec, s[6:7]
	buffer_load_dword v126, off, s[0:3], 0 offset:172
	v_cmp_gt_u32_e32 vcc, 43, v0
	s_waitcnt vmcnt(0)
	ds_write_b32 v124, v126
	s_waitcnt lgkmcnt(0)
	; wave barrier
	s_waitcnt lgkmcnt(0)
	s_and_saveexec_b64 s[6:7], vcc
	s_cbranch_execz .LBB60_1020
; %bb.1011:
	s_and_b64 vcc, exec, s[4:5]
	s_cbranch_vccnz .LBB60_1013
; %bb.1012:
	buffer_load_dword v126, v125, s[0:3], 0 offen
	ds_read_b32 v127, v124
	s_waitcnt vmcnt(0) lgkmcnt(0)
	v_mul_f32_e32 v126, v126, v127
	s_cbranch_execz .LBB60_1014
	s_branch .LBB60_1015
.LBB60_1013:
                                        ; implicit-def: $vgpr126
.LBB60_1014:
	ds_read_b32 v126, v124
.LBB60_1015:
	v_cmp_ne_u32_e32 vcc, 42, v0
	s_and_saveexec_b64 s[8:9], vcc
	s_cbranch_execz .LBB60_1019
; %bb.1016:
	v_mov_b32_e32 v128, 0
	v_add_u32_e32 v127, 0x104, v1
	v_add3_u32 v128, v1, v128, 4
	s_mov_b64 s[10:11], 0
	v_mov_b32_e32 v129, v0
.LBB60_1017:                            ; =>This Inner Loop Header: Depth=1
	buffer_load_dword v130, v128, s[0:3], 0 offen
	ds_read_b32 v131, v127
	v_add_u32_e32 v129, 1, v129
	v_cmp_lt_u32_e32 vcc, 41, v129
	v_add_u32_e32 v127, 4, v127
	v_add_u32_e32 v128, 4, v128
	s_or_b64 s[10:11], vcc, s[10:11]
	s_waitcnt vmcnt(0) lgkmcnt(0)
	v_fmac_f32_e32 v126, v130, v131
	s_andn2_b64 exec, exec, s[10:11]
	s_cbranch_execnz .LBB60_1017
; %bb.1018:
	s_or_b64 exec, exec, s[10:11]
.LBB60_1019:
	s_or_b64 exec, exec, s[8:9]
	v_mov_b32_e32 v127, 0
	ds_read_b32 v127, v127 offset:172
	s_waitcnt lgkmcnt(0)
	v_mul_f32_e32 v126, v126, v127
	buffer_store_dword v126, off, s[0:3], 0 offset:172
.LBB60_1020:
	;; [unrolled: 56-line block ×17, first 2 shown]
	s_or_b64 exec, exec, s[6:7]
	buffer_load_dword v126, off, s[0:3], 0 offset:236
	v_cmp_gt_u32_e64 s[6:7], 59, v0
	s_waitcnt vmcnt(0)
	ds_write_b32 v124, v126
	s_waitcnt lgkmcnt(0)
	; wave barrier
	s_waitcnt lgkmcnt(0)
	s_and_saveexec_b64 s[8:9], s[6:7]
	s_cbranch_execz .LBB60_1180
; %bb.1171:
	s_and_b64 vcc, exec, s[4:5]
	s_cbranch_vccnz .LBB60_1173
; %bb.1172:
	buffer_load_dword v126, v125, s[0:3], 0 offen
	ds_read_b32 v127, v124
	s_waitcnt vmcnt(0) lgkmcnt(0)
	v_mul_f32_e32 v126, v126, v127
	s_cbranch_execz .LBB60_1174
	s_branch .LBB60_1175
.LBB60_1173:
                                        ; implicit-def: $vgpr126
.LBB60_1174:
	ds_read_b32 v126, v124
.LBB60_1175:
	v_cmp_ne_u32_e32 vcc, 58, v0
	s_and_saveexec_b64 s[10:11], vcc
	s_cbranch_execz .LBB60_1179
; %bb.1176:
	v_mov_b32_e32 v128, 0
	v_add_u32_e32 v127, 0x104, v1
	v_add3_u32 v128, v1, v128, 4
	s_mov_b64 s[12:13], 0
	v_mov_b32_e32 v129, v0
.LBB60_1177:                            ; =>This Inner Loop Header: Depth=1
	buffer_load_dword v130, v128, s[0:3], 0 offen
	ds_read_b32 v131, v127
	v_add_u32_e32 v129, 1, v129
	v_cmp_lt_u32_e32 vcc, 57, v129
	v_add_u32_e32 v127, 4, v127
	v_add_u32_e32 v128, 4, v128
	s_or_b64 s[12:13], vcc, s[12:13]
	s_waitcnt vmcnt(0) lgkmcnt(0)
	v_fmac_f32_e32 v126, v130, v131
	s_andn2_b64 exec, exec, s[12:13]
	s_cbranch_execnz .LBB60_1177
; %bb.1178:
	s_or_b64 exec, exec, s[12:13]
.LBB60_1179:
	s_or_b64 exec, exec, s[10:11]
	v_mov_b32_e32 v127, 0
	ds_read_b32 v127, v127 offset:236
	s_waitcnt lgkmcnt(0)
	v_mul_f32_e32 v126, v126, v127
	buffer_store_dword v126, off, s[0:3], 0 offset:236
.LBB60_1180:
	s_or_b64 exec, exec, s[8:9]
	buffer_load_dword v126, off, s[0:3], 0 offset:240
	v_cmp_ne_u32_e32 vcc, 60, v0
	s_waitcnt vmcnt(0)
	ds_write_b32 v124, v126
	s_waitcnt lgkmcnt(0)
	; wave barrier
	s_waitcnt lgkmcnt(0)
	s_and_saveexec_b64 s[8:9], vcc
	s_cbranch_execz .LBB60_1190
; %bb.1181:
	s_and_b64 vcc, exec, s[4:5]
	s_cbranch_vccnz .LBB60_1183
; %bb.1182:
	buffer_load_dword v125, v125, s[0:3], 0 offen
	ds_read_b32 v126, v124
	s_waitcnt vmcnt(0) lgkmcnt(0)
	v_mul_f32_e32 v125, v125, v126
	s_cbranch_execz .LBB60_1184
	s_branch .LBB60_1185
.LBB60_1183:
                                        ; implicit-def: $vgpr125
.LBB60_1184:
	ds_read_b32 v125, v124
.LBB60_1185:
	s_and_saveexec_b64 s[4:5], s[6:7]
	s_cbranch_execz .LBB60_1189
; %bb.1186:
	v_mov_b32_e32 v126, 0
	v_add_u32_e32 v124, 0x104, v1
	v_add3_u32 v1, v1, v126, 4
	s_mov_b64 s[6:7], 0
.LBB60_1187:                            ; =>This Inner Loop Header: Depth=1
	buffer_load_dword v126, v1, s[0:3], 0 offen
	ds_read_b32 v127, v124
	v_add_u32_e32 v0, 1, v0
	v_cmp_lt_u32_e32 vcc, 58, v0
	v_add_u32_e32 v124, 4, v124
	v_add_u32_e32 v1, 4, v1
	s_or_b64 s[6:7], vcc, s[6:7]
	s_waitcnt vmcnt(0) lgkmcnt(0)
	v_fmac_f32_e32 v125, v126, v127
	s_andn2_b64 exec, exec, s[6:7]
	s_cbranch_execnz .LBB60_1187
; %bb.1188:
	s_or_b64 exec, exec, s[6:7]
.LBB60_1189:
	s_or_b64 exec, exec, s[4:5]
	v_mov_b32_e32 v0, 0
	ds_read_b32 v0, v0 offset:240
	s_waitcnt lgkmcnt(0)
	v_mul_f32_e32 v0, v125, v0
	buffer_store_dword v0, off, s[0:3], 0 offset:240
.LBB60_1190:
	s_or_b64 exec, exec, s[8:9]
.LBB60_1191:
	buffer_load_dword v0, off, s[0:3], 0
	buffer_load_dword v1, off, s[0:3], 0 offset:4
	buffer_load_dword v124, off, s[0:3], 0 offset:8
	;; [unrolled: 1-line block ×39, first 2 shown]
	s_waitcnt vmcnt(39)
	global_store_dword v[2:3], v0, off
	s_waitcnt vmcnt(39)
	global_store_dword v[4:5], v1, off
	buffer_load_dword v0, off, s[0:3], 0 offset:160
	s_nop 0
	buffer_load_dword v1, off, s[0:3], 0 offset:164
	buffer_load_dword v2, off, s[0:3], 0 offset:168
	;; [unrolled: 1-line block ×7, first 2 shown]
	s_waitcnt vmcnt(47)
	global_store_dword v[6:7], v124, off
	s_waitcnt vmcnt(47)
	global_store_dword v[8:9], v125, off
	;; [unrolled: 2-line block ×3, first 2 shown]
	buffer_load_dword v6, off, s[0:3], 0 offset:192
	buffer_load_dword v7, off, s[0:3], 0 offset:196
	buffer_load_dword v8, off, s[0:3], 0 offset:200
	buffer_load_dword v9, off, s[0:3], 0 offset:204
	s_nop 0
	buffer_load_dword v12, off, s[0:3], 0 offset:208
	buffer_load_dword v13, off, s[0:3], 0 offset:212
	;; [unrolled: 1-line block ×4, first 2 shown]
	s_waitcnt vmcnt(55)
	global_store_dword v[10:11], v127, off
	s_waitcnt vmcnt(55)
	global_store_dword v[14:15], v128, off
	buffer_load_dword v10, off, s[0:3], 0 offset:224
	buffer_load_dword v11, off, s[0:3], 0 offset:228
	s_nop 0
	buffer_load_dword v14, off, s[0:3], 0 offset:232
	buffer_load_dword v15, off, s[0:3], 0 offset:236
	;; [unrolled: 1-line block ×3, first 2 shown]
	s_waitcnt vmcnt(60)
	global_store_dword v[16:17], v129, off
	s_waitcnt vmcnt(60)
	global_store_dword v[18:19], v130, off
	;; [unrolled: 2-line block ×54, first 2 shown]
.LBB60_1192:
	s_endpgm
	.section	.rodata,"a",@progbits
	.p2align	6, 0x0
	.amdhsa_kernel _ZN9rocsolver6v33100L18trti2_kernel_smallILi61EfPfEEv13rocblas_fill_17rocblas_diagonal_T1_iil
		.amdhsa_group_segment_fixed_size 500
		.amdhsa_private_segment_fixed_size 256
		.amdhsa_kernarg_size 32
		.amdhsa_user_sgpr_count 8
		.amdhsa_user_sgpr_private_segment_buffer 1
		.amdhsa_user_sgpr_dispatch_ptr 0
		.amdhsa_user_sgpr_queue_ptr 0
		.amdhsa_user_sgpr_kernarg_segment_ptr 1
		.amdhsa_user_sgpr_dispatch_id 0
		.amdhsa_user_sgpr_flat_scratch_init 1
		.amdhsa_user_sgpr_kernarg_preload_length 0
		.amdhsa_user_sgpr_kernarg_preload_offset 0
		.amdhsa_user_sgpr_private_segment_size 0
		.amdhsa_uses_dynamic_stack 0
		.amdhsa_system_sgpr_private_segment_wavefront_offset 1
		.amdhsa_system_sgpr_workgroup_id_x 1
		.amdhsa_system_sgpr_workgroup_id_y 0
		.amdhsa_system_sgpr_workgroup_id_z 0
		.amdhsa_system_sgpr_workgroup_info 0
		.amdhsa_system_vgpr_workitem_id 0
		.amdhsa_next_free_vgpr 165
		.amdhsa_next_free_sgpr 20
		.amdhsa_accum_offset 168
		.amdhsa_reserve_vcc 1
		.amdhsa_reserve_flat_scratch 0
		.amdhsa_float_round_mode_32 0
		.amdhsa_float_round_mode_16_64 0
		.amdhsa_float_denorm_mode_32 3
		.amdhsa_float_denorm_mode_16_64 3
		.amdhsa_dx10_clamp 1
		.amdhsa_ieee_mode 1
		.amdhsa_fp16_overflow 0
		.amdhsa_tg_split 0
		.amdhsa_exception_fp_ieee_invalid_op 0
		.amdhsa_exception_fp_denorm_src 0
		.amdhsa_exception_fp_ieee_div_zero 0
		.amdhsa_exception_fp_ieee_overflow 0
		.amdhsa_exception_fp_ieee_underflow 0
		.amdhsa_exception_fp_ieee_inexact 0
		.amdhsa_exception_int_div_zero 0
	.end_amdhsa_kernel
	.section	.text._ZN9rocsolver6v33100L18trti2_kernel_smallILi61EfPfEEv13rocblas_fill_17rocblas_diagonal_T1_iil,"axG",@progbits,_ZN9rocsolver6v33100L18trti2_kernel_smallILi61EfPfEEv13rocblas_fill_17rocblas_diagonal_T1_iil,comdat
.Lfunc_end60:
	.size	_ZN9rocsolver6v33100L18trti2_kernel_smallILi61EfPfEEv13rocblas_fill_17rocblas_diagonal_T1_iil, .Lfunc_end60-_ZN9rocsolver6v33100L18trti2_kernel_smallILi61EfPfEEv13rocblas_fill_17rocblas_diagonal_T1_iil
                                        ; -- End function
	.section	.AMDGPU.csdata,"",@progbits
; Kernel info:
; codeLenInByte = 30212
; NumSgprs: 24
; NumVgprs: 165
; NumAgprs: 0
; TotalNumVgprs: 165
; ScratchSize: 256
; MemoryBound: 0
; FloatMode: 240
; IeeeMode: 1
; LDSByteSize: 500 bytes/workgroup (compile time only)
; SGPRBlocks: 2
; VGPRBlocks: 20
; NumSGPRsForWavesPerEU: 24
; NumVGPRsForWavesPerEU: 165
; AccumOffset: 168
; Occupancy: 3
; WaveLimiterHint : 0
; COMPUTE_PGM_RSRC2:SCRATCH_EN: 1
; COMPUTE_PGM_RSRC2:USER_SGPR: 8
; COMPUTE_PGM_RSRC2:TRAP_HANDLER: 0
; COMPUTE_PGM_RSRC2:TGID_X_EN: 1
; COMPUTE_PGM_RSRC2:TGID_Y_EN: 0
; COMPUTE_PGM_RSRC2:TGID_Z_EN: 0
; COMPUTE_PGM_RSRC2:TIDIG_COMP_CNT: 0
; COMPUTE_PGM_RSRC3_GFX90A:ACCUM_OFFSET: 41
; COMPUTE_PGM_RSRC3_GFX90A:TG_SPLIT: 0
	.section	.text._ZN9rocsolver6v33100L18trti2_kernel_smallILi62EfPfEEv13rocblas_fill_17rocblas_diagonal_T1_iil,"axG",@progbits,_ZN9rocsolver6v33100L18trti2_kernel_smallILi62EfPfEEv13rocblas_fill_17rocblas_diagonal_T1_iil,comdat
	.globl	_ZN9rocsolver6v33100L18trti2_kernel_smallILi62EfPfEEv13rocblas_fill_17rocblas_diagonal_T1_iil ; -- Begin function _ZN9rocsolver6v33100L18trti2_kernel_smallILi62EfPfEEv13rocblas_fill_17rocblas_diagonal_T1_iil
	.p2align	8
	.type	_ZN9rocsolver6v33100L18trti2_kernel_smallILi62EfPfEEv13rocblas_fill_17rocblas_diagonal_T1_iil,@function
_ZN9rocsolver6v33100L18trti2_kernel_smallILi62EfPfEEv13rocblas_fill_17rocblas_diagonal_T1_iil: ; @_ZN9rocsolver6v33100L18trti2_kernel_smallILi62EfPfEEv13rocblas_fill_17rocblas_diagonal_T1_iil
; %bb.0:
	s_add_u32 s0, s0, s9
	s_addc_u32 s1, s1, 0
	v_cmp_gt_u32_e32 vcc, 62, v0
	s_and_saveexec_b64 s[6:7], vcc
	s_cbranch_execz .LBB61_1212
; %bb.1:
	s_load_dwordx8 s[12:19], s[4:5], 0x0
	s_ashr_i32 s6, s8, 31
	s_waitcnt lgkmcnt(0)
	s_mul_i32 s7, s8, s19
	s_mul_hi_u32 s9, s8, s18
	s_add_i32 s7, s9, s7
	s_mul_i32 s6, s6, s18
	s_add_i32 s7, s7, s6
	s_mul_i32 s6, s8, s18
	s_ashr_i32 s5, s16, 31
	s_lshl_b64 s[6:7], s[6:7], 2
	s_mov_b32 s4, s16
	s_add_u32 s6, s14, s6
	s_addc_u32 s7, s15, s7
	s_lshl_b64 s[4:5], s[4:5], 2
	s_add_u32 s4, s6, s4
	s_addc_u32 s5, s7, s5
	s_add_i32 s6, s17, s17
	v_add_u32_e32 v2, s6, v0
	v_ashrrev_i32_e32 v3, 31, v2
	v_lshlrev_b64 v[4:5], 2, v[2:3]
	v_add_u32_e32 v6, s17, v2
	v_mov_b32_e32 v1, s5
	v_add_co_u32_e32 v4, vcc, s4, v4
	v_ashrrev_i32_e32 v7, 31, v6
	v_addc_co_u32_e32 v5, vcc, v1, v5, vcc
	v_lshlrev_b64 v[2:3], 2, v[6:7]
	v_add_u32_e32 v8, s17, v6
	v_add_co_u32_e32 v2, vcc, s4, v2
	v_ashrrev_i32_e32 v9, 31, v8
	v_addc_co_u32_e32 v3, vcc, v1, v3, vcc
	v_lshlrev_b64 v[6:7], 2, v[8:9]
	v_add_u32_e32 v8, s17, v8
	;; [unrolled: 5-line block ×50, first 2 shown]
	v_add_co_u32_e32 v102, vcc, s4, v102
	v_ashrrev_i32_e32 v107, 31, v106
	v_addc_co_u32_e32 v103, vcc, v1, v103, vcc
	v_lshlrev_b64 v[104:105], 2, v[106:107]
	v_add_co_u32_e32 v104, vcc, s4, v104
	v_add_u32_e32 v108, s17, v106
	v_addc_co_u32_e32 v105, vcc, v1, v105, vcc
	v_ashrrev_i32_e32 v109, 31, v108
	v_lshlrev_b32_e32 v1, 2, v0
	v_lshlrev_b64 v[106:107], 2, v[108:109]
	v_mov_b32_e32 v109, s5
	v_add_co_u32_e32 v114, vcc, s4, v1
	s_ashr_i32 s7, s17, 31
	s_mov_b32 s6, s17
	v_addc_co_u32_e32 v115, vcc, 0, v109, vcc
	s_lshl_b64 s[6:7], s[6:7], 2
	v_mov_b32_e32 v109, s7
	v_add_co_u32_e32 v116, vcc, s6, v114
	v_addc_co_u32_e32 v117, vcc, v115, v109, vcc
	global_load_dword v126, v1, s[4:5]
	global_load_dword v127, v[116:117], off
	global_load_dword v128, v[6:7], off
	;; [unrolled: 1-line block ×24, first 2 shown]
	v_mov_b32_e32 v110, s5
	v_add_co_u32_e32 v106, vcc, s4, v106
	v_addc_co_u32_e32 v107, vcc, v110, v107, vcc
	v_add_u32_e32 v110, s17, v108
	v_ashrrev_i32_e32 v111, 31, v110
	v_lshlrev_b64 v[108:109], 2, v[110:111]
	v_mov_b32_e32 v112, s5
	v_add_co_u32_e32 v108, vcc, s4, v108
	v_addc_co_u32_e32 v109, vcc, v112, v109, vcc
	v_add_u32_e32 v112, s17, v110
	v_ashrrev_i32_e32 v113, 31, v112
	v_lshlrev_b64 v[110:111], 2, v[112:113]
	;; [unrolled: 6-line block ×6, first 2 shown]
	v_add_u32_e32 v124, s17, v124
	v_mov_b32_e32 v151, s5
	v_add_co_u32_e32 v122, vcc, s4, v122
	v_ashrrev_i32_e32 v125, 31, v124
	v_addc_co_u32_e32 v123, vcc, v151, v123, vcc
	v_lshlrev_b64 v[124:125], 2, v[124:125]
	v_add_co_u32_e32 v124, vcc, s4, v124
	v_addc_co_u32_e32 v125, vcc, v151, v125, vcc
	global_load_dword v151, v[124:125], off
	s_waitcnt vmcnt(25)
	buffer_store_dword v126, off, s[0:3], 0
	s_waitcnt vmcnt(25)
	buffer_store_dword v127, off, s[0:3], 0 offset:4
	s_waitcnt vmcnt(20)
	buffer_store_dword v133, off, s[0:3], 0 offset:12
	;; [unrolled: 2-line block ×3, first 2 shown]
	buffer_store_dword v128, off, s[0:3], 0 offset:16
	buffer_store_dword v129, off, s[0:3], 0 offset:20
	;; [unrolled: 1-line block ×5, first 2 shown]
	s_waitcnt vmcnt(25)
	buffer_store_dword v135, off, s[0:3], 0 offset:36
	s_waitcnt vmcnt(20)
	buffer_store_dword v141, off, s[0:3], 0 offset:44
	;; [unrolled: 2-line block ×3, first 2 shown]
	buffer_store_dword v136, off, s[0:3], 0 offset:48
	buffer_store_dword v137, off, s[0:3], 0 offset:52
	buffer_store_dword v138, off, s[0:3], 0 offset:56
	buffer_store_dword v139, off, s[0:3], 0 offset:60
	buffer_store_dword v140, off, s[0:3], 0 offset:64
	s_waitcnt vmcnt(25)
	buffer_store_dword v143, off, s[0:3], 0 offset:68
	s_waitcnt vmcnt(25)
	buffer_store_dword v144, off, s[0:3], 0 offset:72
	;; [unrolled: 2-line block ×3, first 2 shown]
	global_load_dword v126, v[48:49], off
	global_load_dword v127, v[62:63], off
	global_load_dword v128, v[60:61], off
	global_load_dword v129, v[58:59], off
	global_load_dword v130, v[56:57], off
	global_load_dword v131, v[54:55], off
	global_load_dword v132, v[52:53], off
	global_load_dword v133, v[50:51], off
	global_load_dword v134, v[64:65], off
	global_load_dword v135, v[78:79], off
	global_load_dword v136, v[76:77], off
	global_load_dword v137, v[74:75], off
	global_load_dword v138, v[72:73], off
	global_load_dword v139, v[70:71], off
	global_load_dword v140, v[68:69], off
	global_load_dword v141, v[66:67], off
	global_load_dword v142, v[80:81], off
	global_load_dword v143, v[94:95], off
	global_load_dword v144, v[92:93], off
	global_load_dword v145, v[90:91], off
	global_load_dword v152, v[88:89], off
	global_load_dword v153, v[86:87], off
	global_load_dword v154, v[84:85], off
	global_load_dword v155, v[82:83], off
	global_load_dword v156, v[96:97], off
	global_load_dword v157, v[110:111], off
	global_load_dword v158, v[108:109], off
	global_load_dword v159, v[106:107], off
	global_load_dword v160, v[104:105], off
	global_load_dword v161, v[102:103], off
	global_load_dword v162, v[100:101], off
	global_load_dword v163, v[98:99], off
	s_waitcnt vmcnt(54)
	buffer_store_dword v149, off, s[0:3], 0 offset:84
	s_waitcnt vmcnt(54)
	buffer_store_dword v150, off, s[0:3], 0 offset:80
	buffer_store_dword v147, off, s[0:3], 0 offset:92
	;; [unrolled: 1-line block ×3, first 2 shown]
	global_load_dword v147, v[112:113], off
	s_nop 0
	global_load_dword v148, v[122:123], off
	global_load_dword v149, v[120:121], off
	global_load_dword v150, v[118:119], off
	s_cmpk_lg_i32 s13, 0x84
	s_waitcnt vmcnt(39)
	buffer_store_dword v126, off, s[0:3], 0 offset:100
	buffer_store_dword v146, off, s[0:3], 0 offset:96
	s_waitcnt vmcnt(35)
	buffer_store_dword v132, off, s[0:3], 0 offset:108
	s_waitcnt vmcnt(35)
	buffer_store_dword v133, off, s[0:3], 0 offset:104
	buffer_store_dword v130, off, s[0:3], 0 offset:116
	buffer_store_dword v131, off, s[0:3], 0 offset:112
	buffer_store_dword v128, off, s[0:3], 0 offset:124
	buffer_store_dword v129, off, s[0:3], 0 offset:120
	s_waitcnt vmcnt(39)
	buffer_store_dword v134, off, s[0:3], 0 offset:132
	buffer_store_dword v127, off, s[0:3], 0 offset:128
	s_waitcnt vmcnt(35)
	buffer_store_dword v140, off, s[0:3], 0 offset:140
	s_waitcnt vmcnt(35)
	buffer_store_dword v141, off, s[0:3], 0 offset:136
	buffer_store_dword v138, off, s[0:3], 0 offset:148
	buffer_store_dword v139, off, s[0:3], 0 offset:144
	buffer_store_dword v136, off, s[0:3], 0 offset:156
	buffer_store_dword v137, off, s[0:3], 0 offset:152
	;; [unrolled: 11-line block ×4, first 2 shown]
	s_waitcnt vmcnt(35)
	buffer_store_dword v147, off, s[0:3], 0 offset:228
	buffer_store_dword v157, off, s[0:3], 0 offset:224
	s_waitcnt vmcnt(35)
	buffer_store_dword v149, off, s[0:3], 0 offset:236
	s_waitcnt vmcnt(35)
	buffer_store_dword v150, off, s[0:3], 0 offset:232
	buffer_store_dword v151, off, s[0:3], 0 offset:244
	;; [unrolled: 1-line block ×3, first 2 shown]
	s_cselect_b64 s[8:9], -1, 0
	s_cmpk_eq_i32 s13, 0x84
	v_mov_b32_e32 v156, 0
	v_mov_b32_e32 v126, -1.0
	s_cbranch_scc1 .LBB61_3
; %bb.2:
	v_lshl_add_u32 v126, v0, 2, v156
	buffer_load_dword v127, v126, s[0:3], 0 offen
	s_waitcnt vmcnt(0)
	v_div_scale_f32 v128, s[4:5], v127, v127, 1.0
	v_rcp_f32_e32 v129, v128
	v_div_scale_f32 v130, vcc, 1.0, v127, 1.0
	v_fma_f32 v131, -v128, v129, 1.0
	v_fmac_f32_e32 v129, v131, v129
	v_mul_f32_e32 v131, v130, v129
	v_fma_f32 v132, -v128, v131, v130
	v_fmac_f32_e32 v131, v132, v129
	v_fma_f32 v128, -v128, v131, v130
	v_div_fmas_f32 v128, v128, v129, v131
	v_div_fixup_f32 v127, v128, v127, 1.0
	buffer_store_dword v127, v126, s[0:3], 0 offen
	v_xor_b32_e32 v126, 0x80000000, v127
.LBB61_3:
	ds_write_b32 v1, v126
	s_cmpk_eq_i32 s12, 0x79
	v_or_b32_e32 v126, 0x100, v1
	v_add_u32_e32 v127, 0, v1
	s_mov_b64 s[4:5], -1
	s_cbranch_scc1 .LBB61_607
; %bb.4:
	buffer_load_dword v128, off, s[0:3], 0 offset:240
	v_cmp_eq_u32_e64 s[4:5], 61, v0
	s_waitcnt vmcnt(0)
	ds_write_b32 v126, v128
	s_waitcnt lgkmcnt(0)
	; wave barrier
	s_waitcnt lgkmcnt(0)
	s_and_saveexec_b64 s[6:7], s[4:5]
	s_cbranch_execz .LBB61_10
; %bb.5:
	s_and_b64 vcc, exec, s[8:9]
	s_cbranch_vccz .LBB61_7
; %bb.6:
	buffer_load_dword v128, v127, s[0:3], 0 offen
	ds_read_b32 v129, v126
	s_waitcnt vmcnt(0) lgkmcnt(0)
	v_mul_f32_e32 v128, v128, v129
	s_cbranch_execz .LBB61_8
	s_branch .LBB61_9
.LBB61_7:
                                        ; implicit-def: $vgpr128
.LBB61_8:
	ds_read_b32 v128, v126
.LBB61_9:
	v_mov_b32_e32 v129, 0
	ds_read_b32 v129, v129 offset:240
	s_waitcnt lgkmcnt(0)
	v_mul_f32_e32 v128, v128, v129
	buffer_store_dword v128, off, s[0:3], 0 offset:240
.LBB61_10:
	s_or_b64 exec, exec, s[6:7]
	buffer_load_dword v157, off, s[0:3], 0 offset:236
	v_or_b32_e32 v128, 8, v156
	v_add_u32_e32 v129, 16, v156
	v_add_u32_e32 v130, 24, v156
	;; [unrolled: 1-line block ×28, first 2 shown]
	v_cmp_lt_u32_e64 s[6:7], 59, v0
	s_waitcnt vmcnt(0)
	ds_write_b32 v126, v157
	s_waitcnt lgkmcnt(0)
	; wave barrier
	s_waitcnt lgkmcnt(0)
	s_and_saveexec_b64 s[10:11], s[6:7]
	s_cbranch_execz .LBB61_16
; %bb.11:
	s_andn2_b64 vcc, exec, s[8:9]
	s_cbranch_vccnz .LBB61_13
; %bb.12:
	buffer_load_dword v157, v127, s[0:3], 0 offen
	ds_read_b32 v158, v126
	s_waitcnt vmcnt(0) lgkmcnt(0)
	v_mul_f32_e32 v157, v157, v158
	s_cbranch_execz .LBB61_14
	s_branch .LBB61_15
.LBB61_13:
                                        ; implicit-def: $vgpr157
.LBB61_14:
	ds_read_b32 v157, v126
.LBB61_15:
	buffer_load_dword v160, off, s[0:3], 0 offset:240
	v_mov_b32_e32 v158, 0
	ds_read2_b32 v[158:159], v158 offset0:59 offset1:124
	s_waitcnt vmcnt(0) lgkmcnt(0)
	v_fma_f32 v159, v160, v159, v157
	v_cndmask_b32_e64 v157, v157, v159, s[4:5]
	v_mul_f32_e32 v157, v157, v158
	buffer_store_dword v157, off, s[0:3], 0 offset:236
.LBB61_16:
	s_or_b64 exec, exec, s[10:11]
	buffer_load_dword v157, off, s[0:3], 0 offset:232
	v_cmp_lt_u32_e64 s[4:5], 58, v0
	s_waitcnt vmcnt(0)
	ds_write_b32 v126, v157
	s_waitcnt lgkmcnt(0)
	; wave barrier
	s_waitcnt lgkmcnt(0)
	s_and_saveexec_b64 s[10:11], s[4:5]
	s_cbranch_execz .LBB61_26
; %bb.17:
	s_andn2_b64 vcc, exec, s[8:9]
	s_cbranch_vccnz .LBB61_19
; %bb.18:
	buffer_load_dword v157, v127, s[0:3], 0 offen
	ds_read_b32 v158, v126
	s_waitcnt vmcnt(0) lgkmcnt(0)
	v_mul_f32_e32 v157, v157, v158
	s_cbranch_execz .LBB61_20
	s_branch .LBB61_21
.LBB61_19:
                                        ; implicit-def: $vgpr157
.LBB61_20:
	ds_read_b32 v157, v126
.LBB61_21:
	s_and_saveexec_b64 s[12:13], s[6:7]
	s_cbranch_execz .LBB61_25
; %bb.22:
	v_mov_b32_e32 v158, 0
	v_add_u32_e32 v158, 0xec, v158
	v_subrev_u32_e32 v159, 59, v0
	s_movk_i32 s14, 0x1ec
	s_mov_b64 s[6:7], 0
.LBB61_23:                              ; =>This Inner Loop Header: Depth=1
	buffer_load_dword v160, v158, s[0:3], 0 offen
	v_mov_b32_e32 v161, s14
	ds_read_b32 v161, v161
	v_add_u32_e32 v159, -1, v159
	s_add_i32 s14, s14, 4
	v_cmp_eq_u32_e32 vcc, 0, v159
	v_add_u32_e32 v158, 4, v158
	s_or_b64 s[6:7], vcc, s[6:7]
	s_waitcnt vmcnt(0) lgkmcnt(0)
	v_fmac_f32_e32 v157, v160, v161
	s_andn2_b64 exec, exec, s[6:7]
	s_cbranch_execnz .LBB61_23
; %bb.24:
	s_or_b64 exec, exec, s[6:7]
.LBB61_25:
	s_or_b64 exec, exec, s[12:13]
	v_mov_b32_e32 v158, 0
	ds_read_b32 v158, v158 offset:232
	s_waitcnt lgkmcnt(0)
	v_mul_f32_e32 v157, v157, v158
	buffer_store_dword v157, off, s[0:3], 0 offset:232
.LBB61_26:
	s_or_b64 exec, exec, s[10:11]
	buffer_load_dword v157, off, s[0:3], 0 offset:228
	v_cmp_lt_u32_e64 s[6:7], 57, v0
	s_waitcnt vmcnt(0)
	ds_write_b32 v126, v157
	s_waitcnt lgkmcnt(0)
	; wave barrier
	s_waitcnt lgkmcnt(0)
	s_and_saveexec_b64 s[10:11], s[6:7]
	s_cbranch_execz .LBB61_36
; %bb.27:
	s_andn2_b64 vcc, exec, s[8:9]
	s_cbranch_vccnz .LBB61_29
; %bb.28:
	buffer_load_dword v157, v127, s[0:3], 0 offen
	ds_read_b32 v158, v126
	s_waitcnt vmcnt(0) lgkmcnt(0)
	v_mul_f32_e32 v157, v157, v158
	s_cbranch_execz .LBB61_30
	s_branch .LBB61_31
.LBB61_29:
                                        ; implicit-def: $vgpr157
.LBB61_30:
	ds_read_b32 v157, v126
.LBB61_31:
	s_and_saveexec_b64 s[12:13], s[4:5]
	s_cbranch_execz .LBB61_35
; %bb.32:
	v_subrev_u32_e32 v158, 58, v0
	s_movk_i32 s14, 0x1e8
	s_mov_b64 s[4:5], 0
.LBB61_33:                              ; =>This Inner Loop Header: Depth=1
	buffer_load_dword v159, v156, s[0:3], 0 offen
	v_mov_b32_e32 v160, s14
	ds_read_b32 v160, v160
	v_add_u32_e32 v158, -1, v158
	s_add_i32 s14, s14, 4
	v_cmp_eq_u32_e32 vcc, 0, v158
	v_add_u32_e32 v156, 4, v156
	s_or_b64 s[4:5], vcc, s[4:5]
	s_waitcnt vmcnt(0) lgkmcnt(0)
	v_fmac_f32_e32 v157, v159, v160
	s_andn2_b64 exec, exec, s[4:5]
	s_cbranch_execnz .LBB61_33
; %bb.34:
	s_or_b64 exec, exec, s[4:5]
.LBB61_35:
	s_or_b64 exec, exec, s[12:13]
	v_mov_b32_e32 v156, 0
	ds_read_b32 v156, v156 offset:228
	s_waitcnt lgkmcnt(0)
	v_mul_f32_e32 v156, v157, v156
	buffer_store_dword v156, off, s[0:3], 0 offset:228
.LBB61_36:
	s_or_b64 exec, exec, s[10:11]
	buffer_load_dword v156, off, s[0:3], 0 offset:224
	v_cmp_lt_u32_e64 s[4:5], 56, v0
	s_waitcnt vmcnt(0)
	ds_write_b32 v126, v156
	s_waitcnt lgkmcnt(0)
	; wave barrier
	s_waitcnt lgkmcnt(0)
	s_and_saveexec_b64 s[10:11], s[4:5]
	s_cbranch_execz .LBB61_46
; %bb.37:
	s_andn2_b64 vcc, exec, s[8:9]
	s_cbranch_vccnz .LBB61_39
; %bb.38:
	buffer_load_dword v156, v127, s[0:3], 0 offen
	ds_read_b32 v157, v126
	s_waitcnt vmcnt(0) lgkmcnt(0)
	v_mul_f32_e32 v156, v156, v157
	s_cbranch_execz .LBB61_40
	s_branch .LBB61_41
.LBB61_39:
                                        ; implicit-def: $vgpr156
.LBB61_40:
	ds_read_b32 v156, v126
.LBB61_41:
	s_and_saveexec_b64 s[12:13], s[6:7]
	s_cbranch_execz .LBB61_45
; %bb.42:
	v_mov_b32_e32 v157, 0
	v_add_u32_e32 v157, 0xe4, v157
	v_subrev_u32_e32 v158, 57, v0
	s_movk_i32 s14, 0x1e4
	s_mov_b64 s[6:7], 0
.LBB61_43:                              ; =>This Inner Loop Header: Depth=1
	buffer_load_dword v159, v157, s[0:3], 0 offen
	v_mov_b32_e32 v160, s14
	ds_read_b32 v160, v160
	v_add_u32_e32 v158, -1, v158
	s_add_i32 s14, s14, 4
	v_cmp_eq_u32_e32 vcc, 0, v158
	v_add_u32_e32 v157, 4, v157
	s_or_b64 s[6:7], vcc, s[6:7]
	s_waitcnt vmcnt(0) lgkmcnt(0)
	v_fmac_f32_e32 v156, v159, v160
	s_andn2_b64 exec, exec, s[6:7]
	s_cbranch_execnz .LBB61_43
; %bb.44:
	s_or_b64 exec, exec, s[6:7]
.LBB61_45:
	s_or_b64 exec, exec, s[12:13]
	v_mov_b32_e32 v157, 0
	ds_read_b32 v157, v157 offset:224
	s_waitcnt lgkmcnt(0)
	v_mul_f32_e32 v156, v156, v157
	buffer_store_dword v156, off, s[0:3], 0 offset:224
.LBB61_46:
	s_or_b64 exec, exec, s[10:11]
	buffer_load_dword v156, off, s[0:3], 0 offset:220
	v_cmp_lt_u32_e64 s[6:7], 55, v0
	s_waitcnt vmcnt(0)
	ds_write_b32 v126, v156
	s_waitcnt lgkmcnt(0)
	; wave barrier
	s_waitcnt lgkmcnt(0)
	s_and_saveexec_b64 s[10:11], s[6:7]
	s_cbranch_execz .LBB61_56
; %bb.47:
	s_andn2_b64 vcc, exec, s[8:9]
	s_cbranch_vccnz .LBB61_49
; %bb.48:
	buffer_load_dword v156, v127, s[0:3], 0 offen
	ds_read_b32 v157, v126
	s_waitcnt vmcnt(0) lgkmcnt(0)
	v_mul_f32_e32 v156, v156, v157
	s_cbranch_execz .LBB61_50
	s_branch .LBB61_51
.LBB61_49:
                                        ; implicit-def: $vgpr156
.LBB61_50:
	ds_read_b32 v156, v126
.LBB61_51:
	s_and_saveexec_b64 s[12:13], s[4:5]
	s_cbranch_execz .LBB61_55
; %bb.52:
	v_subrev_u32_e32 v157, 56, v0
	s_movk_i32 s14, 0x1e0
	s_mov_b64 s[4:5], 0
.LBB61_53:                              ; =>This Inner Loop Header: Depth=1
	buffer_load_dword v158, v155, s[0:3], 0 offen
	v_mov_b32_e32 v159, s14
	ds_read_b32 v159, v159
	v_add_u32_e32 v157, -1, v157
	s_add_i32 s14, s14, 4
	v_cmp_eq_u32_e32 vcc, 0, v157
	v_add_u32_e32 v155, 4, v155
	s_or_b64 s[4:5], vcc, s[4:5]
	s_waitcnt vmcnt(0) lgkmcnt(0)
	v_fmac_f32_e32 v156, v158, v159
	s_andn2_b64 exec, exec, s[4:5]
	s_cbranch_execnz .LBB61_53
; %bb.54:
	s_or_b64 exec, exec, s[4:5]
.LBB61_55:
	s_or_b64 exec, exec, s[12:13]
	v_mov_b32_e32 v155, 0
	ds_read_b32 v155, v155 offset:220
	s_waitcnt lgkmcnt(0)
	v_mul_f32_e32 v155, v156, v155
	buffer_store_dword v155, off, s[0:3], 0 offset:220
.LBB61_56:
	s_or_b64 exec, exec, s[10:11]
	buffer_load_dword v155, off, s[0:3], 0 offset:216
	v_cmp_lt_u32_e64 s[4:5], 54, v0
	s_waitcnt vmcnt(0)
	ds_write_b32 v126, v155
	s_waitcnt lgkmcnt(0)
	; wave barrier
	s_waitcnt lgkmcnt(0)
	s_and_saveexec_b64 s[10:11], s[4:5]
	s_cbranch_execz .LBB61_66
; %bb.57:
	s_andn2_b64 vcc, exec, s[8:9]
	s_cbranch_vccnz .LBB61_59
; %bb.58:
	buffer_load_dword v155, v127, s[0:3], 0 offen
	ds_read_b32 v156, v126
	s_waitcnt vmcnt(0) lgkmcnt(0)
	v_mul_f32_e32 v155, v155, v156
	s_cbranch_execz .LBB61_60
	s_branch .LBB61_61
.LBB61_59:
                                        ; implicit-def: $vgpr155
.LBB61_60:
	ds_read_b32 v155, v126
.LBB61_61:
	s_and_saveexec_b64 s[12:13], s[6:7]
	s_cbranch_execz .LBB61_65
; %bb.62:
	v_mov_b32_e32 v156, 0
	v_add_u32_e32 v156, 0xdc, v156
	v_subrev_u32_e32 v157, 55, v0
	s_movk_i32 s14, 0x1dc
	s_mov_b64 s[6:7], 0
.LBB61_63:                              ; =>This Inner Loop Header: Depth=1
	buffer_load_dword v158, v156, s[0:3], 0 offen
	v_mov_b32_e32 v159, s14
	ds_read_b32 v159, v159
	v_add_u32_e32 v157, -1, v157
	s_add_i32 s14, s14, 4
	v_cmp_eq_u32_e32 vcc, 0, v157
	v_add_u32_e32 v156, 4, v156
	s_or_b64 s[6:7], vcc, s[6:7]
	s_waitcnt vmcnt(0) lgkmcnt(0)
	v_fmac_f32_e32 v155, v158, v159
	s_andn2_b64 exec, exec, s[6:7]
	s_cbranch_execnz .LBB61_63
; %bb.64:
	s_or_b64 exec, exec, s[6:7]
.LBB61_65:
	s_or_b64 exec, exec, s[12:13]
	v_mov_b32_e32 v156, 0
	ds_read_b32 v156, v156 offset:216
	s_waitcnt lgkmcnt(0)
	v_mul_f32_e32 v155, v155, v156
	buffer_store_dword v155, off, s[0:3], 0 offset:216
.LBB61_66:
	s_or_b64 exec, exec, s[10:11]
	buffer_load_dword v155, off, s[0:3], 0 offset:212
	v_cmp_lt_u32_e64 s[6:7], 53, v0
	s_waitcnt vmcnt(0)
	ds_write_b32 v126, v155
	s_waitcnt lgkmcnt(0)
	; wave barrier
	s_waitcnt lgkmcnt(0)
	s_and_saveexec_b64 s[10:11], s[6:7]
	s_cbranch_execz .LBB61_76
; %bb.67:
	s_andn2_b64 vcc, exec, s[8:9]
	s_cbranch_vccnz .LBB61_69
; %bb.68:
	buffer_load_dword v155, v127, s[0:3], 0 offen
	ds_read_b32 v156, v126
	s_waitcnt vmcnt(0) lgkmcnt(0)
	v_mul_f32_e32 v155, v155, v156
	s_cbranch_execz .LBB61_70
	s_branch .LBB61_71
.LBB61_69:
                                        ; implicit-def: $vgpr155
.LBB61_70:
	ds_read_b32 v155, v126
.LBB61_71:
	s_and_saveexec_b64 s[12:13], s[4:5]
	s_cbranch_execz .LBB61_75
; %bb.72:
	v_subrev_u32_e32 v156, 54, v0
	s_movk_i32 s14, 0x1d8
	s_mov_b64 s[4:5], 0
.LBB61_73:                              ; =>This Inner Loop Header: Depth=1
	buffer_load_dword v157, v154, s[0:3], 0 offen
	v_mov_b32_e32 v158, s14
	ds_read_b32 v158, v158
	v_add_u32_e32 v156, -1, v156
	s_add_i32 s14, s14, 4
	v_cmp_eq_u32_e32 vcc, 0, v156
	v_add_u32_e32 v154, 4, v154
	s_or_b64 s[4:5], vcc, s[4:5]
	s_waitcnt vmcnt(0) lgkmcnt(0)
	v_fmac_f32_e32 v155, v157, v158
	s_andn2_b64 exec, exec, s[4:5]
	s_cbranch_execnz .LBB61_73
; %bb.74:
	s_or_b64 exec, exec, s[4:5]
.LBB61_75:
	s_or_b64 exec, exec, s[12:13]
	v_mov_b32_e32 v154, 0
	ds_read_b32 v154, v154 offset:212
	s_waitcnt lgkmcnt(0)
	v_mul_f32_e32 v154, v155, v154
	buffer_store_dword v154, off, s[0:3], 0 offset:212
.LBB61_76:
	s_or_b64 exec, exec, s[10:11]
	buffer_load_dword v154, off, s[0:3], 0 offset:208
	v_cmp_lt_u32_e64 s[4:5], 52, v0
	s_waitcnt vmcnt(0)
	ds_write_b32 v126, v154
	s_waitcnt lgkmcnt(0)
	; wave barrier
	s_waitcnt lgkmcnt(0)
	s_and_saveexec_b64 s[10:11], s[4:5]
	s_cbranch_execz .LBB61_86
; %bb.77:
	s_andn2_b64 vcc, exec, s[8:9]
	s_cbranch_vccnz .LBB61_79
; %bb.78:
	buffer_load_dword v154, v127, s[0:3], 0 offen
	ds_read_b32 v155, v126
	s_waitcnt vmcnt(0) lgkmcnt(0)
	v_mul_f32_e32 v154, v154, v155
	s_cbranch_execz .LBB61_80
	s_branch .LBB61_81
.LBB61_79:
                                        ; implicit-def: $vgpr154
.LBB61_80:
	ds_read_b32 v154, v126
.LBB61_81:
	s_and_saveexec_b64 s[12:13], s[6:7]
	s_cbranch_execz .LBB61_85
; %bb.82:
	v_mov_b32_e32 v155, 0
	v_add_u32_e32 v155, 0xd4, v155
	v_subrev_u32_e32 v156, 53, v0
	s_movk_i32 s14, 0x1d4
	s_mov_b64 s[6:7], 0
.LBB61_83:                              ; =>This Inner Loop Header: Depth=1
	buffer_load_dword v157, v155, s[0:3], 0 offen
	v_mov_b32_e32 v158, s14
	ds_read_b32 v158, v158
	v_add_u32_e32 v156, -1, v156
	s_add_i32 s14, s14, 4
	v_cmp_eq_u32_e32 vcc, 0, v156
	v_add_u32_e32 v155, 4, v155
	s_or_b64 s[6:7], vcc, s[6:7]
	s_waitcnt vmcnt(0) lgkmcnt(0)
	v_fmac_f32_e32 v154, v157, v158
	s_andn2_b64 exec, exec, s[6:7]
	s_cbranch_execnz .LBB61_83
; %bb.84:
	s_or_b64 exec, exec, s[6:7]
.LBB61_85:
	s_or_b64 exec, exec, s[12:13]
	v_mov_b32_e32 v155, 0
	ds_read_b32 v155, v155 offset:208
	s_waitcnt lgkmcnt(0)
	v_mul_f32_e32 v154, v154, v155
	buffer_store_dword v154, off, s[0:3], 0 offset:208
.LBB61_86:
	s_or_b64 exec, exec, s[10:11]
	buffer_load_dword v154, off, s[0:3], 0 offset:204
	v_cmp_lt_u32_e64 s[6:7], 51, v0
	s_waitcnt vmcnt(0)
	ds_write_b32 v126, v154
	s_waitcnt lgkmcnt(0)
	; wave barrier
	s_waitcnt lgkmcnt(0)
	s_and_saveexec_b64 s[10:11], s[6:7]
	s_cbranch_execz .LBB61_96
; %bb.87:
	s_andn2_b64 vcc, exec, s[8:9]
	s_cbranch_vccnz .LBB61_89
; %bb.88:
	buffer_load_dword v154, v127, s[0:3], 0 offen
	ds_read_b32 v155, v126
	s_waitcnt vmcnt(0) lgkmcnt(0)
	v_mul_f32_e32 v154, v154, v155
	s_cbranch_execz .LBB61_90
	s_branch .LBB61_91
.LBB61_89:
                                        ; implicit-def: $vgpr154
.LBB61_90:
	ds_read_b32 v154, v126
.LBB61_91:
	s_and_saveexec_b64 s[12:13], s[4:5]
	s_cbranch_execz .LBB61_95
; %bb.92:
	v_subrev_u32_e32 v155, 52, v0
	s_movk_i32 s14, 0x1d0
	s_mov_b64 s[4:5], 0
.LBB61_93:                              ; =>This Inner Loop Header: Depth=1
	buffer_load_dword v156, v153, s[0:3], 0 offen
	v_mov_b32_e32 v157, s14
	ds_read_b32 v157, v157
	v_add_u32_e32 v155, -1, v155
	s_add_i32 s14, s14, 4
	v_cmp_eq_u32_e32 vcc, 0, v155
	v_add_u32_e32 v153, 4, v153
	s_or_b64 s[4:5], vcc, s[4:5]
	s_waitcnt vmcnt(0) lgkmcnt(0)
	v_fmac_f32_e32 v154, v156, v157
	s_andn2_b64 exec, exec, s[4:5]
	s_cbranch_execnz .LBB61_93
; %bb.94:
	s_or_b64 exec, exec, s[4:5]
.LBB61_95:
	s_or_b64 exec, exec, s[12:13]
	v_mov_b32_e32 v153, 0
	ds_read_b32 v153, v153 offset:204
	s_waitcnt lgkmcnt(0)
	v_mul_f32_e32 v153, v154, v153
	buffer_store_dword v153, off, s[0:3], 0 offset:204
.LBB61_96:
	s_or_b64 exec, exec, s[10:11]
	buffer_load_dword v153, off, s[0:3], 0 offset:200
	v_cmp_lt_u32_e64 s[4:5], 50, v0
	s_waitcnt vmcnt(0)
	ds_write_b32 v126, v153
	s_waitcnt lgkmcnt(0)
	; wave barrier
	s_waitcnt lgkmcnt(0)
	s_and_saveexec_b64 s[10:11], s[4:5]
	s_cbranch_execz .LBB61_106
; %bb.97:
	s_andn2_b64 vcc, exec, s[8:9]
	s_cbranch_vccnz .LBB61_99
; %bb.98:
	buffer_load_dword v153, v127, s[0:3], 0 offen
	ds_read_b32 v154, v126
	s_waitcnt vmcnt(0) lgkmcnt(0)
	v_mul_f32_e32 v153, v153, v154
	s_cbranch_execz .LBB61_100
	s_branch .LBB61_101
.LBB61_99:
                                        ; implicit-def: $vgpr153
.LBB61_100:
	ds_read_b32 v153, v126
.LBB61_101:
	s_and_saveexec_b64 s[12:13], s[6:7]
	s_cbranch_execz .LBB61_105
; %bb.102:
	v_mov_b32_e32 v154, 0
	v_add_u32_e32 v154, 0xcc, v154
	v_subrev_u32_e32 v155, 51, v0
	s_movk_i32 s14, 0x1cc
	s_mov_b64 s[6:7], 0
.LBB61_103:                             ; =>This Inner Loop Header: Depth=1
	buffer_load_dword v156, v154, s[0:3], 0 offen
	v_mov_b32_e32 v157, s14
	ds_read_b32 v157, v157
	v_add_u32_e32 v155, -1, v155
	s_add_i32 s14, s14, 4
	v_cmp_eq_u32_e32 vcc, 0, v155
	v_add_u32_e32 v154, 4, v154
	s_or_b64 s[6:7], vcc, s[6:7]
	s_waitcnt vmcnt(0) lgkmcnt(0)
	v_fmac_f32_e32 v153, v156, v157
	s_andn2_b64 exec, exec, s[6:7]
	s_cbranch_execnz .LBB61_103
; %bb.104:
	s_or_b64 exec, exec, s[6:7]
.LBB61_105:
	s_or_b64 exec, exec, s[12:13]
	v_mov_b32_e32 v154, 0
	ds_read_b32 v154, v154 offset:200
	s_waitcnt lgkmcnt(0)
	v_mul_f32_e32 v153, v153, v154
	buffer_store_dword v153, off, s[0:3], 0 offset:200
.LBB61_106:
	s_or_b64 exec, exec, s[10:11]
	buffer_load_dword v153, off, s[0:3], 0 offset:196
	v_cmp_lt_u32_e64 s[6:7], 49, v0
	s_waitcnt vmcnt(0)
	ds_write_b32 v126, v153
	s_waitcnt lgkmcnt(0)
	; wave barrier
	s_waitcnt lgkmcnt(0)
	s_and_saveexec_b64 s[10:11], s[6:7]
	s_cbranch_execz .LBB61_116
; %bb.107:
	s_andn2_b64 vcc, exec, s[8:9]
	s_cbranch_vccnz .LBB61_109
; %bb.108:
	buffer_load_dword v153, v127, s[0:3], 0 offen
	ds_read_b32 v154, v126
	s_waitcnt vmcnt(0) lgkmcnt(0)
	v_mul_f32_e32 v153, v153, v154
	s_cbranch_execz .LBB61_110
	s_branch .LBB61_111
.LBB61_109:
                                        ; implicit-def: $vgpr153
.LBB61_110:
	ds_read_b32 v153, v126
.LBB61_111:
	s_and_saveexec_b64 s[12:13], s[4:5]
	s_cbranch_execz .LBB61_115
; %bb.112:
	v_subrev_u32_e32 v154, 50, v0
	s_movk_i32 s14, 0x1c8
	s_mov_b64 s[4:5], 0
.LBB61_113:                             ; =>This Inner Loop Header: Depth=1
	buffer_load_dword v155, v152, s[0:3], 0 offen
	v_mov_b32_e32 v156, s14
	ds_read_b32 v156, v156
	v_add_u32_e32 v154, -1, v154
	s_add_i32 s14, s14, 4
	v_cmp_eq_u32_e32 vcc, 0, v154
	v_add_u32_e32 v152, 4, v152
	s_or_b64 s[4:5], vcc, s[4:5]
	s_waitcnt vmcnt(0) lgkmcnt(0)
	v_fmac_f32_e32 v153, v155, v156
	s_andn2_b64 exec, exec, s[4:5]
	s_cbranch_execnz .LBB61_113
; %bb.114:
	s_or_b64 exec, exec, s[4:5]
.LBB61_115:
	s_or_b64 exec, exec, s[12:13]
	v_mov_b32_e32 v152, 0
	ds_read_b32 v152, v152 offset:196
	s_waitcnt lgkmcnt(0)
	v_mul_f32_e32 v152, v153, v152
	buffer_store_dword v152, off, s[0:3], 0 offset:196
.LBB61_116:
	s_or_b64 exec, exec, s[10:11]
	buffer_load_dword v152, off, s[0:3], 0 offset:192
	v_cmp_lt_u32_e64 s[4:5], 48, v0
	s_waitcnt vmcnt(0)
	ds_write_b32 v126, v152
	s_waitcnt lgkmcnt(0)
	; wave barrier
	s_waitcnt lgkmcnt(0)
	s_and_saveexec_b64 s[10:11], s[4:5]
	s_cbranch_execz .LBB61_126
; %bb.117:
	s_andn2_b64 vcc, exec, s[8:9]
	s_cbranch_vccnz .LBB61_119
; %bb.118:
	buffer_load_dword v152, v127, s[0:3], 0 offen
	ds_read_b32 v153, v126
	s_waitcnt vmcnt(0) lgkmcnt(0)
	v_mul_f32_e32 v152, v152, v153
	s_cbranch_execz .LBB61_120
	s_branch .LBB61_121
.LBB61_119:
                                        ; implicit-def: $vgpr152
.LBB61_120:
	ds_read_b32 v152, v126
.LBB61_121:
	s_and_saveexec_b64 s[12:13], s[6:7]
	s_cbranch_execz .LBB61_125
; %bb.122:
	v_mov_b32_e32 v153, 0
	v_add_u32_e32 v153, 0xc4, v153
	v_subrev_u32_e32 v154, 49, v0
	s_movk_i32 s14, 0x1c4
	s_mov_b64 s[6:7], 0
.LBB61_123:                             ; =>This Inner Loop Header: Depth=1
	buffer_load_dword v155, v153, s[0:3], 0 offen
	v_mov_b32_e32 v156, s14
	ds_read_b32 v156, v156
	v_add_u32_e32 v154, -1, v154
	s_add_i32 s14, s14, 4
	v_cmp_eq_u32_e32 vcc, 0, v154
	v_add_u32_e32 v153, 4, v153
	s_or_b64 s[6:7], vcc, s[6:7]
	s_waitcnt vmcnt(0) lgkmcnt(0)
	v_fmac_f32_e32 v152, v155, v156
	s_andn2_b64 exec, exec, s[6:7]
	s_cbranch_execnz .LBB61_123
; %bb.124:
	s_or_b64 exec, exec, s[6:7]
.LBB61_125:
	s_or_b64 exec, exec, s[12:13]
	v_mov_b32_e32 v153, 0
	ds_read_b32 v153, v153 offset:192
	s_waitcnt lgkmcnt(0)
	v_mul_f32_e32 v152, v152, v153
	buffer_store_dword v152, off, s[0:3], 0 offset:192
.LBB61_126:
	s_or_b64 exec, exec, s[10:11]
	buffer_load_dword v152, off, s[0:3], 0 offset:188
	v_cmp_lt_u32_e64 s[6:7], 47, v0
	s_waitcnt vmcnt(0)
	ds_write_b32 v126, v152
	s_waitcnt lgkmcnt(0)
	; wave barrier
	s_waitcnt lgkmcnt(0)
	s_and_saveexec_b64 s[10:11], s[6:7]
	s_cbranch_execz .LBB61_136
; %bb.127:
	s_andn2_b64 vcc, exec, s[8:9]
	s_cbranch_vccnz .LBB61_129
; %bb.128:
	buffer_load_dword v152, v127, s[0:3], 0 offen
	ds_read_b32 v153, v126
	s_waitcnt vmcnt(0) lgkmcnt(0)
	v_mul_f32_e32 v152, v152, v153
	s_cbranch_execz .LBB61_130
	s_branch .LBB61_131
.LBB61_129:
                                        ; implicit-def: $vgpr152
.LBB61_130:
	ds_read_b32 v152, v126
.LBB61_131:
	s_and_saveexec_b64 s[12:13], s[4:5]
	s_cbranch_execz .LBB61_135
; %bb.132:
	v_subrev_u32_e32 v153, 48, v0
	s_movk_i32 s14, 0x1c0
	s_mov_b64 s[4:5], 0
.LBB61_133:                             ; =>This Inner Loop Header: Depth=1
	buffer_load_dword v154, v151, s[0:3], 0 offen
	v_mov_b32_e32 v155, s14
	ds_read_b32 v155, v155
	v_add_u32_e32 v153, -1, v153
	s_add_i32 s14, s14, 4
	v_cmp_eq_u32_e32 vcc, 0, v153
	v_add_u32_e32 v151, 4, v151
	s_or_b64 s[4:5], vcc, s[4:5]
	s_waitcnt vmcnt(0) lgkmcnt(0)
	v_fmac_f32_e32 v152, v154, v155
	s_andn2_b64 exec, exec, s[4:5]
	s_cbranch_execnz .LBB61_133
; %bb.134:
	s_or_b64 exec, exec, s[4:5]
.LBB61_135:
	s_or_b64 exec, exec, s[12:13]
	v_mov_b32_e32 v151, 0
	ds_read_b32 v151, v151 offset:188
	s_waitcnt lgkmcnt(0)
	v_mul_f32_e32 v151, v152, v151
	buffer_store_dword v151, off, s[0:3], 0 offset:188
.LBB61_136:
	s_or_b64 exec, exec, s[10:11]
	buffer_load_dword v151, off, s[0:3], 0 offset:184
	v_cmp_lt_u32_e64 s[4:5], 46, v0
	s_waitcnt vmcnt(0)
	ds_write_b32 v126, v151
	s_waitcnt lgkmcnt(0)
	; wave barrier
	s_waitcnt lgkmcnt(0)
	s_and_saveexec_b64 s[10:11], s[4:5]
	s_cbranch_execz .LBB61_146
; %bb.137:
	s_andn2_b64 vcc, exec, s[8:9]
	s_cbranch_vccnz .LBB61_139
; %bb.138:
	buffer_load_dword v151, v127, s[0:3], 0 offen
	ds_read_b32 v152, v126
	s_waitcnt vmcnt(0) lgkmcnt(0)
	v_mul_f32_e32 v151, v151, v152
	s_cbranch_execz .LBB61_140
	s_branch .LBB61_141
.LBB61_139:
                                        ; implicit-def: $vgpr151
.LBB61_140:
	ds_read_b32 v151, v126
.LBB61_141:
	s_and_saveexec_b64 s[12:13], s[6:7]
	s_cbranch_execz .LBB61_145
; %bb.142:
	v_mov_b32_e32 v152, 0
	v_add_u32_e32 v152, 0xbc, v152
	v_subrev_u32_e32 v153, 47, v0
	s_movk_i32 s14, 0x1bc
	s_mov_b64 s[6:7], 0
.LBB61_143:                             ; =>This Inner Loop Header: Depth=1
	buffer_load_dword v154, v152, s[0:3], 0 offen
	v_mov_b32_e32 v155, s14
	ds_read_b32 v155, v155
	v_add_u32_e32 v153, -1, v153
	s_add_i32 s14, s14, 4
	v_cmp_eq_u32_e32 vcc, 0, v153
	v_add_u32_e32 v152, 4, v152
	s_or_b64 s[6:7], vcc, s[6:7]
	s_waitcnt vmcnt(0) lgkmcnt(0)
	v_fmac_f32_e32 v151, v154, v155
	s_andn2_b64 exec, exec, s[6:7]
	s_cbranch_execnz .LBB61_143
; %bb.144:
	s_or_b64 exec, exec, s[6:7]
.LBB61_145:
	s_or_b64 exec, exec, s[12:13]
	v_mov_b32_e32 v152, 0
	ds_read_b32 v152, v152 offset:184
	s_waitcnt lgkmcnt(0)
	v_mul_f32_e32 v151, v151, v152
	buffer_store_dword v151, off, s[0:3], 0 offset:184
.LBB61_146:
	s_or_b64 exec, exec, s[10:11]
	buffer_load_dword v151, off, s[0:3], 0 offset:180
	v_cmp_lt_u32_e64 s[6:7], 45, v0
	s_waitcnt vmcnt(0)
	ds_write_b32 v126, v151
	s_waitcnt lgkmcnt(0)
	; wave barrier
	s_waitcnt lgkmcnt(0)
	s_and_saveexec_b64 s[10:11], s[6:7]
	s_cbranch_execz .LBB61_156
; %bb.147:
	s_andn2_b64 vcc, exec, s[8:9]
	s_cbranch_vccnz .LBB61_149
; %bb.148:
	buffer_load_dword v151, v127, s[0:3], 0 offen
	ds_read_b32 v152, v126
	s_waitcnt vmcnt(0) lgkmcnt(0)
	v_mul_f32_e32 v151, v151, v152
	s_cbranch_execz .LBB61_150
	s_branch .LBB61_151
.LBB61_149:
                                        ; implicit-def: $vgpr151
.LBB61_150:
	ds_read_b32 v151, v126
.LBB61_151:
	s_and_saveexec_b64 s[12:13], s[4:5]
	s_cbranch_execz .LBB61_155
; %bb.152:
	v_subrev_u32_e32 v152, 46, v0
	s_movk_i32 s14, 0x1b8
	s_mov_b64 s[4:5], 0
.LBB61_153:                             ; =>This Inner Loop Header: Depth=1
	buffer_load_dword v153, v150, s[0:3], 0 offen
	v_mov_b32_e32 v154, s14
	ds_read_b32 v154, v154
	v_add_u32_e32 v152, -1, v152
	s_add_i32 s14, s14, 4
	v_cmp_eq_u32_e32 vcc, 0, v152
	v_add_u32_e32 v150, 4, v150
	s_or_b64 s[4:5], vcc, s[4:5]
	s_waitcnt vmcnt(0) lgkmcnt(0)
	v_fmac_f32_e32 v151, v153, v154
	s_andn2_b64 exec, exec, s[4:5]
	s_cbranch_execnz .LBB61_153
; %bb.154:
	s_or_b64 exec, exec, s[4:5]
.LBB61_155:
	s_or_b64 exec, exec, s[12:13]
	v_mov_b32_e32 v150, 0
	ds_read_b32 v150, v150 offset:180
	s_waitcnt lgkmcnt(0)
	v_mul_f32_e32 v150, v151, v150
	buffer_store_dword v150, off, s[0:3], 0 offset:180
.LBB61_156:
	s_or_b64 exec, exec, s[10:11]
	buffer_load_dword v150, off, s[0:3], 0 offset:176
	v_cmp_lt_u32_e64 s[4:5], 44, v0
	s_waitcnt vmcnt(0)
	ds_write_b32 v126, v150
	s_waitcnt lgkmcnt(0)
	; wave barrier
	s_waitcnt lgkmcnt(0)
	s_and_saveexec_b64 s[10:11], s[4:5]
	s_cbranch_execz .LBB61_166
; %bb.157:
	s_andn2_b64 vcc, exec, s[8:9]
	s_cbranch_vccnz .LBB61_159
; %bb.158:
	buffer_load_dword v150, v127, s[0:3], 0 offen
	ds_read_b32 v151, v126
	s_waitcnt vmcnt(0) lgkmcnt(0)
	v_mul_f32_e32 v150, v150, v151
	s_cbranch_execz .LBB61_160
	s_branch .LBB61_161
.LBB61_159:
                                        ; implicit-def: $vgpr150
.LBB61_160:
	ds_read_b32 v150, v126
.LBB61_161:
	s_and_saveexec_b64 s[12:13], s[6:7]
	s_cbranch_execz .LBB61_165
; %bb.162:
	v_mov_b32_e32 v151, 0
	v_add_u32_e32 v151, 0xb4, v151
	v_subrev_u32_e32 v152, 45, v0
	s_movk_i32 s14, 0x1b4
	s_mov_b64 s[6:7], 0
.LBB61_163:                             ; =>This Inner Loop Header: Depth=1
	buffer_load_dword v153, v151, s[0:3], 0 offen
	v_mov_b32_e32 v154, s14
	ds_read_b32 v154, v154
	v_add_u32_e32 v152, -1, v152
	s_add_i32 s14, s14, 4
	v_cmp_eq_u32_e32 vcc, 0, v152
	v_add_u32_e32 v151, 4, v151
	s_or_b64 s[6:7], vcc, s[6:7]
	s_waitcnt vmcnt(0) lgkmcnt(0)
	v_fmac_f32_e32 v150, v153, v154
	s_andn2_b64 exec, exec, s[6:7]
	s_cbranch_execnz .LBB61_163
; %bb.164:
	s_or_b64 exec, exec, s[6:7]
.LBB61_165:
	s_or_b64 exec, exec, s[12:13]
	v_mov_b32_e32 v151, 0
	ds_read_b32 v151, v151 offset:176
	s_waitcnt lgkmcnt(0)
	v_mul_f32_e32 v150, v150, v151
	buffer_store_dword v150, off, s[0:3], 0 offset:176
.LBB61_166:
	s_or_b64 exec, exec, s[10:11]
	buffer_load_dword v150, off, s[0:3], 0 offset:172
	v_cmp_lt_u32_e64 s[6:7], 43, v0
	s_waitcnt vmcnt(0)
	ds_write_b32 v126, v150
	s_waitcnt lgkmcnt(0)
	; wave barrier
	s_waitcnt lgkmcnt(0)
	s_and_saveexec_b64 s[10:11], s[6:7]
	s_cbranch_execz .LBB61_176
; %bb.167:
	s_andn2_b64 vcc, exec, s[8:9]
	s_cbranch_vccnz .LBB61_169
; %bb.168:
	buffer_load_dword v150, v127, s[0:3], 0 offen
	ds_read_b32 v151, v126
	s_waitcnt vmcnt(0) lgkmcnt(0)
	v_mul_f32_e32 v150, v150, v151
	s_cbranch_execz .LBB61_170
	s_branch .LBB61_171
.LBB61_169:
                                        ; implicit-def: $vgpr150
.LBB61_170:
	ds_read_b32 v150, v126
.LBB61_171:
	s_and_saveexec_b64 s[12:13], s[4:5]
	s_cbranch_execz .LBB61_175
; %bb.172:
	v_subrev_u32_e32 v151, 44, v0
	s_movk_i32 s14, 0x1b0
	s_mov_b64 s[4:5], 0
.LBB61_173:                             ; =>This Inner Loop Header: Depth=1
	buffer_load_dword v152, v149, s[0:3], 0 offen
	v_mov_b32_e32 v153, s14
	ds_read_b32 v153, v153
	v_add_u32_e32 v151, -1, v151
	s_add_i32 s14, s14, 4
	v_cmp_eq_u32_e32 vcc, 0, v151
	v_add_u32_e32 v149, 4, v149
	s_or_b64 s[4:5], vcc, s[4:5]
	s_waitcnt vmcnt(0) lgkmcnt(0)
	v_fmac_f32_e32 v150, v152, v153
	s_andn2_b64 exec, exec, s[4:5]
	s_cbranch_execnz .LBB61_173
; %bb.174:
	s_or_b64 exec, exec, s[4:5]
.LBB61_175:
	s_or_b64 exec, exec, s[12:13]
	v_mov_b32_e32 v149, 0
	ds_read_b32 v149, v149 offset:172
	s_waitcnt lgkmcnt(0)
	v_mul_f32_e32 v149, v150, v149
	buffer_store_dword v149, off, s[0:3], 0 offset:172
.LBB61_176:
	s_or_b64 exec, exec, s[10:11]
	buffer_load_dword v149, off, s[0:3], 0 offset:168
	v_cmp_lt_u32_e64 s[4:5], 42, v0
	s_waitcnt vmcnt(0)
	ds_write_b32 v126, v149
	s_waitcnt lgkmcnt(0)
	; wave barrier
	s_waitcnt lgkmcnt(0)
	s_and_saveexec_b64 s[10:11], s[4:5]
	s_cbranch_execz .LBB61_186
; %bb.177:
	s_andn2_b64 vcc, exec, s[8:9]
	s_cbranch_vccnz .LBB61_179
; %bb.178:
	buffer_load_dword v149, v127, s[0:3], 0 offen
	ds_read_b32 v150, v126
	s_waitcnt vmcnt(0) lgkmcnt(0)
	v_mul_f32_e32 v149, v149, v150
	s_cbranch_execz .LBB61_180
	s_branch .LBB61_181
.LBB61_179:
                                        ; implicit-def: $vgpr149
.LBB61_180:
	ds_read_b32 v149, v126
.LBB61_181:
	s_and_saveexec_b64 s[12:13], s[6:7]
	s_cbranch_execz .LBB61_185
; %bb.182:
	v_mov_b32_e32 v150, 0
	v_add_u32_e32 v150, 0xac, v150
	v_subrev_u32_e32 v151, 43, v0
	s_movk_i32 s14, 0x1ac
	s_mov_b64 s[6:7], 0
.LBB61_183:                             ; =>This Inner Loop Header: Depth=1
	buffer_load_dword v152, v150, s[0:3], 0 offen
	v_mov_b32_e32 v153, s14
	ds_read_b32 v153, v153
	v_add_u32_e32 v151, -1, v151
	s_add_i32 s14, s14, 4
	v_cmp_eq_u32_e32 vcc, 0, v151
	v_add_u32_e32 v150, 4, v150
	s_or_b64 s[6:7], vcc, s[6:7]
	s_waitcnt vmcnt(0) lgkmcnt(0)
	v_fmac_f32_e32 v149, v152, v153
	s_andn2_b64 exec, exec, s[6:7]
	s_cbranch_execnz .LBB61_183
; %bb.184:
	s_or_b64 exec, exec, s[6:7]
.LBB61_185:
	s_or_b64 exec, exec, s[12:13]
	v_mov_b32_e32 v150, 0
	ds_read_b32 v150, v150 offset:168
	s_waitcnt lgkmcnt(0)
	v_mul_f32_e32 v149, v149, v150
	buffer_store_dword v149, off, s[0:3], 0 offset:168
.LBB61_186:
	s_or_b64 exec, exec, s[10:11]
	buffer_load_dword v149, off, s[0:3], 0 offset:164
	v_cmp_lt_u32_e64 s[6:7], 41, v0
	s_waitcnt vmcnt(0)
	ds_write_b32 v126, v149
	s_waitcnt lgkmcnt(0)
	; wave barrier
	s_waitcnt lgkmcnt(0)
	s_and_saveexec_b64 s[10:11], s[6:7]
	s_cbranch_execz .LBB61_196
; %bb.187:
	s_andn2_b64 vcc, exec, s[8:9]
	s_cbranch_vccnz .LBB61_189
; %bb.188:
	buffer_load_dword v149, v127, s[0:3], 0 offen
	ds_read_b32 v150, v126
	s_waitcnt vmcnt(0) lgkmcnt(0)
	v_mul_f32_e32 v149, v149, v150
	s_cbranch_execz .LBB61_190
	s_branch .LBB61_191
.LBB61_189:
                                        ; implicit-def: $vgpr149
.LBB61_190:
	ds_read_b32 v149, v126
.LBB61_191:
	s_and_saveexec_b64 s[12:13], s[4:5]
	s_cbranch_execz .LBB61_195
; %bb.192:
	v_subrev_u32_e32 v150, 42, v0
	s_movk_i32 s14, 0x1a8
	s_mov_b64 s[4:5], 0
.LBB61_193:                             ; =>This Inner Loop Header: Depth=1
	buffer_load_dword v151, v148, s[0:3], 0 offen
	v_mov_b32_e32 v152, s14
	ds_read_b32 v152, v152
	v_add_u32_e32 v150, -1, v150
	s_add_i32 s14, s14, 4
	v_cmp_eq_u32_e32 vcc, 0, v150
	v_add_u32_e32 v148, 4, v148
	s_or_b64 s[4:5], vcc, s[4:5]
	s_waitcnt vmcnt(0) lgkmcnt(0)
	v_fmac_f32_e32 v149, v151, v152
	s_andn2_b64 exec, exec, s[4:5]
	s_cbranch_execnz .LBB61_193
; %bb.194:
	s_or_b64 exec, exec, s[4:5]
.LBB61_195:
	s_or_b64 exec, exec, s[12:13]
	v_mov_b32_e32 v148, 0
	ds_read_b32 v148, v148 offset:164
	s_waitcnt lgkmcnt(0)
	v_mul_f32_e32 v148, v149, v148
	buffer_store_dword v148, off, s[0:3], 0 offset:164
.LBB61_196:
	s_or_b64 exec, exec, s[10:11]
	buffer_load_dword v148, off, s[0:3], 0 offset:160
	v_cmp_lt_u32_e64 s[4:5], 40, v0
	s_waitcnt vmcnt(0)
	ds_write_b32 v126, v148
	s_waitcnt lgkmcnt(0)
	; wave barrier
	s_waitcnt lgkmcnt(0)
	s_and_saveexec_b64 s[10:11], s[4:5]
	s_cbranch_execz .LBB61_206
; %bb.197:
	s_andn2_b64 vcc, exec, s[8:9]
	s_cbranch_vccnz .LBB61_199
; %bb.198:
	buffer_load_dword v148, v127, s[0:3], 0 offen
	ds_read_b32 v149, v126
	s_waitcnt vmcnt(0) lgkmcnt(0)
	v_mul_f32_e32 v148, v148, v149
	s_cbranch_execz .LBB61_200
	s_branch .LBB61_201
.LBB61_199:
                                        ; implicit-def: $vgpr148
.LBB61_200:
	ds_read_b32 v148, v126
.LBB61_201:
	s_and_saveexec_b64 s[12:13], s[6:7]
	s_cbranch_execz .LBB61_205
; %bb.202:
	v_mov_b32_e32 v149, 0
	v_add_u32_e32 v149, 0xa4, v149
	v_subrev_u32_e32 v150, 41, v0
	s_movk_i32 s14, 0x1a4
	s_mov_b64 s[6:7], 0
.LBB61_203:                             ; =>This Inner Loop Header: Depth=1
	buffer_load_dword v151, v149, s[0:3], 0 offen
	v_mov_b32_e32 v152, s14
	ds_read_b32 v152, v152
	v_add_u32_e32 v150, -1, v150
	s_add_i32 s14, s14, 4
	v_cmp_eq_u32_e32 vcc, 0, v150
	v_add_u32_e32 v149, 4, v149
	s_or_b64 s[6:7], vcc, s[6:7]
	s_waitcnt vmcnt(0) lgkmcnt(0)
	v_fmac_f32_e32 v148, v151, v152
	s_andn2_b64 exec, exec, s[6:7]
	s_cbranch_execnz .LBB61_203
; %bb.204:
	s_or_b64 exec, exec, s[6:7]
.LBB61_205:
	s_or_b64 exec, exec, s[12:13]
	v_mov_b32_e32 v149, 0
	ds_read_b32 v149, v149 offset:160
	s_waitcnt lgkmcnt(0)
	v_mul_f32_e32 v148, v148, v149
	buffer_store_dword v148, off, s[0:3], 0 offset:160
.LBB61_206:
	s_or_b64 exec, exec, s[10:11]
	buffer_load_dword v148, off, s[0:3], 0 offset:156
	v_cmp_lt_u32_e64 s[6:7], 39, v0
	s_waitcnt vmcnt(0)
	ds_write_b32 v126, v148
	s_waitcnt lgkmcnt(0)
	; wave barrier
	s_waitcnt lgkmcnt(0)
	s_and_saveexec_b64 s[10:11], s[6:7]
	s_cbranch_execz .LBB61_216
; %bb.207:
	s_andn2_b64 vcc, exec, s[8:9]
	s_cbranch_vccnz .LBB61_209
; %bb.208:
	buffer_load_dword v148, v127, s[0:3], 0 offen
	ds_read_b32 v149, v126
	s_waitcnt vmcnt(0) lgkmcnt(0)
	v_mul_f32_e32 v148, v148, v149
	s_cbranch_execz .LBB61_210
	s_branch .LBB61_211
.LBB61_209:
                                        ; implicit-def: $vgpr148
.LBB61_210:
	ds_read_b32 v148, v126
.LBB61_211:
	s_and_saveexec_b64 s[12:13], s[4:5]
	s_cbranch_execz .LBB61_215
; %bb.212:
	v_subrev_u32_e32 v149, 40, v0
	s_movk_i32 s14, 0x1a0
	s_mov_b64 s[4:5], 0
.LBB61_213:                             ; =>This Inner Loop Header: Depth=1
	buffer_load_dword v150, v147, s[0:3], 0 offen
	v_mov_b32_e32 v151, s14
	ds_read_b32 v151, v151
	v_add_u32_e32 v149, -1, v149
	s_add_i32 s14, s14, 4
	v_cmp_eq_u32_e32 vcc, 0, v149
	v_add_u32_e32 v147, 4, v147
	s_or_b64 s[4:5], vcc, s[4:5]
	s_waitcnt vmcnt(0) lgkmcnt(0)
	v_fmac_f32_e32 v148, v150, v151
	s_andn2_b64 exec, exec, s[4:5]
	s_cbranch_execnz .LBB61_213
; %bb.214:
	s_or_b64 exec, exec, s[4:5]
.LBB61_215:
	s_or_b64 exec, exec, s[12:13]
	v_mov_b32_e32 v147, 0
	ds_read_b32 v147, v147 offset:156
	s_waitcnt lgkmcnt(0)
	v_mul_f32_e32 v147, v148, v147
	buffer_store_dword v147, off, s[0:3], 0 offset:156
.LBB61_216:
	s_or_b64 exec, exec, s[10:11]
	buffer_load_dword v147, off, s[0:3], 0 offset:152
	v_cmp_lt_u32_e64 s[4:5], 38, v0
	s_waitcnt vmcnt(0)
	ds_write_b32 v126, v147
	s_waitcnt lgkmcnt(0)
	; wave barrier
	s_waitcnt lgkmcnt(0)
	s_and_saveexec_b64 s[10:11], s[4:5]
	s_cbranch_execz .LBB61_226
; %bb.217:
	s_andn2_b64 vcc, exec, s[8:9]
	s_cbranch_vccnz .LBB61_219
; %bb.218:
	buffer_load_dword v147, v127, s[0:3], 0 offen
	ds_read_b32 v148, v126
	s_waitcnt vmcnt(0) lgkmcnt(0)
	v_mul_f32_e32 v147, v147, v148
	s_cbranch_execz .LBB61_220
	s_branch .LBB61_221
.LBB61_219:
                                        ; implicit-def: $vgpr147
.LBB61_220:
	ds_read_b32 v147, v126
.LBB61_221:
	s_and_saveexec_b64 s[12:13], s[6:7]
	s_cbranch_execz .LBB61_225
; %bb.222:
	v_mov_b32_e32 v148, 0
	v_add_u32_e32 v148, 0x9c, v148
	v_subrev_u32_e32 v149, 39, v0
	s_movk_i32 s14, 0x19c
	s_mov_b64 s[6:7], 0
.LBB61_223:                             ; =>This Inner Loop Header: Depth=1
	buffer_load_dword v150, v148, s[0:3], 0 offen
	v_mov_b32_e32 v151, s14
	ds_read_b32 v151, v151
	v_add_u32_e32 v149, -1, v149
	s_add_i32 s14, s14, 4
	v_cmp_eq_u32_e32 vcc, 0, v149
	v_add_u32_e32 v148, 4, v148
	s_or_b64 s[6:7], vcc, s[6:7]
	s_waitcnt vmcnt(0) lgkmcnt(0)
	v_fmac_f32_e32 v147, v150, v151
	s_andn2_b64 exec, exec, s[6:7]
	s_cbranch_execnz .LBB61_223
; %bb.224:
	s_or_b64 exec, exec, s[6:7]
.LBB61_225:
	s_or_b64 exec, exec, s[12:13]
	v_mov_b32_e32 v148, 0
	ds_read_b32 v148, v148 offset:152
	s_waitcnt lgkmcnt(0)
	v_mul_f32_e32 v147, v147, v148
	buffer_store_dword v147, off, s[0:3], 0 offset:152
.LBB61_226:
	s_or_b64 exec, exec, s[10:11]
	buffer_load_dword v147, off, s[0:3], 0 offset:148
	v_cmp_lt_u32_e64 s[6:7], 37, v0
	s_waitcnt vmcnt(0)
	ds_write_b32 v126, v147
	s_waitcnt lgkmcnt(0)
	; wave barrier
	s_waitcnt lgkmcnt(0)
	s_and_saveexec_b64 s[10:11], s[6:7]
	s_cbranch_execz .LBB61_236
; %bb.227:
	s_andn2_b64 vcc, exec, s[8:9]
	s_cbranch_vccnz .LBB61_229
; %bb.228:
	buffer_load_dword v147, v127, s[0:3], 0 offen
	ds_read_b32 v148, v126
	s_waitcnt vmcnt(0) lgkmcnt(0)
	v_mul_f32_e32 v147, v147, v148
	s_cbranch_execz .LBB61_230
	s_branch .LBB61_231
.LBB61_229:
                                        ; implicit-def: $vgpr147
.LBB61_230:
	ds_read_b32 v147, v126
.LBB61_231:
	s_and_saveexec_b64 s[12:13], s[4:5]
	s_cbranch_execz .LBB61_235
; %bb.232:
	v_subrev_u32_e32 v148, 38, v0
	s_movk_i32 s14, 0x198
	s_mov_b64 s[4:5], 0
.LBB61_233:                             ; =>This Inner Loop Header: Depth=1
	buffer_load_dword v149, v146, s[0:3], 0 offen
	v_mov_b32_e32 v150, s14
	ds_read_b32 v150, v150
	v_add_u32_e32 v148, -1, v148
	s_add_i32 s14, s14, 4
	v_cmp_eq_u32_e32 vcc, 0, v148
	v_add_u32_e32 v146, 4, v146
	s_or_b64 s[4:5], vcc, s[4:5]
	s_waitcnt vmcnt(0) lgkmcnt(0)
	v_fmac_f32_e32 v147, v149, v150
	s_andn2_b64 exec, exec, s[4:5]
	s_cbranch_execnz .LBB61_233
; %bb.234:
	s_or_b64 exec, exec, s[4:5]
.LBB61_235:
	s_or_b64 exec, exec, s[12:13]
	v_mov_b32_e32 v146, 0
	ds_read_b32 v146, v146 offset:148
	s_waitcnt lgkmcnt(0)
	v_mul_f32_e32 v146, v147, v146
	buffer_store_dword v146, off, s[0:3], 0 offset:148
.LBB61_236:
	s_or_b64 exec, exec, s[10:11]
	buffer_load_dword v146, off, s[0:3], 0 offset:144
	v_cmp_lt_u32_e64 s[4:5], 36, v0
	s_waitcnt vmcnt(0)
	ds_write_b32 v126, v146
	s_waitcnt lgkmcnt(0)
	; wave barrier
	s_waitcnt lgkmcnt(0)
	s_and_saveexec_b64 s[10:11], s[4:5]
	s_cbranch_execz .LBB61_246
; %bb.237:
	s_andn2_b64 vcc, exec, s[8:9]
	s_cbranch_vccnz .LBB61_239
; %bb.238:
	buffer_load_dword v146, v127, s[0:3], 0 offen
	ds_read_b32 v147, v126
	s_waitcnt vmcnt(0) lgkmcnt(0)
	v_mul_f32_e32 v146, v146, v147
	s_cbranch_execz .LBB61_240
	s_branch .LBB61_241
.LBB61_239:
                                        ; implicit-def: $vgpr146
.LBB61_240:
	ds_read_b32 v146, v126
.LBB61_241:
	s_and_saveexec_b64 s[12:13], s[6:7]
	s_cbranch_execz .LBB61_245
; %bb.242:
	v_mov_b32_e32 v147, 0
	v_add_u32_e32 v147, 0x94, v147
	v_subrev_u32_e32 v148, 37, v0
	s_movk_i32 s14, 0x194
	s_mov_b64 s[6:7], 0
.LBB61_243:                             ; =>This Inner Loop Header: Depth=1
	buffer_load_dword v149, v147, s[0:3], 0 offen
	v_mov_b32_e32 v150, s14
	ds_read_b32 v150, v150
	v_add_u32_e32 v148, -1, v148
	s_add_i32 s14, s14, 4
	v_cmp_eq_u32_e32 vcc, 0, v148
	v_add_u32_e32 v147, 4, v147
	s_or_b64 s[6:7], vcc, s[6:7]
	s_waitcnt vmcnt(0) lgkmcnt(0)
	v_fmac_f32_e32 v146, v149, v150
	s_andn2_b64 exec, exec, s[6:7]
	s_cbranch_execnz .LBB61_243
; %bb.244:
	s_or_b64 exec, exec, s[6:7]
.LBB61_245:
	s_or_b64 exec, exec, s[12:13]
	v_mov_b32_e32 v147, 0
	ds_read_b32 v147, v147 offset:144
	s_waitcnt lgkmcnt(0)
	v_mul_f32_e32 v146, v146, v147
	buffer_store_dword v146, off, s[0:3], 0 offset:144
.LBB61_246:
	s_or_b64 exec, exec, s[10:11]
	buffer_load_dword v146, off, s[0:3], 0 offset:140
	v_cmp_lt_u32_e64 s[6:7], 35, v0
	s_waitcnt vmcnt(0)
	ds_write_b32 v126, v146
	s_waitcnt lgkmcnt(0)
	; wave barrier
	s_waitcnt lgkmcnt(0)
	s_and_saveexec_b64 s[10:11], s[6:7]
	s_cbranch_execz .LBB61_256
; %bb.247:
	s_andn2_b64 vcc, exec, s[8:9]
	s_cbranch_vccnz .LBB61_249
; %bb.248:
	buffer_load_dword v146, v127, s[0:3], 0 offen
	ds_read_b32 v147, v126
	s_waitcnt vmcnt(0) lgkmcnt(0)
	v_mul_f32_e32 v146, v146, v147
	s_cbranch_execz .LBB61_250
	s_branch .LBB61_251
.LBB61_249:
                                        ; implicit-def: $vgpr146
.LBB61_250:
	ds_read_b32 v146, v126
.LBB61_251:
	s_and_saveexec_b64 s[12:13], s[4:5]
	s_cbranch_execz .LBB61_255
; %bb.252:
	v_subrev_u32_e32 v147, 36, v0
	s_movk_i32 s14, 0x190
	s_mov_b64 s[4:5], 0
.LBB61_253:                             ; =>This Inner Loop Header: Depth=1
	buffer_load_dword v148, v145, s[0:3], 0 offen
	v_mov_b32_e32 v149, s14
	ds_read_b32 v149, v149
	v_add_u32_e32 v147, -1, v147
	s_add_i32 s14, s14, 4
	v_cmp_eq_u32_e32 vcc, 0, v147
	v_add_u32_e32 v145, 4, v145
	s_or_b64 s[4:5], vcc, s[4:5]
	s_waitcnt vmcnt(0) lgkmcnt(0)
	v_fmac_f32_e32 v146, v148, v149
	s_andn2_b64 exec, exec, s[4:5]
	s_cbranch_execnz .LBB61_253
; %bb.254:
	s_or_b64 exec, exec, s[4:5]
.LBB61_255:
	s_or_b64 exec, exec, s[12:13]
	v_mov_b32_e32 v145, 0
	ds_read_b32 v145, v145 offset:140
	s_waitcnt lgkmcnt(0)
	v_mul_f32_e32 v145, v146, v145
	buffer_store_dword v145, off, s[0:3], 0 offset:140
.LBB61_256:
	s_or_b64 exec, exec, s[10:11]
	buffer_load_dword v145, off, s[0:3], 0 offset:136
	v_cmp_lt_u32_e64 s[4:5], 34, v0
	s_waitcnt vmcnt(0)
	ds_write_b32 v126, v145
	s_waitcnt lgkmcnt(0)
	; wave barrier
	s_waitcnt lgkmcnt(0)
	s_and_saveexec_b64 s[10:11], s[4:5]
	s_cbranch_execz .LBB61_266
; %bb.257:
	s_andn2_b64 vcc, exec, s[8:9]
	s_cbranch_vccnz .LBB61_259
; %bb.258:
	buffer_load_dword v145, v127, s[0:3], 0 offen
	ds_read_b32 v146, v126
	s_waitcnt vmcnt(0) lgkmcnt(0)
	v_mul_f32_e32 v145, v145, v146
	s_cbranch_execz .LBB61_260
	s_branch .LBB61_261
.LBB61_259:
                                        ; implicit-def: $vgpr145
.LBB61_260:
	ds_read_b32 v145, v126
.LBB61_261:
	s_and_saveexec_b64 s[12:13], s[6:7]
	s_cbranch_execz .LBB61_265
; %bb.262:
	v_mov_b32_e32 v146, 0
	v_add_u32_e32 v146, 0x8c, v146
	v_subrev_u32_e32 v147, 35, v0
	s_movk_i32 s14, 0x18c
	s_mov_b64 s[6:7], 0
.LBB61_263:                             ; =>This Inner Loop Header: Depth=1
	buffer_load_dword v148, v146, s[0:3], 0 offen
	v_mov_b32_e32 v149, s14
	ds_read_b32 v149, v149
	v_add_u32_e32 v147, -1, v147
	s_add_i32 s14, s14, 4
	v_cmp_eq_u32_e32 vcc, 0, v147
	v_add_u32_e32 v146, 4, v146
	s_or_b64 s[6:7], vcc, s[6:7]
	s_waitcnt vmcnt(0) lgkmcnt(0)
	v_fmac_f32_e32 v145, v148, v149
	s_andn2_b64 exec, exec, s[6:7]
	s_cbranch_execnz .LBB61_263
; %bb.264:
	s_or_b64 exec, exec, s[6:7]
.LBB61_265:
	s_or_b64 exec, exec, s[12:13]
	v_mov_b32_e32 v146, 0
	ds_read_b32 v146, v146 offset:136
	s_waitcnt lgkmcnt(0)
	v_mul_f32_e32 v145, v145, v146
	buffer_store_dword v145, off, s[0:3], 0 offset:136
.LBB61_266:
	s_or_b64 exec, exec, s[10:11]
	buffer_load_dword v145, off, s[0:3], 0 offset:132
	v_cmp_lt_u32_e64 s[6:7], 33, v0
	s_waitcnt vmcnt(0)
	ds_write_b32 v126, v145
	s_waitcnt lgkmcnt(0)
	; wave barrier
	s_waitcnt lgkmcnt(0)
	s_and_saveexec_b64 s[10:11], s[6:7]
	s_cbranch_execz .LBB61_276
; %bb.267:
	s_andn2_b64 vcc, exec, s[8:9]
	s_cbranch_vccnz .LBB61_269
; %bb.268:
	buffer_load_dword v145, v127, s[0:3], 0 offen
	ds_read_b32 v146, v126
	s_waitcnt vmcnt(0) lgkmcnt(0)
	v_mul_f32_e32 v145, v145, v146
	s_cbranch_execz .LBB61_270
	s_branch .LBB61_271
.LBB61_269:
                                        ; implicit-def: $vgpr145
.LBB61_270:
	ds_read_b32 v145, v126
.LBB61_271:
	s_and_saveexec_b64 s[12:13], s[4:5]
	s_cbranch_execz .LBB61_275
; %bb.272:
	v_subrev_u32_e32 v146, 34, v0
	s_movk_i32 s14, 0x188
	s_mov_b64 s[4:5], 0
.LBB61_273:                             ; =>This Inner Loop Header: Depth=1
	buffer_load_dword v147, v144, s[0:3], 0 offen
	v_mov_b32_e32 v148, s14
	ds_read_b32 v148, v148
	v_add_u32_e32 v146, -1, v146
	s_add_i32 s14, s14, 4
	v_cmp_eq_u32_e32 vcc, 0, v146
	v_add_u32_e32 v144, 4, v144
	s_or_b64 s[4:5], vcc, s[4:5]
	s_waitcnt vmcnt(0) lgkmcnt(0)
	v_fmac_f32_e32 v145, v147, v148
	s_andn2_b64 exec, exec, s[4:5]
	s_cbranch_execnz .LBB61_273
; %bb.274:
	s_or_b64 exec, exec, s[4:5]
.LBB61_275:
	s_or_b64 exec, exec, s[12:13]
	v_mov_b32_e32 v144, 0
	ds_read_b32 v144, v144 offset:132
	s_waitcnt lgkmcnt(0)
	v_mul_f32_e32 v144, v145, v144
	buffer_store_dword v144, off, s[0:3], 0 offset:132
.LBB61_276:
	s_or_b64 exec, exec, s[10:11]
	buffer_load_dword v144, off, s[0:3], 0 offset:128
	v_cmp_lt_u32_e64 s[4:5], 32, v0
	s_waitcnt vmcnt(0)
	ds_write_b32 v126, v144
	s_waitcnt lgkmcnt(0)
	; wave barrier
	s_waitcnt lgkmcnt(0)
	s_and_saveexec_b64 s[10:11], s[4:5]
	s_cbranch_execz .LBB61_286
; %bb.277:
	s_andn2_b64 vcc, exec, s[8:9]
	s_cbranch_vccnz .LBB61_279
; %bb.278:
	buffer_load_dword v144, v127, s[0:3], 0 offen
	ds_read_b32 v145, v126
	s_waitcnt vmcnt(0) lgkmcnt(0)
	v_mul_f32_e32 v144, v144, v145
	s_cbranch_execz .LBB61_280
	s_branch .LBB61_281
.LBB61_279:
                                        ; implicit-def: $vgpr144
.LBB61_280:
	ds_read_b32 v144, v126
.LBB61_281:
	s_and_saveexec_b64 s[12:13], s[6:7]
	s_cbranch_execz .LBB61_285
; %bb.282:
	v_mov_b32_e32 v145, 0
	v_add_u32_e32 v145, 0x84, v145
	v_subrev_u32_e32 v146, 33, v0
	s_movk_i32 s14, 0x184
	s_mov_b64 s[6:7], 0
.LBB61_283:                             ; =>This Inner Loop Header: Depth=1
	buffer_load_dword v147, v145, s[0:3], 0 offen
	v_mov_b32_e32 v148, s14
	ds_read_b32 v148, v148
	v_add_u32_e32 v146, -1, v146
	s_add_i32 s14, s14, 4
	v_cmp_eq_u32_e32 vcc, 0, v146
	v_add_u32_e32 v145, 4, v145
	s_or_b64 s[6:7], vcc, s[6:7]
	s_waitcnt vmcnt(0) lgkmcnt(0)
	v_fmac_f32_e32 v144, v147, v148
	s_andn2_b64 exec, exec, s[6:7]
	s_cbranch_execnz .LBB61_283
; %bb.284:
	s_or_b64 exec, exec, s[6:7]
.LBB61_285:
	s_or_b64 exec, exec, s[12:13]
	v_mov_b32_e32 v145, 0
	ds_read_b32 v145, v145 offset:128
	s_waitcnt lgkmcnt(0)
	v_mul_f32_e32 v144, v144, v145
	buffer_store_dword v144, off, s[0:3], 0 offset:128
.LBB61_286:
	s_or_b64 exec, exec, s[10:11]
	buffer_load_dword v144, off, s[0:3], 0 offset:124
	v_cmp_lt_u32_e64 s[6:7], 31, v0
	s_waitcnt vmcnt(0)
	ds_write_b32 v126, v144
	s_waitcnt lgkmcnt(0)
	; wave barrier
	s_waitcnt lgkmcnt(0)
	s_and_saveexec_b64 s[10:11], s[6:7]
	s_cbranch_execz .LBB61_296
; %bb.287:
	s_andn2_b64 vcc, exec, s[8:9]
	s_cbranch_vccnz .LBB61_289
; %bb.288:
	buffer_load_dword v144, v127, s[0:3], 0 offen
	ds_read_b32 v145, v126
	s_waitcnt vmcnt(0) lgkmcnt(0)
	v_mul_f32_e32 v144, v144, v145
	s_cbranch_execz .LBB61_290
	s_branch .LBB61_291
.LBB61_289:
                                        ; implicit-def: $vgpr144
.LBB61_290:
	ds_read_b32 v144, v126
.LBB61_291:
	s_and_saveexec_b64 s[12:13], s[4:5]
	s_cbranch_execz .LBB61_295
; %bb.292:
	v_subrev_u32_e32 v145, 32, v0
	s_movk_i32 s14, 0x180
	s_mov_b64 s[4:5], 0
.LBB61_293:                             ; =>This Inner Loop Header: Depth=1
	buffer_load_dword v146, v143, s[0:3], 0 offen
	v_mov_b32_e32 v147, s14
	ds_read_b32 v147, v147
	v_add_u32_e32 v145, -1, v145
	s_add_i32 s14, s14, 4
	v_cmp_eq_u32_e32 vcc, 0, v145
	v_add_u32_e32 v143, 4, v143
	s_or_b64 s[4:5], vcc, s[4:5]
	s_waitcnt vmcnt(0) lgkmcnt(0)
	v_fmac_f32_e32 v144, v146, v147
	s_andn2_b64 exec, exec, s[4:5]
	s_cbranch_execnz .LBB61_293
; %bb.294:
	s_or_b64 exec, exec, s[4:5]
.LBB61_295:
	s_or_b64 exec, exec, s[12:13]
	v_mov_b32_e32 v143, 0
	ds_read_b32 v143, v143 offset:124
	s_waitcnt lgkmcnt(0)
	v_mul_f32_e32 v143, v144, v143
	buffer_store_dword v143, off, s[0:3], 0 offset:124
.LBB61_296:
	s_or_b64 exec, exec, s[10:11]
	buffer_load_dword v143, off, s[0:3], 0 offset:120
	v_cmp_lt_u32_e64 s[4:5], 30, v0
	s_waitcnt vmcnt(0)
	ds_write_b32 v126, v143
	s_waitcnt lgkmcnt(0)
	; wave barrier
	s_waitcnt lgkmcnt(0)
	s_and_saveexec_b64 s[10:11], s[4:5]
	s_cbranch_execz .LBB61_306
; %bb.297:
	s_andn2_b64 vcc, exec, s[8:9]
	s_cbranch_vccnz .LBB61_299
; %bb.298:
	buffer_load_dword v143, v127, s[0:3], 0 offen
	ds_read_b32 v144, v126
	s_waitcnt vmcnt(0) lgkmcnt(0)
	v_mul_f32_e32 v143, v143, v144
	s_cbranch_execz .LBB61_300
	s_branch .LBB61_301
.LBB61_299:
                                        ; implicit-def: $vgpr143
.LBB61_300:
	ds_read_b32 v143, v126
.LBB61_301:
	s_and_saveexec_b64 s[12:13], s[6:7]
	s_cbranch_execz .LBB61_305
; %bb.302:
	v_mov_b32_e32 v144, 0
	v_add_u32_e32 v144, 0x7c, v144
	v_subrev_u32_e32 v145, 31, v0
	s_movk_i32 s14, 0x17c
	s_mov_b64 s[6:7], 0
.LBB61_303:                             ; =>This Inner Loop Header: Depth=1
	buffer_load_dword v146, v144, s[0:3], 0 offen
	v_mov_b32_e32 v147, s14
	ds_read_b32 v147, v147
	v_add_u32_e32 v145, -1, v145
	s_add_i32 s14, s14, 4
	v_cmp_eq_u32_e32 vcc, 0, v145
	v_add_u32_e32 v144, 4, v144
	s_or_b64 s[6:7], vcc, s[6:7]
	s_waitcnt vmcnt(0) lgkmcnt(0)
	v_fmac_f32_e32 v143, v146, v147
	s_andn2_b64 exec, exec, s[6:7]
	s_cbranch_execnz .LBB61_303
; %bb.304:
	s_or_b64 exec, exec, s[6:7]
.LBB61_305:
	s_or_b64 exec, exec, s[12:13]
	v_mov_b32_e32 v144, 0
	ds_read_b32 v144, v144 offset:120
	s_waitcnt lgkmcnt(0)
	v_mul_f32_e32 v143, v143, v144
	buffer_store_dword v143, off, s[0:3], 0 offset:120
.LBB61_306:
	s_or_b64 exec, exec, s[10:11]
	buffer_load_dword v143, off, s[0:3], 0 offset:116
	v_cmp_lt_u32_e64 s[6:7], 29, v0
	s_waitcnt vmcnt(0)
	ds_write_b32 v126, v143
	s_waitcnt lgkmcnt(0)
	; wave barrier
	s_waitcnt lgkmcnt(0)
	s_and_saveexec_b64 s[10:11], s[6:7]
	s_cbranch_execz .LBB61_316
; %bb.307:
	s_andn2_b64 vcc, exec, s[8:9]
	s_cbranch_vccnz .LBB61_309
; %bb.308:
	buffer_load_dword v143, v127, s[0:3], 0 offen
	ds_read_b32 v144, v126
	s_waitcnt vmcnt(0) lgkmcnt(0)
	v_mul_f32_e32 v143, v143, v144
	s_cbranch_execz .LBB61_310
	s_branch .LBB61_311
.LBB61_309:
                                        ; implicit-def: $vgpr143
.LBB61_310:
	ds_read_b32 v143, v126
.LBB61_311:
	s_and_saveexec_b64 s[12:13], s[4:5]
	s_cbranch_execz .LBB61_315
; %bb.312:
	v_subrev_u32_e32 v144, 30, v0
	s_movk_i32 s14, 0x178
	s_mov_b64 s[4:5], 0
.LBB61_313:                             ; =>This Inner Loop Header: Depth=1
	buffer_load_dword v145, v142, s[0:3], 0 offen
	v_mov_b32_e32 v146, s14
	ds_read_b32 v146, v146
	v_add_u32_e32 v144, -1, v144
	s_add_i32 s14, s14, 4
	v_cmp_eq_u32_e32 vcc, 0, v144
	v_add_u32_e32 v142, 4, v142
	s_or_b64 s[4:5], vcc, s[4:5]
	s_waitcnt vmcnt(0) lgkmcnt(0)
	v_fmac_f32_e32 v143, v145, v146
	s_andn2_b64 exec, exec, s[4:5]
	s_cbranch_execnz .LBB61_313
; %bb.314:
	s_or_b64 exec, exec, s[4:5]
.LBB61_315:
	s_or_b64 exec, exec, s[12:13]
	v_mov_b32_e32 v142, 0
	ds_read_b32 v142, v142 offset:116
	s_waitcnt lgkmcnt(0)
	v_mul_f32_e32 v142, v143, v142
	buffer_store_dword v142, off, s[0:3], 0 offset:116
.LBB61_316:
	s_or_b64 exec, exec, s[10:11]
	buffer_load_dword v142, off, s[0:3], 0 offset:112
	v_cmp_lt_u32_e64 s[4:5], 28, v0
	s_waitcnt vmcnt(0)
	ds_write_b32 v126, v142
	s_waitcnt lgkmcnt(0)
	; wave barrier
	s_waitcnt lgkmcnt(0)
	s_and_saveexec_b64 s[10:11], s[4:5]
	s_cbranch_execz .LBB61_326
; %bb.317:
	s_andn2_b64 vcc, exec, s[8:9]
	s_cbranch_vccnz .LBB61_319
; %bb.318:
	buffer_load_dword v142, v127, s[0:3], 0 offen
	ds_read_b32 v143, v126
	s_waitcnt vmcnt(0) lgkmcnt(0)
	v_mul_f32_e32 v142, v142, v143
	s_cbranch_execz .LBB61_320
	s_branch .LBB61_321
.LBB61_319:
                                        ; implicit-def: $vgpr142
.LBB61_320:
	ds_read_b32 v142, v126
.LBB61_321:
	s_and_saveexec_b64 s[12:13], s[6:7]
	s_cbranch_execz .LBB61_325
; %bb.322:
	v_mov_b32_e32 v143, 0
	v_add_u32_e32 v143, 0x74, v143
	v_subrev_u32_e32 v144, 29, v0
	s_movk_i32 s14, 0x174
	s_mov_b64 s[6:7], 0
.LBB61_323:                             ; =>This Inner Loop Header: Depth=1
	buffer_load_dword v145, v143, s[0:3], 0 offen
	v_mov_b32_e32 v146, s14
	ds_read_b32 v146, v146
	v_add_u32_e32 v144, -1, v144
	s_add_i32 s14, s14, 4
	v_cmp_eq_u32_e32 vcc, 0, v144
	v_add_u32_e32 v143, 4, v143
	s_or_b64 s[6:7], vcc, s[6:7]
	s_waitcnt vmcnt(0) lgkmcnt(0)
	v_fmac_f32_e32 v142, v145, v146
	s_andn2_b64 exec, exec, s[6:7]
	s_cbranch_execnz .LBB61_323
; %bb.324:
	s_or_b64 exec, exec, s[6:7]
.LBB61_325:
	s_or_b64 exec, exec, s[12:13]
	v_mov_b32_e32 v143, 0
	ds_read_b32 v143, v143 offset:112
	s_waitcnt lgkmcnt(0)
	v_mul_f32_e32 v142, v142, v143
	buffer_store_dword v142, off, s[0:3], 0 offset:112
.LBB61_326:
	s_or_b64 exec, exec, s[10:11]
	buffer_load_dword v142, off, s[0:3], 0 offset:108
	v_cmp_lt_u32_e64 s[6:7], 27, v0
	s_waitcnt vmcnt(0)
	ds_write_b32 v126, v142
	s_waitcnt lgkmcnt(0)
	; wave barrier
	s_waitcnt lgkmcnt(0)
	s_and_saveexec_b64 s[10:11], s[6:7]
	s_cbranch_execz .LBB61_336
; %bb.327:
	s_andn2_b64 vcc, exec, s[8:9]
	s_cbranch_vccnz .LBB61_329
; %bb.328:
	buffer_load_dword v142, v127, s[0:3], 0 offen
	ds_read_b32 v143, v126
	s_waitcnt vmcnt(0) lgkmcnt(0)
	v_mul_f32_e32 v142, v142, v143
	s_cbranch_execz .LBB61_330
	s_branch .LBB61_331
.LBB61_329:
                                        ; implicit-def: $vgpr142
.LBB61_330:
	ds_read_b32 v142, v126
.LBB61_331:
	s_and_saveexec_b64 s[12:13], s[4:5]
	s_cbranch_execz .LBB61_335
; %bb.332:
	v_subrev_u32_e32 v143, 28, v0
	s_movk_i32 s14, 0x170
	s_mov_b64 s[4:5], 0
.LBB61_333:                             ; =>This Inner Loop Header: Depth=1
	buffer_load_dword v144, v141, s[0:3], 0 offen
	v_mov_b32_e32 v145, s14
	ds_read_b32 v145, v145
	v_add_u32_e32 v143, -1, v143
	s_add_i32 s14, s14, 4
	v_cmp_eq_u32_e32 vcc, 0, v143
	v_add_u32_e32 v141, 4, v141
	s_or_b64 s[4:5], vcc, s[4:5]
	s_waitcnt vmcnt(0) lgkmcnt(0)
	v_fmac_f32_e32 v142, v144, v145
	s_andn2_b64 exec, exec, s[4:5]
	s_cbranch_execnz .LBB61_333
; %bb.334:
	s_or_b64 exec, exec, s[4:5]
.LBB61_335:
	s_or_b64 exec, exec, s[12:13]
	v_mov_b32_e32 v141, 0
	ds_read_b32 v141, v141 offset:108
	s_waitcnt lgkmcnt(0)
	v_mul_f32_e32 v141, v142, v141
	buffer_store_dword v141, off, s[0:3], 0 offset:108
.LBB61_336:
	s_or_b64 exec, exec, s[10:11]
	buffer_load_dword v141, off, s[0:3], 0 offset:104
	v_cmp_lt_u32_e64 s[4:5], 26, v0
	s_waitcnt vmcnt(0)
	ds_write_b32 v126, v141
	s_waitcnt lgkmcnt(0)
	; wave barrier
	s_waitcnt lgkmcnt(0)
	s_and_saveexec_b64 s[10:11], s[4:5]
	s_cbranch_execz .LBB61_346
; %bb.337:
	s_andn2_b64 vcc, exec, s[8:9]
	s_cbranch_vccnz .LBB61_339
; %bb.338:
	buffer_load_dword v141, v127, s[0:3], 0 offen
	ds_read_b32 v142, v126
	s_waitcnt vmcnt(0) lgkmcnt(0)
	v_mul_f32_e32 v141, v141, v142
	s_cbranch_execz .LBB61_340
	s_branch .LBB61_341
.LBB61_339:
                                        ; implicit-def: $vgpr141
.LBB61_340:
	ds_read_b32 v141, v126
.LBB61_341:
	s_and_saveexec_b64 s[12:13], s[6:7]
	s_cbranch_execz .LBB61_345
; %bb.342:
	v_mov_b32_e32 v142, 0
	v_add_u32_e32 v142, 0x6c, v142
	v_subrev_u32_e32 v143, 27, v0
	s_movk_i32 s14, 0x16c
	s_mov_b64 s[6:7], 0
.LBB61_343:                             ; =>This Inner Loop Header: Depth=1
	buffer_load_dword v144, v142, s[0:3], 0 offen
	v_mov_b32_e32 v145, s14
	ds_read_b32 v145, v145
	v_add_u32_e32 v143, -1, v143
	s_add_i32 s14, s14, 4
	v_cmp_eq_u32_e32 vcc, 0, v143
	v_add_u32_e32 v142, 4, v142
	s_or_b64 s[6:7], vcc, s[6:7]
	s_waitcnt vmcnt(0) lgkmcnt(0)
	v_fmac_f32_e32 v141, v144, v145
	s_andn2_b64 exec, exec, s[6:7]
	s_cbranch_execnz .LBB61_343
; %bb.344:
	s_or_b64 exec, exec, s[6:7]
.LBB61_345:
	s_or_b64 exec, exec, s[12:13]
	v_mov_b32_e32 v142, 0
	ds_read_b32 v142, v142 offset:104
	s_waitcnt lgkmcnt(0)
	v_mul_f32_e32 v141, v141, v142
	buffer_store_dword v141, off, s[0:3], 0 offset:104
.LBB61_346:
	s_or_b64 exec, exec, s[10:11]
	buffer_load_dword v141, off, s[0:3], 0 offset:100
	v_cmp_lt_u32_e64 s[6:7], 25, v0
	s_waitcnt vmcnt(0)
	ds_write_b32 v126, v141
	s_waitcnt lgkmcnt(0)
	; wave barrier
	s_waitcnt lgkmcnt(0)
	s_and_saveexec_b64 s[10:11], s[6:7]
	s_cbranch_execz .LBB61_356
; %bb.347:
	s_andn2_b64 vcc, exec, s[8:9]
	s_cbranch_vccnz .LBB61_349
; %bb.348:
	buffer_load_dword v141, v127, s[0:3], 0 offen
	ds_read_b32 v142, v126
	s_waitcnt vmcnt(0) lgkmcnt(0)
	v_mul_f32_e32 v141, v141, v142
	s_cbranch_execz .LBB61_350
	s_branch .LBB61_351
.LBB61_349:
                                        ; implicit-def: $vgpr141
.LBB61_350:
	ds_read_b32 v141, v126
.LBB61_351:
	s_and_saveexec_b64 s[12:13], s[4:5]
	s_cbranch_execz .LBB61_355
; %bb.352:
	v_subrev_u32_e32 v142, 26, v0
	s_movk_i32 s14, 0x168
	s_mov_b64 s[4:5], 0
.LBB61_353:                             ; =>This Inner Loop Header: Depth=1
	buffer_load_dword v143, v140, s[0:3], 0 offen
	v_mov_b32_e32 v144, s14
	ds_read_b32 v144, v144
	v_add_u32_e32 v142, -1, v142
	s_add_i32 s14, s14, 4
	v_cmp_eq_u32_e32 vcc, 0, v142
	v_add_u32_e32 v140, 4, v140
	s_or_b64 s[4:5], vcc, s[4:5]
	s_waitcnt vmcnt(0) lgkmcnt(0)
	v_fmac_f32_e32 v141, v143, v144
	s_andn2_b64 exec, exec, s[4:5]
	s_cbranch_execnz .LBB61_353
; %bb.354:
	s_or_b64 exec, exec, s[4:5]
.LBB61_355:
	s_or_b64 exec, exec, s[12:13]
	v_mov_b32_e32 v140, 0
	ds_read_b32 v140, v140 offset:100
	s_waitcnt lgkmcnt(0)
	v_mul_f32_e32 v140, v141, v140
	buffer_store_dword v140, off, s[0:3], 0 offset:100
.LBB61_356:
	s_or_b64 exec, exec, s[10:11]
	buffer_load_dword v140, off, s[0:3], 0 offset:96
	v_cmp_lt_u32_e64 s[4:5], 24, v0
	s_waitcnt vmcnt(0)
	ds_write_b32 v126, v140
	s_waitcnt lgkmcnt(0)
	; wave barrier
	s_waitcnt lgkmcnt(0)
	s_and_saveexec_b64 s[10:11], s[4:5]
	s_cbranch_execz .LBB61_366
; %bb.357:
	s_andn2_b64 vcc, exec, s[8:9]
	s_cbranch_vccnz .LBB61_359
; %bb.358:
	buffer_load_dword v140, v127, s[0:3], 0 offen
	ds_read_b32 v141, v126
	s_waitcnt vmcnt(0) lgkmcnt(0)
	v_mul_f32_e32 v140, v140, v141
	s_cbranch_execz .LBB61_360
	s_branch .LBB61_361
.LBB61_359:
                                        ; implicit-def: $vgpr140
.LBB61_360:
	ds_read_b32 v140, v126
.LBB61_361:
	s_and_saveexec_b64 s[12:13], s[6:7]
	s_cbranch_execz .LBB61_365
; %bb.362:
	v_mov_b32_e32 v141, 0
	v_add_u32_e32 v141, 0x64, v141
	v_subrev_u32_e32 v142, 25, v0
	s_movk_i32 s14, 0x164
	s_mov_b64 s[6:7], 0
.LBB61_363:                             ; =>This Inner Loop Header: Depth=1
	buffer_load_dword v143, v141, s[0:3], 0 offen
	v_mov_b32_e32 v144, s14
	ds_read_b32 v144, v144
	v_add_u32_e32 v142, -1, v142
	s_add_i32 s14, s14, 4
	v_cmp_eq_u32_e32 vcc, 0, v142
	v_add_u32_e32 v141, 4, v141
	s_or_b64 s[6:7], vcc, s[6:7]
	s_waitcnt vmcnt(0) lgkmcnt(0)
	v_fmac_f32_e32 v140, v143, v144
	s_andn2_b64 exec, exec, s[6:7]
	s_cbranch_execnz .LBB61_363
; %bb.364:
	s_or_b64 exec, exec, s[6:7]
.LBB61_365:
	s_or_b64 exec, exec, s[12:13]
	v_mov_b32_e32 v141, 0
	ds_read_b32 v141, v141 offset:96
	s_waitcnt lgkmcnt(0)
	v_mul_f32_e32 v140, v140, v141
	buffer_store_dword v140, off, s[0:3], 0 offset:96
.LBB61_366:
	s_or_b64 exec, exec, s[10:11]
	buffer_load_dword v140, off, s[0:3], 0 offset:92
	v_cmp_lt_u32_e64 s[6:7], 23, v0
	s_waitcnt vmcnt(0)
	ds_write_b32 v126, v140
	s_waitcnt lgkmcnt(0)
	; wave barrier
	s_waitcnt lgkmcnt(0)
	s_and_saveexec_b64 s[10:11], s[6:7]
	s_cbranch_execz .LBB61_376
; %bb.367:
	s_andn2_b64 vcc, exec, s[8:9]
	s_cbranch_vccnz .LBB61_369
; %bb.368:
	buffer_load_dword v140, v127, s[0:3], 0 offen
	ds_read_b32 v141, v126
	s_waitcnt vmcnt(0) lgkmcnt(0)
	v_mul_f32_e32 v140, v140, v141
	s_cbranch_execz .LBB61_370
	s_branch .LBB61_371
.LBB61_369:
                                        ; implicit-def: $vgpr140
.LBB61_370:
	ds_read_b32 v140, v126
.LBB61_371:
	s_and_saveexec_b64 s[12:13], s[4:5]
	s_cbranch_execz .LBB61_375
; %bb.372:
	v_subrev_u32_e32 v141, 24, v0
	s_movk_i32 s14, 0x160
	s_mov_b64 s[4:5], 0
.LBB61_373:                             ; =>This Inner Loop Header: Depth=1
	buffer_load_dword v142, v139, s[0:3], 0 offen
	v_mov_b32_e32 v143, s14
	ds_read_b32 v143, v143
	v_add_u32_e32 v141, -1, v141
	s_add_i32 s14, s14, 4
	v_cmp_eq_u32_e32 vcc, 0, v141
	v_add_u32_e32 v139, 4, v139
	s_or_b64 s[4:5], vcc, s[4:5]
	s_waitcnt vmcnt(0) lgkmcnt(0)
	v_fmac_f32_e32 v140, v142, v143
	s_andn2_b64 exec, exec, s[4:5]
	s_cbranch_execnz .LBB61_373
; %bb.374:
	s_or_b64 exec, exec, s[4:5]
.LBB61_375:
	s_or_b64 exec, exec, s[12:13]
	v_mov_b32_e32 v139, 0
	ds_read_b32 v139, v139 offset:92
	s_waitcnt lgkmcnt(0)
	v_mul_f32_e32 v139, v140, v139
	buffer_store_dword v139, off, s[0:3], 0 offset:92
.LBB61_376:
	s_or_b64 exec, exec, s[10:11]
	buffer_load_dword v139, off, s[0:3], 0 offset:88
	v_cmp_lt_u32_e64 s[4:5], 22, v0
	s_waitcnt vmcnt(0)
	ds_write_b32 v126, v139
	s_waitcnt lgkmcnt(0)
	; wave barrier
	s_waitcnt lgkmcnt(0)
	s_and_saveexec_b64 s[10:11], s[4:5]
	s_cbranch_execz .LBB61_386
; %bb.377:
	s_andn2_b64 vcc, exec, s[8:9]
	s_cbranch_vccnz .LBB61_379
; %bb.378:
	buffer_load_dword v139, v127, s[0:3], 0 offen
	ds_read_b32 v140, v126
	s_waitcnt vmcnt(0) lgkmcnt(0)
	v_mul_f32_e32 v139, v139, v140
	s_cbranch_execz .LBB61_380
	s_branch .LBB61_381
.LBB61_379:
                                        ; implicit-def: $vgpr139
.LBB61_380:
	ds_read_b32 v139, v126
.LBB61_381:
	s_and_saveexec_b64 s[12:13], s[6:7]
	s_cbranch_execz .LBB61_385
; %bb.382:
	v_mov_b32_e32 v140, 0
	v_add_u32_e32 v140, 0x5c, v140
	v_subrev_u32_e32 v141, 23, v0
	s_movk_i32 s14, 0x15c
	s_mov_b64 s[6:7], 0
.LBB61_383:                             ; =>This Inner Loop Header: Depth=1
	buffer_load_dword v142, v140, s[0:3], 0 offen
	v_mov_b32_e32 v143, s14
	ds_read_b32 v143, v143
	v_add_u32_e32 v141, -1, v141
	s_add_i32 s14, s14, 4
	v_cmp_eq_u32_e32 vcc, 0, v141
	v_add_u32_e32 v140, 4, v140
	s_or_b64 s[6:7], vcc, s[6:7]
	s_waitcnt vmcnt(0) lgkmcnt(0)
	v_fmac_f32_e32 v139, v142, v143
	s_andn2_b64 exec, exec, s[6:7]
	s_cbranch_execnz .LBB61_383
; %bb.384:
	s_or_b64 exec, exec, s[6:7]
.LBB61_385:
	s_or_b64 exec, exec, s[12:13]
	v_mov_b32_e32 v140, 0
	ds_read_b32 v140, v140 offset:88
	s_waitcnt lgkmcnt(0)
	v_mul_f32_e32 v139, v139, v140
	buffer_store_dword v139, off, s[0:3], 0 offset:88
.LBB61_386:
	s_or_b64 exec, exec, s[10:11]
	buffer_load_dword v139, off, s[0:3], 0 offset:84
	v_cmp_lt_u32_e64 s[6:7], 21, v0
	s_waitcnt vmcnt(0)
	ds_write_b32 v126, v139
	s_waitcnt lgkmcnt(0)
	; wave barrier
	s_waitcnt lgkmcnt(0)
	s_and_saveexec_b64 s[10:11], s[6:7]
	s_cbranch_execz .LBB61_396
; %bb.387:
	s_andn2_b64 vcc, exec, s[8:9]
	s_cbranch_vccnz .LBB61_389
; %bb.388:
	buffer_load_dword v139, v127, s[0:3], 0 offen
	ds_read_b32 v140, v126
	s_waitcnt vmcnt(0) lgkmcnt(0)
	v_mul_f32_e32 v139, v139, v140
	s_cbranch_execz .LBB61_390
	s_branch .LBB61_391
.LBB61_389:
                                        ; implicit-def: $vgpr139
.LBB61_390:
	ds_read_b32 v139, v126
.LBB61_391:
	s_and_saveexec_b64 s[12:13], s[4:5]
	s_cbranch_execz .LBB61_395
; %bb.392:
	v_subrev_u32_e32 v140, 22, v0
	s_movk_i32 s14, 0x158
	s_mov_b64 s[4:5], 0
.LBB61_393:                             ; =>This Inner Loop Header: Depth=1
	buffer_load_dword v141, v138, s[0:3], 0 offen
	v_mov_b32_e32 v142, s14
	ds_read_b32 v142, v142
	v_add_u32_e32 v140, -1, v140
	s_add_i32 s14, s14, 4
	v_cmp_eq_u32_e32 vcc, 0, v140
	v_add_u32_e32 v138, 4, v138
	s_or_b64 s[4:5], vcc, s[4:5]
	s_waitcnt vmcnt(0) lgkmcnt(0)
	v_fmac_f32_e32 v139, v141, v142
	s_andn2_b64 exec, exec, s[4:5]
	s_cbranch_execnz .LBB61_393
; %bb.394:
	s_or_b64 exec, exec, s[4:5]
.LBB61_395:
	s_or_b64 exec, exec, s[12:13]
	v_mov_b32_e32 v138, 0
	ds_read_b32 v138, v138 offset:84
	s_waitcnt lgkmcnt(0)
	v_mul_f32_e32 v138, v139, v138
	buffer_store_dword v138, off, s[0:3], 0 offset:84
.LBB61_396:
	s_or_b64 exec, exec, s[10:11]
	buffer_load_dword v138, off, s[0:3], 0 offset:80
	v_cmp_lt_u32_e64 s[4:5], 20, v0
	s_waitcnt vmcnt(0)
	ds_write_b32 v126, v138
	s_waitcnt lgkmcnt(0)
	; wave barrier
	s_waitcnt lgkmcnt(0)
	s_and_saveexec_b64 s[10:11], s[4:5]
	s_cbranch_execz .LBB61_406
; %bb.397:
	s_andn2_b64 vcc, exec, s[8:9]
	s_cbranch_vccnz .LBB61_399
; %bb.398:
	buffer_load_dword v138, v127, s[0:3], 0 offen
	ds_read_b32 v139, v126
	s_waitcnt vmcnt(0) lgkmcnt(0)
	v_mul_f32_e32 v138, v138, v139
	s_cbranch_execz .LBB61_400
	s_branch .LBB61_401
.LBB61_399:
                                        ; implicit-def: $vgpr138
.LBB61_400:
	ds_read_b32 v138, v126
.LBB61_401:
	s_and_saveexec_b64 s[12:13], s[6:7]
	s_cbranch_execz .LBB61_405
; %bb.402:
	v_mov_b32_e32 v139, 0
	v_add_u32_e32 v139, 0x54, v139
	v_subrev_u32_e32 v140, 21, v0
	s_movk_i32 s14, 0x154
	s_mov_b64 s[6:7], 0
.LBB61_403:                             ; =>This Inner Loop Header: Depth=1
	buffer_load_dword v141, v139, s[0:3], 0 offen
	v_mov_b32_e32 v142, s14
	ds_read_b32 v142, v142
	v_add_u32_e32 v140, -1, v140
	s_add_i32 s14, s14, 4
	v_cmp_eq_u32_e32 vcc, 0, v140
	v_add_u32_e32 v139, 4, v139
	s_or_b64 s[6:7], vcc, s[6:7]
	s_waitcnt vmcnt(0) lgkmcnt(0)
	v_fmac_f32_e32 v138, v141, v142
	s_andn2_b64 exec, exec, s[6:7]
	s_cbranch_execnz .LBB61_403
; %bb.404:
	s_or_b64 exec, exec, s[6:7]
.LBB61_405:
	s_or_b64 exec, exec, s[12:13]
	v_mov_b32_e32 v139, 0
	ds_read_b32 v139, v139 offset:80
	s_waitcnt lgkmcnt(0)
	v_mul_f32_e32 v138, v138, v139
	buffer_store_dword v138, off, s[0:3], 0 offset:80
.LBB61_406:
	s_or_b64 exec, exec, s[10:11]
	buffer_load_dword v138, off, s[0:3], 0 offset:76
	v_cmp_lt_u32_e64 s[6:7], 19, v0
	s_waitcnt vmcnt(0)
	ds_write_b32 v126, v138
	s_waitcnt lgkmcnt(0)
	; wave barrier
	s_waitcnt lgkmcnt(0)
	s_and_saveexec_b64 s[10:11], s[6:7]
	s_cbranch_execz .LBB61_416
; %bb.407:
	s_andn2_b64 vcc, exec, s[8:9]
	s_cbranch_vccnz .LBB61_409
; %bb.408:
	buffer_load_dword v138, v127, s[0:3], 0 offen
	ds_read_b32 v139, v126
	s_waitcnt vmcnt(0) lgkmcnt(0)
	v_mul_f32_e32 v138, v138, v139
	s_cbranch_execz .LBB61_410
	s_branch .LBB61_411
.LBB61_409:
                                        ; implicit-def: $vgpr138
.LBB61_410:
	ds_read_b32 v138, v126
.LBB61_411:
	s_and_saveexec_b64 s[12:13], s[4:5]
	s_cbranch_execz .LBB61_415
; %bb.412:
	v_subrev_u32_e32 v139, 20, v0
	s_movk_i32 s14, 0x150
	s_mov_b64 s[4:5], 0
.LBB61_413:                             ; =>This Inner Loop Header: Depth=1
	buffer_load_dword v140, v137, s[0:3], 0 offen
	v_mov_b32_e32 v141, s14
	ds_read_b32 v141, v141
	v_add_u32_e32 v139, -1, v139
	s_add_i32 s14, s14, 4
	v_cmp_eq_u32_e32 vcc, 0, v139
	v_add_u32_e32 v137, 4, v137
	s_or_b64 s[4:5], vcc, s[4:5]
	s_waitcnt vmcnt(0) lgkmcnt(0)
	v_fmac_f32_e32 v138, v140, v141
	s_andn2_b64 exec, exec, s[4:5]
	s_cbranch_execnz .LBB61_413
; %bb.414:
	s_or_b64 exec, exec, s[4:5]
.LBB61_415:
	s_or_b64 exec, exec, s[12:13]
	v_mov_b32_e32 v137, 0
	ds_read_b32 v137, v137 offset:76
	s_waitcnt lgkmcnt(0)
	v_mul_f32_e32 v137, v138, v137
	buffer_store_dword v137, off, s[0:3], 0 offset:76
.LBB61_416:
	s_or_b64 exec, exec, s[10:11]
	buffer_load_dword v137, off, s[0:3], 0 offset:72
	v_cmp_lt_u32_e64 s[4:5], 18, v0
	s_waitcnt vmcnt(0)
	ds_write_b32 v126, v137
	s_waitcnt lgkmcnt(0)
	; wave barrier
	s_waitcnt lgkmcnt(0)
	s_and_saveexec_b64 s[10:11], s[4:5]
	s_cbranch_execz .LBB61_426
; %bb.417:
	s_andn2_b64 vcc, exec, s[8:9]
	s_cbranch_vccnz .LBB61_419
; %bb.418:
	buffer_load_dword v137, v127, s[0:3], 0 offen
	ds_read_b32 v138, v126
	s_waitcnt vmcnt(0) lgkmcnt(0)
	v_mul_f32_e32 v137, v137, v138
	s_cbranch_execz .LBB61_420
	s_branch .LBB61_421
.LBB61_419:
                                        ; implicit-def: $vgpr137
.LBB61_420:
	ds_read_b32 v137, v126
.LBB61_421:
	s_and_saveexec_b64 s[12:13], s[6:7]
	s_cbranch_execz .LBB61_425
; %bb.422:
	v_mov_b32_e32 v138, 0
	v_add_u32_e32 v138, 0x4c, v138
	v_subrev_u32_e32 v139, 19, v0
	s_movk_i32 s14, 0x14c
	s_mov_b64 s[6:7], 0
.LBB61_423:                             ; =>This Inner Loop Header: Depth=1
	buffer_load_dword v140, v138, s[0:3], 0 offen
	v_mov_b32_e32 v141, s14
	ds_read_b32 v141, v141
	v_add_u32_e32 v139, -1, v139
	s_add_i32 s14, s14, 4
	v_cmp_eq_u32_e32 vcc, 0, v139
	v_add_u32_e32 v138, 4, v138
	s_or_b64 s[6:7], vcc, s[6:7]
	s_waitcnt vmcnt(0) lgkmcnt(0)
	v_fmac_f32_e32 v137, v140, v141
	s_andn2_b64 exec, exec, s[6:7]
	s_cbranch_execnz .LBB61_423
; %bb.424:
	s_or_b64 exec, exec, s[6:7]
.LBB61_425:
	s_or_b64 exec, exec, s[12:13]
	v_mov_b32_e32 v138, 0
	ds_read_b32 v138, v138 offset:72
	s_waitcnt lgkmcnt(0)
	v_mul_f32_e32 v137, v137, v138
	buffer_store_dword v137, off, s[0:3], 0 offset:72
.LBB61_426:
	s_or_b64 exec, exec, s[10:11]
	buffer_load_dword v137, off, s[0:3], 0 offset:68
	v_cmp_lt_u32_e64 s[6:7], 17, v0
	s_waitcnt vmcnt(0)
	ds_write_b32 v126, v137
	s_waitcnt lgkmcnt(0)
	; wave barrier
	s_waitcnt lgkmcnt(0)
	s_and_saveexec_b64 s[10:11], s[6:7]
	s_cbranch_execz .LBB61_436
; %bb.427:
	s_andn2_b64 vcc, exec, s[8:9]
	s_cbranch_vccnz .LBB61_429
; %bb.428:
	buffer_load_dword v137, v127, s[0:3], 0 offen
	ds_read_b32 v138, v126
	s_waitcnt vmcnt(0) lgkmcnt(0)
	v_mul_f32_e32 v137, v137, v138
	s_cbranch_execz .LBB61_430
	s_branch .LBB61_431
.LBB61_429:
                                        ; implicit-def: $vgpr137
.LBB61_430:
	ds_read_b32 v137, v126
.LBB61_431:
	s_and_saveexec_b64 s[12:13], s[4:5]
	s_cbranch_execz .LBB61_435
; %bb.432:
	v_subrev_u32_e32 v138, 18, v0
	s_movk_i32 s14, 0x148
	s_mov_b64 s[4:5], 0
.LBB61_433:                             ; =>This Inner Loop Header: Depth=1
	buffer_load_dword v139, v136, s[0:3], 0 offen
	v_mov_b32_e32 v140, s14
	ds_read_b32 v140, v140
	v_add_u32_e32 v138, -1, v138
	s_add_i32 s14, s14, 4
	v_cmp_eq_u32_e32 vcc, 0, v138
	v_add_u32_e32 v136, 4, v136
	s_or_b64 s[4:5], vcc, s[4:5]
	s_waitcnt vmcnt(0) lgkmcnt(0)
	v_fmac_f32_e32 v137, v139, v140
	s_andn2_b64 exec, exec, s[4:5]
	s_cbranch_execnz .LBB61_433
; %bb.434:
	s_or_b64 exec, exec, s[4:5]
.LBB61_435:
	s_or_b64 exec, exec, s[12:13]
	v_mov_b32_e32 v136, 0
	ds_read_b32 v136, v136 offset:68
	s_waitcnt lgkmcnt(0)
	v_mul_f32_e32 v136, v137, v136
	buffer_store_dword v136, off, s[0:3], 0 offset:68
.LBB61_436:
	s_or_b64 exec, exec, s[10:11]
	buffer_load_dword v136, off, s[0:3], 0 offset:64
	v_cmp_lt_u32_e64 s[4:5], 16, v0
	s_waitcnt vmcnt(0)
	ds_write_b32 v126, v136
	s_waitcnt lgkmcnt(0)
	; wave barrier
	s_waitcnt lgkmcnt(0)
	s_and_saveexec_b64 s[10:11], s[4:5]
	s_cbranch_execz .LBB61_446
; %bb.437:
	s_andn2_b64 vcc, exec, s[8:9]
	s_cbranch_vccnz .LBB61_439
; %bb.438:
	buffer_load_dword v136, v127, s[0:3], 0 offen
	ds_read_b32 v137, v126
	s_waitcnt vmcnt(0) lgkmcnt(0)
	v_mul_f32_e32 v136, v136, v137
	s_cbranch_execz .LBB61_440
	s_branch .LBB61_441
.LBB61_439:
                                        ; implicit-def: $vgpr136
.LBB61_440:
	ds_read_b32 v136, v126
.LBB61_441:
	s_and_saveexec_b64 s[12:13], s[6:7]
	s_cbranch_execz .LBB61_445
; %bb.442:
	v_mov_b32_e32 v137, 0
	v_add_u32_e32 v137, 0x44, v137
	v_subrev_u32_e32 v138, 17, v0
	s_movk_i32 s14, 0x144
	s_mov_b64 s[6:7], 0
.LBB61_443:                             ; =>This Inner Loop Header: Depth=1
	buffer_load_dword v139, v137, s[0:3], 0 offen
	v_mov_b32_e32 v140, s14
	ds_read_b32 v140, v140
	v_add_u32_e32 v138, -1, v138
	s_add_i32 s14, s14, 4
	v_cmp_eq_u32_e32 vcc, 0, v138
	v_add_u32_e32 v137, 4, v137
	s_or_b64 s[6:7], vcc, s[6:7]
	s_waitcnt vmcnt(0) lgkmcnt(0)
	v_fmac_f32_e32 v136, v139, v140
	s_andn2_b64 exec, exec, s[6:7]
	s_cbranch_execnz .LBB61_443
; %bb.444:
	s_or_b64 exec, exec, s[6:7]
.LBB61_445:
	s_or_b64 exec, exec, s[12:13]
	v_mov_b32_e32 v137, 0
	ds_read_b32 v137, v137 offset:64
	s_waitcnt lgkmcnt(0)
	v_mul_f32_e32 v136, v136, v137
	buffer_store_dword v136, off, s[0:3], 0 offset:64
.LBB61_446:
	s_or_b64 exec, exec, s[10:11]
	buffer_load_dword v136, off, s[0:3], 0 offset:60
	v_cmp_lt_u32_e64 s[6:7], 15, v0
	s_waitcnt vmcnt(0)
	ds_write_b32 v126, v136
	s_waitcnt lgkmcnt(0)
	; wave barrier
	s_waitcnt lgkmcnt(0)
	s_and_saveexec_b64 s[10:11], s[6:7]
	s_cbranch_execz .LBB61_456
; %bb.447:
	s_andn2_b64 vcc, exec, s[8:9]
	s_cbranch_vccnz .LBB61_449
; %bb.448:
	buffer_load_dword v136, v127, s[0:3], 0 offen
	ds_read_b32 v137, v126
	s_waitcnt vmcnt(0) lgkmcnt(0)
	v_mul_f32_e32 v136, v136, v137
	s_cbranch_execz .LBB61_450
	s_branch .LBB61_451
.LBB61_449:
                                        ; implicit-def: $vgpr136
.LBB61_450:
	ds_read_b32 v136, v126
.LBB61_451:
	s_and_saveexec_b64 s[12:13], s[4:5]
	s_cbranch_execz .LBB61_455
; %bb.452:
	v_add_u32_e32 v137, -16, v0
	s_movk_i32 s14, 0x140
	s_mov_b64 s[4:5], 0
.LBB61_453:                             ; =>This Inner Loop Header: Depth=1
	buffer_load_dword v138, v135, s[0:3], 0 offen
	v_mov_b32_e32 v139, s14
	ds_read_b32 v139, v139
	v_add_u32_e32 v137, -1, v137
	s_add_i32 s14, s14, 4
	v_cmp_eq_u32_e32 vcc, 0, v137
	v_add_u32_e32 v135, 4, v135
	s_or_b64 s[4:5], vcc, s[4:5]
	s_waitcnt vmcnt(0) lgkmcnt(0)
	v_fmac_f32_e32 v136, v138, v139
	s_andn2_b64 exec, exec, s[4:5]
	s_cbranch_execnz .LBB61_453
; %bb.454:
	s_or_b64 exec, exec, s[4:5]
.LBB61_455:
	s_or_b64 exec, exec, s[12:13]
	v_mov_b32_e32 v135, 0
	ds_read_b32 v135, v135 offset:60
	s_waitcnt lgkmcnt(0)
	v_mul_f32_e32 v135, v136, v135
	buffer_store_dword v135, off, s[0:3], 0 offset:60
.LBB61_456:
	s_or_b64 exec, exec, s[10:11]
	buffer_load_dword v135, off, s[0:3], 0 offset:56
	v_cmp_lt_u32_e64 s[4:5], 14, v0
	s_waitcnt vmcnt(0)
	ds_write_b32 v126, v135
	s_waitcnt lgkmcnt(0)
	; wave barrier
	s_waitcnt lgkmcnt(0)
	s_and_saveexec_b64 s[10:11], s[4:5]
	s_cbranch_execz .LBB61_466
; %bb.457:
	s_andn2_b64 vcc, exec, s[8:9]
	s_cbranch_vccnz .LBB61_459
; %bb.458:
	buffer_load_dword v135, v127, s[0:3], 0 offen
	ds_read_b32 v136, v126
	s_waitcnt vmcnt(0) lgkmcnt(0)
	v_mul_f32_e32 v135, v135, v136
	s_cbranch_execz .LBB61_460
	s_branch .LBB61_461
.LBB61_459:
                                        ; implicit-def: $vgpr135
.LBB61_460:
	ds_read_b32 v135, v126
.LBB61_461:
	s_and_saveexec_b64 s[12:13], s[6:7]
	s_cbranch_execz .LBB61_465
; %bb.462:
	v_mov_b32_e32 v136, 0
	v_add_u32_e32 v136, 60, v136
	v_add_u32_e32 v137, -15, v0
	s_movk_i32 s14, 0x13c
	s_mov_b64 s[6:7], 0
.LBB61_463:                             ; =>This Inner Loop Header: Depth=1
	buffer_load_dword v138, v136, s[0:3], 0 offen
	v_mov_b32_e32 v139, s14
	ds_read_b32 v139, v139
	v_add_u32_e32 v137, -1, v137
	s_add_i32 s14, s14, 4
	v_cmp_eq_u32_e32 vcc, 0, v137
	v_add_u32_e32 v136, 4, v136
	s_or_b64 s[6:7], vcc, s[6:7]
	s_waitcnt vmcnt(0) lgkmcnt(0)
	v_fmac_f32_e32 v135, v138, v139
	s_andn2_b64 exec, exec, s[6:7]
	s_cbranch_execnz .LBB61_463
; %bb.464:
	s_or_b64 exec, exec, s[6:7]
.LBB61_465:
	s_or_b64 exec, exec, s[12:13]
	v_mov_b32_e32 v136, 0
	ds_read_b32 v136, v136 offset:56
	s_waitcnt lgkmcnt(0)
	v_mul_f32_e32 v135, v135, v136
	buffer_store_dword v135, off, s[0:3], 0 offset:56
.LBB61_466:
	s_or_b64 exec, exec, s[10:11]
	buffer_load_dword v135, off, s[0:3], 0 offset:52
	v_cmp_lt_u32_e64 s[6:7], 13, v0
	s_waitcnt vmcnt(0)
	ds_write_b32 v126, v135
	s_waitcnt lgkmcnt(0)
	; wave barrier
	s_waitcnt lgkmcnt(0)
	s_and_saveexec_b64 s[10:11], s[6:7]
	s_cbranch_execz .LBB61_476
; %bb.467:
	s_andn2_b64 vcc, exec, s[8:9]
	s_cbranch_vccnz .LBB61_469
; %bb.468:
	buffer_load_dword v135, v127, s[0:3], 0 offen
	ds_read_b32 v136, v126
	s_waitcnt vmcnt(0) lgkmcnt(0)
	v_mul_f32_e32 v135, v135, v136
	s_cbranch_execz .LBB61_470
	s_branch .LBB61_471
.LBB61_469:
                                        ; implicit-def: $vgpr135
.LBB61_470:
	ds_read_b32 v135, v126
.LBB61_471:
	s_and_saveexec_b64 s[12:13], s[4:5]
	s_cbranch_execz .LBB61_475
; %bb.472:
	v_add_u32_e32 v136, -14, v0
	s_movk_i32 s14, 0x138
	s_mov_b64 s[4:5], 0
.LBB61_473:                             ; =>This Inner Loop Header: Depth=1
	buffer_load_dword v137, v134, s[0:3], 0 offen
	v_mov_b32_e32 v138, s14
	ds_read_b32 v138, v138
	v_add_u32_e32 v136, -1, v136
	s_add_i32 s14, s14, 4
	v_cmp_eq_u32_e32 vcc, 0, v136
	v_add_u32_e32 v134, 4, v134
	s_or_b64 s[4:5], vcc, s[4:5]
	s_waitcnt vmcnt(0) lgkmcnt(0)
	v_fmac_f32_e32 v135, v137, v138
	s_andn2_b64 exec, exec, s[4:5]
	s_cbranch_execnz .LBB61_473
; %bb.474:
	s_or_b64 exec, exec, s[4:5]
.LBB61_475:
	s_or_b64 exec, exec, s[12:13]
	v_mov_b32_e32 v134, 0
	ds_read_b32 v134, v134 offset:52
	s_waitcnt lgkmcnt(0)
	v_mul_f32_e32 v134, v135, v134
	buffer_store_dword v134, off, s[0:3], 0 offset:52
.LBB61_476:
	s_or_b64 exec, exec, s[10:11]
	buffer_load_dword v134, off, s[0:3], 0 offset:48
	v_cmp_lt_u32_e64 s[4:5], 12, v0
	s_waitcnt vmcnt(0)
	ds_write_b32 v126, v134
	s_waitcnt lgkmcnt(0)
	; wave barrier
	s_waitcnt lgkmcnt(0)
	s_and_saveexec_b64 s[10:11], s[4:5]
	s_cbranch_execz .LBB61_486
; %bb.477:
	s_andn2_b64 vcc, exec, s[8:9]
	s_cbranch_vccnz .LBB61_479
; %bb.478:
	buffer_load_dword v134, v127, s[0:3], 0 offen
	ds_read_b32 v135, v126
	s_waitcnt vmcnt(0) lgkmcnt(0)
	v_mul_f32_e32 v134, v134, v135
	s_cbranch_execz .LBB61_480
	s_branch .LBB61_481
.LBB61_479:
                                        ; implicit-def: $vgpr134
.LBB61_480:
	ds_read_b32 v134, v126
.LBB61_481:
	s_and_saveexec_b64 s[12:13], s[6:7]
	s_cbranch_execz .LBB61_485
; %bb.482:
	v_mov_b32_e32 v135, 0
	v_add_u32_e32 v135, 52, v135
	v_add_u32_e32 v136, -13, v0
	s_movk_i32 s14, 0x134
	s_mov_b64 s[6:7], 0
.LBB61_483:                             ; =>This Inner Loop Header: Depth=1
	buffer_load_dword v137, v135, s[0:3], 0 offen
	v_mov_b32_e32 v138, s14
	ds_read_b32 v138, v138
	v_add_u32_e32 v136, -1, v136
	s_add_i32 s14, s14, 4
	v_cmp_eq_u32_e32 vcc, 0, v136
	v_add_u32_e32 v135, 4, v135
	s_or_b64 s[6:7], vcc, s[6:7]
	s_waitcnt vmcnt(0) lgkmcnt(0)
	v_fmac_f32_e32 v134, v137, v138
	s_andn2_b64 exec, exec, s[6:7]
	s_cbranch_execnz .LBB61_483
; %bb.484:
	s_or_b64 exec, exec, s[6:7]
.LBB61_485:
	s_or_b64 exec, exec, s[12:13]
	v_mov_b32_e32 v135, 0
	ds_read_b32 v135, v135 offset:48
	s_waitcnt lgkmcnt(0)
	v_mul_f32_e32 v134, v134, v135
	buffer_store_dword v134, off, s[0:3], 0 offset:48
.LBB61_486:
	s_or_b64 exec, exec, s[10:11]
	buffer_load_dword v134, off, s[0:3], 0 offset:44
	v_cmp_lt_u32_e64 s[6:7], 11, v0
	s_waitcnt vmcnt(0)
	ds_write_b32 v126, v134
	s_waitcnt lgkmcnt(0)
	; wave barrier
	s_waitcnt lgkmcnt(0)
	s_and_saveexec_b64 s[10:11], s[6:7]
	s_cbranch_execz .LBB61_496
; %bb.487:
	s_andn2_b64 vcc, exec, s[8:9]
	s_cbranch_vccnz .LBB61_489
; %bb.488:
	buffer_load_dword v134, v127, s[0:3], 0 offen
	ds_read_b32 v135, v126
	s_waitcnt vmcnt(0) lgkmcnt(0)
	v_mul_f32_e32 v134, v134, v135
	s_cbranch_execz .LBB61_490
	s_branch .LBB61_491
.LBB61_489:
                                        ; implicit-def: $vgpr134
.LBB61_490:
	ds_read_b32 v134, v126
.LBB61_491:
	s_and_saveexec_b64 s[12:13], s[4:5]
	s_cbranch_execz .LBB61_495
; %bb.492:
	v_add_u32_e32 v135, -12, v0
	s_movk_i32 s14, 0x130
	s_mov_b64 s[4:5], 0
.LBB61_493:                             ; =>This Inner Loop Header: Depth=1
	buffer_load_dword v136, v133, s[0:3], 0 offen
	v_mov_b32_e32 v137, s14
	ds_read_b32 v137, v137
	v_add_u32_e32 v135, -1, v135
	s_add_i32 s14, s14, 4
	v_cmp_eq_u32_e32 vcc, 0, v135
	v_add_u32_e32 v133, 4, v133
	s_or_b64 s[4:5], vcc, s[4:5]
	s_waitcnt vmcnt(0) lgkmcnt(0)
	v_fmac_f32_e32 v134, v136, v137
	s_andn2_b64 exec, exec, s[4:5]
	s_cbranch_execnz .LBB61_493
; %bb.494:
	s_or_b64 exec, exec, s[4:5]
.LBB61_495:
	s_or_b64 exec, exec, s[12:13]
	v_mov_b32_e32 v133, 0
	ds_read_b32 v133, v133 offset:44
	s_waitcnt lgkmcnt(0)
	v_mul_f32_e32 v133, v134, v133
	buffer_store_dword v133, off, s[0:3], 0 offset:44
.LBB61_496:
	s_or_b64 exec, exec, s[10:11]
	buffer_load_dword v133, off, s[0:3], 0 offset:40
	v_cmp_lt_u32_e64 s[4:5], 10, v0
	s_waitcnt vmcnt(0)
	ds_write_b32 v126, v133
	s_waitcnt lgkmcnt(0)
	; wave barrier
	s_waitcnt lgkmcnt(0)
	s_and_saveexec_b64 s[10:11], s[4:5]
	s_cbranch_execz .LBB61_506
; %bb.497:
	s_andn2_b64 vcc, exec, s[8:9]
	s_cbranch_vccnz .LBB61_499
; %bb.498:
	buffer_load_dword v133, v127, s[0:3], 0 offen
	ds_read_b32 v134, v126
	s_waitcnt vmcnt(0) lgkmcnt(0)
	v_mul_f32_e32 v133, v133, v134
	s_cbranch_execz .LBB61_500
	s_branch .LBB61_501
.LBB61_499:
                                        ; implicit-def: $vgpr133
.LBB61_500:
	ds_read_b32 v133, v126
.LBB61_501:
	s_and_saveexec_b64 s[12:13], s[6:7]
	s_cbranch_execz .LBB61_505
; %bb.502:
	v_mov_b32_e32 v134, 0
	v_add_u32_e32 v134, 44, v134
	v_add_u32_e32 v135, -11, v0
	s_movk_i32 s14, 0x12c
	s_mov_b64 s[6:7], 0
.LBB61_503:                             ; =>This Inner Loop Header: Depth=1
	buffer_load_dword v136, v134, s[0:3], 0 offen
	v_mov_b32_e32 v137, s14
	ds_read_b32 v137, v137
	v_add_u32_e32 v135, -1, v135
	s_add_i32 s14, s14, 4
	v_cmp_eq_u32_e32 vcc, 0, v135
	v_add_u32_e32 v134, 4, v134
	s_or_b64 s[6:7], vcc, s[6:7]
	s_waitcnt vmcnt(0) lgkmcnt(0)
	v_fmac_f32_e32 v133, v136, v137
	s_andn2_b64 exec, exec, s[6:7]
	s_cbranch_execnz .LBB61_503
; %bb.504:
	s_or_b64 exec, exec, s[6:7]
.LBB61_505:
	s_or_b64 exec, exec, s[12:13]
	v_mov_b32_e32 v134, 0
	ds_read_b32 v134, v134 offset:40
	s_waitcnt lgkmcnt(0)
	v_mul_f32_e32 v133, v133, v134
	buffer_store_dword v133, off, s[0:3], 0 offset:40
.LBB61_506:
	s_or_b64 exec, exec, s[10:11]
	buffer_load_dword v133, off, s[0:3], 0 offset:36
	v_cmp_lt_u32_e64 s[6:7], 9, v0
	s_waitcnt vmcnt(0)
	ds_write_b32 v126, v133
	s_waitcnt lgkmcnt(0)
	; wave barrier
	s_waitcnt lgkmcnt(0)
	s_and_saveexec_b64 s[10:11], s[6:7]
	s_cbranch_execz .LBB61_516
; %bb.507:
	s_andn2_b64 vcc, exec, s[8:9]
	s_cbranch_vccnz .LBB61_509
; %bb.508:
	buffer_load_dword v133, v127, s[0:3], 0 offen
	ds_read_b32 v134, v126
	s_waitcnt vmcnt(0) lgkmcnt(0)
	v_mul_f32_e32 v133, v133, v134
	s_cbranch_execz .LBB61_510
	s_branch .LBB61_511
.LBB61_509:
                                        ; implicit-def: $vgpr133
.LBB61_510:
	ds_read_b32 v133, v126
.LBB61_511:
	s_and_saveexec_b64 s[12:13], s[4:5]
	s_cbranch_execz .LBB61_515
; %bb.512:
	v_add_u32_e32 v134, -10, v0
	s_movk_i32 s14, 0x128
	s_mov_b64 s[4:5], 0
.LBB61_513:                             ; =>This Inner Loop Header: Depth=1
	buffer_load_dword v135, v132, s[0:3], 0 offen
	v_mov_b32_e32 v136, s14
	ds_read_b32 v136, v136
	v_add_u32_e32 v134, -1, v134
	s_add_i32 s14, s14, 4
	v_cmp_eq_u32_e32 vcc, 0, v134
	v_add_u32_e32 v132, 4, v132
	s_or_b64 s[4:5], vcc, s[4:5]
	s_waitcnt vmcnt(0) lgkmcnt(0)
	v_fmac_f32_e32 v133, v135, v136
	s_andn2_b64 exec, exec, s[4:5]
	s_cbranch_execnz .LBB61_513
; %bb.514:
	s_or_b64 exec, exec, s[4:5]
.LBB61_515:
	s_or_b64 exec, exec, s[12:13]
	v_mov_b32_e32 v132, 0
	ds_read_b32 v132, v132 offset:36
	s_waitcnt lgkmcnt(0)
	v_mul_f32_e32 v132, v133, v132
	buffer_store_dword v132, off, s[0:3], 0 offset:36
.LBB61_516:
	s_or_b64 exec, exec, s[10:11]
	buffer_load_dword v132, off, s[0:3], 0 offset:32
	v_cmp_lt_u32_e64 s[4:5], 8, v0
	s_waitcnt vmcnt(0)
	ds_write_b32 v126, v132
	s_waitcnt lgkmcnt(0)
	; wave barrier
	s_waitcnt lgkmcnt(0)
	s_and_saveexec_b64 s[10:11], s[4:5]
	s_cbranch_execz .LBB61_526
; %bb.517:
	s_andn2_b64 vcc, exec, s[8:9]
	s_cbranch_vccnz .LBB61_519
; %bb.518:
	buffer_load_dword v132, v127, s[0:3], 0 offen
	ds_read_b32 v133, v126
	s_waitcnt vmcnt(0) lgkmcnt(0)
	v_mul_f32_e32 v132, v132, v133
	s_cbranch_execz .LBB61_520
	s_branch .LBB61_521
.LBB61_519:
                                        ; implicit-def: $vgpr132
.LBB61_520:
	ds_read_b32 v132, v126
.LBB61_521:
	s_and_saveexec_b64 s[12:13], s[6:7]
	s_cbranch_execz .LBB61_525
; %bb.522:
	v_mov_b32_e32 v133, 0
	v_add_u32_e32 v133, 36, v133
	v_add_u32_e32 v134, -9, v0
	s_movk_i32 s14, 0x124
	s_mov_b64 s[6:7], 0
.LBB61_523:                             ; =>This Inner Loop Header: Depth=1
	buffer_load_dword v135, v133, s[0:3], 0 offen
	v_mov_b32_e32 v136, s14
	ds_read_b32 v136, v136
	v_add_u32_e32 v134, -1, v134
	s_add_i32 s14, s14, 4
	v_cmp_eq_u32_e32 vcc, 0, v134
	v_add_u32_e32 v133, 4, v133
	s_or_b64 s[6:7], vcc, s[6:7]
	s_waitcnt vmcnt(0) lgkmcnt(0)
	v_fmac_f32_e32 v132, v135, v136
	s_andn2_b64 exec, exec, s[6:7]
	s_cbranch_execnz .LBB61_523
; %bb.524:
	s_or_b64 exec, exec, s[6:7]
.LBB61_525:
	s_or_b64 exec, exec, s[12:13]
	v_mov_b32_e32 v133, 0
	ds_read_b32 v133, v133 offset:32
	s_waitcnt lgkmcnt(0)
	v_mul_f32_e32 v132, v132, v133
	buffer_store_dword v132, off, s[0:3], 0 offset:32
.LBB61_526:
	s_or_b64 exec, exec, s[10:11]
	buffer_load_dword v132, off, s[0:3], 0 offset:28
	v_cmp_lt_u32_e64 s[6:7], 7, v0
	s_waitcnt vmcnt(0)
	ds_write_b32 v126, v132
	s_waitcnt lgkmcnt(0)
	; wave barrier
	s_waitcnt lgkmcnt(0)
	s_and_saveexec_b64 s[10:11], s[6:7]
	s_cbranch_execz .LBB61_536
; %bb.527:
	s_andn2_b64 vcc, exec, s[8:9]
	s_cbranch_vccnz .LBB61_529
; %bb.528:
	buffer_load_dword v132, v127, s[0:3], 0 offen
	ds_read_b32 v133, v126
	s_waitcnt vmcnt(0) lgkmcnt(0)
	v_mul_f32_e32 v132, v132, v133
	s_cbranch_execz .LBB61_530
	s_branch .LBB61_531
.LBB61_529:
                                        ; implicit-def: $vgpr132
.LBB61_530:
	ds_read_b32 v132, v126
.LBB61_531:
	s_and_saveexec_b64 s[12:13], s[4:5]
	s_cbranch_execz .LBB61_535
; %bb.532:
	v_add_u32_e32 v133, -8, v0
	s_movk_i32 s14, 0x120
	s_mov_b64 s[4:5], 0
.LBB61_533:                             ; =>This Inner Loop Header: Depth=1
	buffer_load_dword v134, v131, s[0:3], 0 offen
	v_mov_b32_e32 v135, s14
	ds_read_b32 v135, v135
	v_add_u32_e32 v133, -1, v133
	s_add_i32 s14, s14, 4
	v_cmp_eq_u32_e32 vcc, 0, v133
	v_add_u32_e32 v131, 4, v131
	s_or_b64 s[4:5], vcc, s[4:5]
	s_waitcnt vmcnt(0) lgkmcnt(0)
	v_fmac_f32_e32 v132, v134, v135
	s_andn2_b64 exec, exec, s[4:5]
	s_cbranch_execnz .LBB61_533
; %bb.534:
	s_or_b64 exec, exec, s[4:5]
.LBB61_535:
	s_or_b64 exec, exec, s[12:13]
	v_mov_b32_e32 v131, 0
	ds_read_b32 v131, v131 offset:28
	s_waitcnt lgkmcnt(0)
	v_mul_f32_e32 v131, v132, v131
	buffer_store_dword v131, off, s[0:3], 0 offset:28
.LBB61_536:
	s_or_b64 exec, exec, s[10:11]
	buffer_load_dword v131, off, s[0:3], 0 offset:24
	v_cmp_lt_u32_e64 s[4:5], 6, v0
	s_waitcnt vmcnt(0)
	ds_write_b32 v126, v131
	s_waitcnt lgkmcnt(0)
	; wave barrier
	s_waitcnt lgkmcnt(0)
	s_and_saveexec_b64 s[10:11], s[4:5]
	s_cbranch_execz .LBB61_546
; %bb.537:
	s_andn2_b64 vcc, exec, s[8:9]
	s_cbranch_vccnz .LBB61_539
; %bb.538:
	buffer_load_dword v131, v127, s[0:3], 0 offen
	ds_read_b32 v132, v126
	s_waitcnt vmcnt(0) lgkmcnt(0)
	v_mul_f32_e32 v131, v131, v132
	s_cbranch_execz .LBB61_540
	s_branch .LBB61_541
.LBB61_539:
                                        ; implicit-def: $vgpr131
.LBB61_540:
	ds_read_b32 v131, v126
.LBB61_541:
	s_and_saveexec_b64 s[12:13], s[6:7]
	s_cbranch_execz .LBB61_545
; %bb.542:
	v_mov_b32_e32 v132, 0
	v_add_u32_e32 v132, 28, v132
	v_add_u32_e32 v133, -7, v0
	s_movk_i32 s14, 0x11c
	s_mov_b64 s[6:7], 0
.LBB61_543:                             ; =>This Inner Loop Header: Depth=1
	buffer_load_dword v134, v132, s[0:3], 0 offen
	v_mov_b32_e32 v135, s14
	ds_read_b32 v135, v135
	v_add_u32_e32 v133, -1, v133
	s_add_i32 s14, s14, 4
	v_cmp_eq_u32_e32 vcc, 0, v133
	v_add_u32_e32 v132, 4, v132
	s_or_b64 s[6:7], vcc, s[6:7]
	s_waitcnt vmcnt(0) lgkmcnt(0)
	v_fmac_f32_e32 v131, v134, v135
	s_andn2_b64 exec, exec, s[6:7]
	s_cbranch_execnz .LBB61_543
; %bb.544:
	s_or_b64 exec, exec, s[6:7]
.LBB61_545:
	s_or_b64 exec, exec, s[12:13]
	v_mov_b32_e32 v132, 0
	ds_read_b32 v132, v132 offset:24
	s_waitcnt lgkmcnt(0)
	v_mul_f32_e32 v131, v131, v132
	buffer_store_dword v131, off, s[0:3], 0 offset:24
.LBB61_546:
	s_or_b64 exec, exec, s[10:11]
	buffer_load_dword v131, off, s[0:3], 0 offset:20
	v_cmp_lt_u32_e64 s[6:7], 5, v0
	s_waitcnt vmcnt(0)
	ds_write_b32 v126, v131
	s_waitcnt lgkmcnt(0)
	; wave barrier
	s_waitcnt lgkmcnt(0)
	s_and_saveexec_b64 s[10:11], s[6:7]
	s_cbranch_execz .LBB61_556
; %bb.547:
	s_andn2_b64 vcc, exec, s[8:9]
	s_cbranch_vccnz .LBB61_549
; %bb.548:
	buffer_load_dword v131, v127, s[0:3], 0 offen
	ds_read_b32 v132, v126
	s_waitcnt vmcnt(0) lgkmcnt(0)
	v_mul_f32_e32 v131, v131, v132
	s_cbranch_execz .LBB61_550
	s_branch .LBB61_551
.LBB61_549:
                                        ; implicit-def: $vgpr131
.LBB61_550:
	ds_read_b32 v131, v126
.LBB61_551:
	s_and_saveexec_b64 s[12:13], s[4:5]
	s_cbranch_execz .LBB61_555
; %bb.552:
	v_add_u32_e32 v132, -6, v0
	s_movk_i32 s14, 0x118
	s_mov_b64 s[4:5], 0
.LBB61_553:                             ; =>This Inner Loop Header: Depth=1
	buffer_load_dword v133, v130, s[0:3], 0 offen
	v_mov_b32_e32 v134, s14
	ds_read_b32 v134, v134
	v_add_u32_e32 v132, -1, v132
	s_add_i32 s14, s14, 4
	v_cmp_eq_u32_e32 vcc, 0, v132
	v_add_u32_e32 v130, 4, v130
	s_or_b64 s[4:5], vcc, s[4:5]
	s_waitcnt vmcnt(0) lgkmcnt(0)
	v_fmac_f32_e32 v131, v133, v134
	s_andn2_b64 exec, exec, s[4:5]
	s_cbranch_execnz .LBB61_553
; %bb.554:
	s_or_b64 exec, exec, s[4:5]
.LBB61_555:
	s_or_b64 exec, exec, s[12:13]
	v_mov_b32_e32 v130, 0
	ds_read_b32 v130, v130 offset:20
	s_waitcnt lgkmcnt(0)
	v_mul_f32_e32 v130, v131, v130
	buffer_store_dword v130, off, s[0:3], 0 offset:20
.LBB61_556:
	s_or_b64 exec, exec, s[10:11]
	buffer_load_dword v130, off, s[0:3], 0 offset:16
	v_cmp_lt_u32_e64 s[4:5], 4, v0
	s_waitcnt vmcnt(0)
	ds_write_b32 v126, v130
	s_waitcnt lgkmcnt(0)
	; wave barrier
	s_waitcnt lgkmcnt(0)
	s_and_saveexec_b64 s[10:11], s[4:5]
	s_cbranch_execz .LBB61_566
; %bb.557:
	s_andn2_b64 vcc, exec, s[8:9]
	s_cbranch_vccnz .LBB61_559
; %bb.558:
	buffer_load_dword v130, v127, s[0:3], 0 offen
	ds_read_b32 v131, v126
	s_waitcnt vmcnt(0) lgkmcnt(0)
	v_mul_f32_e32 v130, v130, v131
	s_cbranch_execz .LBB61_560
	s_branch .LBB61_561
.LBB61_559:
                                        ; implicit-def: $vgpr130
.LBB61_560:
	ds_read_b32 v130, v126
.LBB61_561:
	s_and_saveexec_b64 s[12:13], s[6:7]
	s_cbranch_execz .LBB61_565
; %bb.562:
	v_mov_b32_e32 v131, 0
	v_add_u32_e32 v131, 20, v131
	v_add_u32_e32 v132, -5, v0
	s_movk_i32 s14, 0x114
	s_mov_b64 s[6:7], 0
.LBB61_563:                             ; =>This Inner Loop Header: Depth=1
	buffer_load_dword v133, v131, s[0:3], 0 offen
	v_mov_b32_e32 v134, s14
	ds_read_b32 v134, v134
	v_add_u32_e32 v132, -1, v132
	s_add_i32 s14, s14, 4
	v_cmp_eq_u32_e32 vcc, 0, v132
	v_add_u32_e32 v131, 4, v131
	s_or_b64 s[6:7], vcc, s[6:7]
	s_waitcnt vmcnt(0) lgkmcnt(0)
	v_fmac_f32_e32 v130, v133, v134
	s_andn2_b64 exec, exec, s[6:7]
	s_cbranch_execnz .LBB61_563
; %bb.564:
	s_or_b64 exec, exec, s[6:7]
.LBB61_565:
	s_or_b64 exec, exec, s[12:13]
	v_mov_b32_e32 v131, 0
	ds_read_b32 v131, v131 offset:16
	s_waitcnt lgkmcnt(0)
	v_mul_f32_e32 v130, v130, v131
	buffer_store_dword v130, off, s[0:3], 0 offset:16
.LBB61_566:
	s_or_b64 exec, exec, s[10:11]
	buffer_load_dword v130, off, s[0:3], 0 offset:12
	v_cmp_lt_u32_e64 s[6:7], 3, v0
	s_waitcnt vmcnt(0)
	ds_write_b32 v126, v130
	s_waitcnt lgkmcnt(0)
	; wave barrier
	s_waitcnt lgkmcnt(0)
	s_and_saveexec_b64 s[10:11], s[6:7]
	s_cbranch_execz .LBB61_576
; %bb.567:
	s_andn2_b64 vcc, exec, s[8:9]
	s_cbranch_vccnz .LBB61_569
; %bb.568:
	buffer_load_dword v130, v127, s[0:3], 0 offen
	ds_read_b32 v131, v126
	s_waitcnt vmcnt(0) lgkmcnt(0)
	v_mul_f32_e32 v130, v130, v131
	s_cbranch_execz .LBB61_570
	s_branch .LBB61_571
.LBB61_569:
                                        ; implicit-def: $vgpr130
.LBB61_570:
	ds_read_b32 v130, v126
.LBB61_571:
	s_and_saveexec_b64 s[12:13], s[4:5]
	s_cbranch_execz .LBB61_575
; %bb.572:
	v_add_u32_e32 v131, -4, v0
	s_movk_i32 s14, 0x110
	s_mov_b64 s[4:5], 0
.LBB61_573:                             ; =>This Inner Loop Header: Depth=1
	buffer_load_dword v132, v129, s[0:3], 0 offen
	v_mov_b32_e32 v133, s14
	ds_read_b32 v133, v133
	v_add_u32_e32 v131, -1, v131
	s_add_i32 s14, s14, 4
	v_cmp_eq_u32_e32 vcc, 0, v131
	v_add_u32_e32 v129, 4, v129
	s_or_b64 s[4:5], vcc, s[4:5]
	s_waitcnt vmcnt(0) lgkmcnt(0)
	v_fmac_f32_e32 v130, v132, v133
	s_andn2_b64 exec, exec, s[4:5]
	s_cbranch_execnz .LBB61_573
; %bb.574:
	s_or_b64 exec, exec, s[4:5]
.LBB61_575:
	s_or_b64 exec, exec, s[12:13]
	v_mov_b32_e32 v129, 0
	ds_read_b32 v129, v129 offset:12
	s_waitcnt lgkmcnt(0)
	v_mul_f32_e32 v129, v130, v129
	buffer_store_dword v129, off, s[0:3], 0 offset:12
.LBB61_576:
	s_or_b64 exec, exec, s[10:11]
	buffer_load_dword v129, off, s[0:3], 0 offset:8
	v_cmp_lt_u32_e64 s[4:5], 2, v0
	s_waitcnt vmcnt(0)
	ds_write_b32 v126, v129
	s_waitcnt lgkmcnt(0)
	; wave barrier
	s_waitcnt lgkmcnt(0)
	s_and_saveexec_b64 s[10:11], s[4:5]
	s_cbranch_execz .LBB61_586
; %bb.577:
	s_andn2_b64 vcc, exec, s[8:9]
	s_cbranch_vccnz .LBB61_579
; %bb.578:
	buffer_load_dword v129, v127, s[0:3], 0 offen
	ds_read_b32 v130, v126
	s_waitcnt vmcnt(0) lgkmcnt(0)
	v_mul_f32_e32 v129, v129, v130
	s_cbranch_execz .LBB61_580
	s_branch .LBB61_581
.LBB61_579:
                                        ; implicit-def: $vgpr129
.LBB61_580:
	ds_read_b32 v129, v126
.LBB61_581:
	s_and_saveexec_b64 s[12:13], s[6:7]
	s_cbranch_execz .LBB61_585
; %bb.582:
	v_mov_b32_e32 v130, 0
	v_or_b32_e32 v130, 12, v130
	v_add_u32_e32 v131, -3, v0
	s_movk_i32 s14, 0x10c
	s_mov_b64 s[6:7], 0
.LBB61_583:                             ; =>This Inner Loop Header: Depth=1
	buffer_load_dword v132, v130, s[0:3], 0 offen
	v_mov_b32_e32 v133, s14
	ds_read_b32 v133, v133
	v_add_u32_e32 v131, -1, v131
	s_add_i32 s14, s14, 4
	v_cmp_eq_u32_e32 vcc, 0, v131
	v_add_u32_e32 v130, 4, v130
	s_or_b64 s[6:7], vcc, s[6:7]
	s_waitcnt vmcnt(0) lgkmcnt(0)
	v_fmac_f32_e32 v129, v132, v133
	s_andn2_b64 exec, exec, s[6:7]
	s_cbranch_execnz .LBB61_583
; %bb.584:
	s_or_b64 exec, exec, s[6:7]
.LBB61_585:
	s_or_b64 exec, exec, s[12:13]
	v_mov_b32_e32 v130, 0
	ds_read_b32 v130, v130 offset:8
	s_waitcnt lgkmcnt(0)
	v_mul_f32_e32 v129, v129, v130
	buffer_store_dword v129, off, s[0:3], 0 offset:8
.LBB61_586:
	s_or_b64 exec, exec, s[10:11]
	buffer_load_dword v129, off, s[0:3], 0 offset:4
	v_cmp_lt_u32_e64 s[6:7], 1, v0
	s_waitcnt vmcnt(0)
	ds_write_b32 v126, v129
	s_waitcnt lgkmcnt(0)
	; wave barrier
	s_waitcnt lgkmcnt(0)
	s_and_saveexec_b64 s[10:11], s[6:7]
	s_cbranch_execz .LBB61_596
; %bb.587:
	s_andn2_b64 vcc, exec, s[8:9]
	s_cbranch_vccnz .LBB61_589
; %bb.588:
	buffer_load_dword v129, v127, s[0:3], 0 offen
	ds_read_b32 v130, v126
	s_waitcnt vmcnt(0) lgkmcnt(0)
	v_mul_f32_e32 v129, v129, v130
	s_cbranch_execz .LBB61_590
	s_branch .LBB61_591
.LBB61_589:
                                        ; implicit-def: $vgpr129
.LBB61_590:
	ds_read_b32 v129, v126
.LBB61_591:
	s_and_saveexec_b64 s[12:13], s[4:5]
	s_cbranch_execz .LBB61_595
; %bb.592:
	v_add_u32_e32 v130, -2, v0
	s_movk_i32 s14, 0x108
	s_mov_b64 s[4:5], 0
.LBB61_593:                             ; =>This Inner Loop Header: Depth=1
	buffer_load_dword v131, v128, s[0:3], 0 offen
	v_mov_b32_e32 v132, s14
	ds_read_b32 v132, v132
	v_add_u32_e32 v130, -1, v130
	s_add_i32 s14, s14, 4
	v_cmp_eq_u32_e32 vcc, 0, v130
	v_add_u32_e32 v128, 4, v128
	s_or_b64 s[4:5], vcc, s[4:5]
	s_waitcnt vmcnt(0) lgkmcnt(0)
	v_fmac_f32_e32 v129, v131, v132
	s_andn2_b64 exec, exec, s[4:5]
	s_cbranch_execnz .LBB61_593
; %bb.594:
	s_or_b64 exec, exec, s[4:5]
.LBB61_595:
	s_or_b64 exec, exec, s[12:13]
	v_mov_b32_e32 v128, 0
	ds_read_b32 v128, v128 offset:4
	s_waitcnt lgkmcnt(0)
	v_mul_f32_e32 v128, v129, v128
	buffer_store_dword v128, off, s[0:3], 0 offset:4
.LBB61_596:
	s_or_b64 exec, exec, s[10:11]
	buffer_load_dword v128, off, s[0:3], 0
	v_cmp_ne_u32_e32 vcc, 0, v0
	s_waitcnt vmcnt(0)
	ds_write_b32 v126, v128
	s_waitcnt lgkmcnt(0)
	; wave barrier
	s_waitcnt lgkmcnt(0)
	s_and_saveexec_b64 s[4:5], vcc
	s_cbranch_execz .LBB61_606
; %bb.597:
	s_andn2_b64 vcc, exec, s[8:9]
	s_cbranch_vccnz .LBB61_599
; %bb.598:
	buffer_load_dword v128, v127, s[0:3], 0 offen
	ds_read_b32 v129, v126
	s_waitcnt vmcnt(0) lgkmcnt(0)
	v_mul_f32_e32 v128, v128, v129
	s_cbranch_execz .LBB61_600
	s_branch .LBB61_601
.LBB61_599:
                                        ; implicit-def: $vgpr128
.LBB61_600:
	ds_read_b32 v128, v126
.LBB61_601:
	s_and_saveexec_b64 s[10:11], s[6:7]
	s_cbranch_execz .LBB61_605
; %bb.602:
	v_mov_b32_e32 v129, 0
	v_or_b32_e32 v129, 4, v129
	v_add_u32_e32 v130, -1, v0
	s_movk_i32 s12, 0x104
	s_mov_b64 s[6:7], 0
.LBB61_603:                             ; =>This Inner Loop Header: Depth=1
	buffer_load_dword v131, v129, s[0:3], 0 offen
	v_mov_b32_e32 v132, s12
	ds_read_b32 v132, v132
	v_add_u32_e32 v130, -1, v130
	s_add_i32 s12, s12, 4
	v_cmp_eq_u32_e32 vcc, 0, v130
	v_add_u32_e32 v129, 4, v129
	s_or_b64 s[6:7], vcc, s[6:7]
	s_waitcnt vmcnt(0) lgkmcnt(0)
	v_fmac_f32_e32 v128, v131, v132
	s_andn2_b64 exec, exec, s[6:7]
	s_cbranch_execnz .LBB61_603
; %bb.604:
	s_or_b64 exec, exec, s[6:7]
.LBB61_605:
	s_or_b64 exec, exec, s[10:11]
	v_mov_b32_e32 v129, 0
	ds_read_b32 v129, v129
	s_waitcnt lgkmcnt(0)
	v_mul_f32_e32 v128, v128, v129
	buffer_store_dword v128, off, s[0:3], 0
.LBB61_606:
	s_or_b64 exec, exec, s[4:5]
	s_mov_b64 s[4:5], 0
.LBB61_607:
	s_and_b64 vcc, exec, s[4:5]
	s_cbranch_vccz .LBB61_1211
; %bb.608:
	buffer_load_dword v128, off, s[0:3], 0 offset:4
	v_cmp_eq_u32_e64 s[6:7], 0, v0
	s_waitcnt vmcnt(0)
	ds_write_b32 v126, v128
	s_waitcnt lgkmcnt(0)
	; wave barrier
	s_waitcnt lgkmcnt(0)
	s_and_saveexec_b64 s[4:5], s[6:7]
	s_cbranch_execz .LBB61_614
; %bb.609:
	s_and_b64 vcc, exec, s[8:9]
	s_cbranch_vccz .LBB61_611
; %bb.610:
	buffer_load_dword v128, v127, s[0:3], 0 offen
	ds_read_b32 v129, v126
	s_waitcnt vmcnt(0) lgkmcnt(0)
	v_mul_f32_e32 v128, v128, v129
	s_cbranch_execz .LBB61_612
	s_branch .LBB61_613
.LBB61_611:
                                        ; implicit-def: $vgpr128
.LBB61_612:
	ds_read_b32 v128, v126
.LBB61_613:
	v_mov_b32_e32 v129, 0
	ds_read_b32 v129, v129 offset:4
	s_waitcnt lgkmcnt(0)
	v_mul_f32_e32 v128, v128, v129
	buffer_store_dword v128, off, s[0:3], 0 offset:4
.LBB61_614:
	s_or_b64 exec, exec, s[4:5]
	buffer_load_dword v128, off, s[0:3], 0 offset:8
	v_cndmask_b32_e64 v129, 0, 1, s[8:9]
	v_cmp_gt_u32_e32 vcc, 2, v0
	v_cmp_ne_u32_e64 s[4:5], 1, v129
	s_waitcnt vmcnt(0)
	ds_write_b32 v126, v128
	s_waitcnt lgkmcnt(0)
	; wave barrier
	s_waitcnt lgkmcnt(0)
	s_and_saveexec_b64 s[8:9], vcc
	s_cbranch_execz .LBB61_622
; %bb.615:
	s_and_b64 vcc, exec, s[4:5]
	s_cbranch_vccnz .LBB61_617
; %bb.616:
	buffer_load_dword v128, v127, s[0:3], 0 offen
	ds_read_b32 v129, v126
	s_waitcnt vmcnt(0) lgkmcnt(0)
	v_mul_f32_e32 v128, v128, v129
	s_cbranch_execz .LBB61_618
	s_branch .LBB61_619
.LBB61_617:
                                        ; implicit-def: $vgpr128
.LBB61_618:
	ds_read_b32 v128, v126
.LBB61_619:
	s_and_saveexec_b64 s[10:11], s[6:7]
	s_cbranch_execz .LBB61_621
; %bb.620:
	buffer_load_dword v129, v127, s[0:3], 0 offen offset:4
	ds_read_b32 v130, v126 offset:4
	s_waitcnt vmcnt(0) lgkmcnt(0)
	v_fmac_f32_e32 v128, v129, v130
.LBB61_621:
	s_or_b64 exec, exec, s[10:11]
	v_mov_b32_e32 v129, 0
	ds_read_b32 v129, v129 offset:8
	s_waitcnt lgkmcnt(0)
	v_mul_f32_e32 v128, v128, v129
	buffer_store_dword v128, off, s[0:3], 0 offset:8
.LBB61_622:
	s_or_b64 exec, exec, s[8:9]
	buffer_load_dword v128, off, s[0:3], 0 offset:12
	v_cmp_gt_u32_e32 vcc, 3, v0
	s_waitcnt vmcnt(0)
	ds_write_b32 v126, v128
	s_waitcnt lgkmcnt(0)
	; wave barrier
	s_waitcnt lgkmcnt(0)
	s_and_saveexec_b64 s[8:9], vcc
	s_cbranch_execz .LBB61_630
; %bb.623:
	s_and_b64 vcc, exec, s[4:5]
	s_cbranch_vccnz .LBB61_625
; %bb.624:
	buffer_load_dword v128, v127, s[0:3], 0 offen
	ds_read_b32 v129, v126
	s_waitcnt vmcnt(0) lgkmcnt(0)
	v_mul_f32_e32 v128, v128, v129
	s_cbranch_execz .LBB61_626
	s_branch .LBB61_627
.LBB61_625:
                                        ; implicit-def: $vgpr128
.LBB61_626:
	ds_read_b32 v128, v126
.LBB61_627:
	v_cmp_ne_u32_e32 vcc, 2, v0
	s_and_saveexec_b64 s[10:11], vcc
	s_cbranch_execz .LBB61_629
; %bb.628:
	buffer_load_dword v129, v127, s[0:3], 0 offen offset:4
	buffer_load_dword v130, off, s[0:3], 0 offset:8
	v_mov_b32_e32 v131, 0
	ds_read_b32 v132, v126 offset:4
	ds_read_b32 v131, v131 offset:264
	s_waitcnt vmcnt(1) lgkmcnt(1)
	v_fmac_f32_e32 v128, v129, v132
	s_waitcnt vmcnt(0) lgkmcnt(0)
	v_fma_f32 v129, v130, v131, v128
	v_cndmask_b32_e64 v128, v128, v129, s[6:7]
.LBB61_629:
	s_or_b64 exec, exec, s[10:11]
	v_mov_b32_e32 v129, 0
	ds_read_b32 v129, v129 offset:12
	s_waitcnt lgkmcnt(0)
	v_mul_f32_e32 v128, v128, v129
	buffer_store_dword v128, off, s[0:3], 0 offset:12
.LBB61_630:
	s_or_b64 exec, exec, s[8:9]
	buffer_load_dword v128, off, s[0:3], 0 offset:16
	v_cmp_gt_u32_e32 vcc, 4, v0
	s_waitcnt vmcnt(0)
	ds_write_b32 v126, v128
	s_waitcnt lgkmcnt(0)
	; wave barrier
	s_waitcnt lgkmcnt(0)
	s_and_saveexec_b64 s[6:7], vcc
	s_cbranch_execz .LBB61_640
; %bb.631:
	s_and_b64 vcc, exec, s[4:5]
	s_cbranch_vccnz .LBB61_633
; %bb.632:
	buffer_load_dword v128, v127, s[0:3], 0 offen
	ds_read_b32 v129, v126
	s_waitcnt vmcnt(0) lgkmcnt(0)
	v_mul_f32_e32 v128, v128, v129
	s_cbranch_execz .LBB61_634
	s_branch .LBB61_635
.LBB61_633:
                                        ; implicit-def: $vgpr128
.LBB61_634:
	ds_read_b32 v128, v126
.LBB61_635:
	v_cmp_ne_u32_e32 vcc, 3, v0
	s_and_saveexec_b64 s[8:9], vcc
	s_cbranch_execz .LBB61_639
; %bb.636:
	v_mov_b32_e32 v130, 0
	v_add_u32_e32 v129, 0x104, v1
	v_add3_u32 v130, v1, v130, 4
	s_mov_b64 s[10:11], 0
	v_mov_b32_e32 v131, v0
.LBB61_637:                             ; =>This Inner Loop Header: Depth=1
	buffer_load_dword v132, v130, s[0:3], 0 offen
	ds_read_b32 v133, v129
	v_add_u32_e32 v131, 1, v131
	v_cmp_lt_u32_e32 vcc, 2, v131
	v_add_u32_e32 v129, 4, v129
	v_add_u32_e32 v130, 4, v130
	s_or_b64 s[10:11], vcc, s[10:11]
	s_waitcnt vmcnt(0) lgkmcnt(0)
	v_fmac_f32_e32 v128, v132, v133
	s_andn2_b64 exec, exec, s[10:11]
	s_cbranch_execnz .LBB61_637
; %bb.638:
	s_or_b64 exec, exec, s[10:11]
.LBB61_639:
	s_or_b64 exec, exec, s[8:9]
	v_mov_b32_e32 v129, 0
	ds_read_b32 v129, v129 offset:16
	s_waitcnt lgkmcnt(0)
	v_mul_f32_e32 v128, v128, v129
	buffer_store_dword v128, off, s[0:3], 0 offset:16
.LBB61_640:
	s_or_b64 exec, exec, s[6:7]
	buffer_load_dword v128, off, s[0:3], 0 offset:20
	v_cmp_gt_u32_e32 vcc, 5, v0
	s_waitcnt vmcnt(0)
	ds_write_b32 v126, v128
	s_waitcnt lgkmcnt(0)
	; wave barrier
	s_waitcnt lgkmcnt(0)
	s_and_saveexec_b64 s[6:7], vcc
	s_cbranch_execz .LBB61_650
; %bb.641:
	s_and_b64 vcc, exec, s[4:5]
	s_cbranch_vccnz .LBB61_643
; %bb.642:
	buffer_load_dword v128, v127, s[0:3], 0 offen
	ds_read_b32 v129, v126
	s_waitcnt vmcnt(0) lgkmcnt(0)
	v_mul_f32_e32 v128, v128, v129
	s_cbranch_execz .LBB61_644
	s_branch .LBB61_645
.LBB61_643:
                                        ; implicit-def: $vgpr128
.LBB61_644:
	ds_read_b32 v128, v126
.LBB61_645:
	v_cmp_ne_u32_e32 vcc, 4, v0
	s_and_saveexec_b64 s[8:9], vcc
	s_cbranch_execz .LBB61_649
; %bb.646:
	v_mov_b32_e32 v130, 0
	v_add_u32_e32 v129, 0x104, v1
	v_add3_u32 v130, v1, v130, 4
	s_mov_b64 s[10:11], 0
	v_mov_b32_e32 v131, v0
.LBB61_647:                             ; =>This Inner Loop Header: Depth=1
	buffer_load_dword v132, v130, s[0:3], 0 offen
	ds_read_b32 v133, v129
	v_add_u32_e32 v131, 1, v131
	v_cmp_lt_u32_e32 vcc, 3, v131
	v_add_u32_e32 v129, 4, v129
	v_add_u32_e32 v130, 4, v130
	s_or_b64 s[10:11], vcc, s[10:11]
	s_waitcnt vmcnt(0) lgkmcnt(0)
	v_fmac_f32_e32 v128, v132, v133
	s_andn2_b64 exec, exec, s[10:11]
	s_cbranch_execnz .LBB61_647
; %bb.648:
	s_or_b64 exec, exec, s[10:11]
.LBB61_649:
	s_or_b64 exec, exec, s[8:9]
	v_mov_b32_e32 v129, 0
	ds_read_b32 v129, v129 offset:20
	s_waitcnt lgkmcnt(0)
	v_mul_f32_e32 v128, v128, v129
	buffer_store_dword v128, off, s[0:3], 0 offset:20
.LBB61_650:
	;; [unrolled: 56-line block ×37, first 2 shown]
	s_or_b64 exec, exec, s[6:7]
	buffer_load_dword v128, off, s[0:3], 0 offset:164
	v_cmp_gt_u32_e32 vcc, 41, v0
	s_waitcnt vmcnt(0)
	ds_write_b32 v126, v128
	s_waitcnt lgkmcnt(0)
	; wave barrier
	s_waitcnt lgkmcnt(0)
	s_and_saveexec_b64 s[6:7], vcc
	s_cbranch_execz .LBB61_1010
; %bb.1001:
	s_and_b64 vcc, exec, s[4:5]
	s_cbranch_vccnz .LBB61_1003
; %bb.1002:
	buffer_load_dword v128, v127, s[0:3], 0 offen
	ds_read_b32 v129, v126
	s_waitcnt vmcnt(0) lgkmcnt(0)
	v_mul_f32_e32 v128, v128, v129
	s_cbranch_execz .LBB61_1004
	s_branch .LBB61_1005
.LBB61_1003:
                                        ; implicit-def: $vgpr128
.LBB61_1004:
	ds_read_b32 v128, v126
.LBB61_1005:
	v_cmp_ne_u32_e32 vcc, 40, v0
	s_and_saveexec_b64 s[8:9], vcc
	s_cbranch_execz .LBB61_1009
; %bb.1006:
	v_mov_b32_e32 v130, 0
	v_add_u32_e32 v129, 0x104, v1
	v_add3_u32 v130, v1, v130, 4
	s_mov_b64 s[10:11], 0
	v_mov_b32_e32 v131, v0
.LBB61_1007:                            ; =>This Inner Loop Header: Depth=1
	buffer_load_dword v132, v130, s[0:3], 0 offen
	ds_read_b32 v133, v129
	v_add_u32_e32 v131, 1, v131
	v_cmp_lt_u32_e32 vcc, 39, v131
	v_add_u32_e32 v129, 4, v129
	v_add_u32_e32 v130, 4, v130
	s_or_b64 s[10:11], vcc, s[10:11]
	s_waitcnt vmcnt(0) lgkmcnt(0)
	v_fmac_f32_e32 v128, v132, v133
	s_andn2_b64 exec, exec, s[10:11]
	s_cbranch_execnz .LBB61_1007
; %bb.1008:
	s_or_b64 exec, exec, s[10:11]
.LBB61_1009:
	s_or_b64 exec, exec, s[8:9]
	v_mov_b32_e32 v129, 0
	ds_read_b32 v129, v129 offset:164
	s_waitcnt lgkmcnt(0)
	v_mul_f32_e32 v128, v128, v129
	buffer_store_dword v128, off, s[0:3], 0 offset:164
.LBB61_1010:
	s_or_b64 exec, exec, s[6:7]
	buffer_load_dword v128, off, s[0:3], 0 offset:168
	v_cmp_gt_u32_e32 vcc, 42, v0
	s_waitcnt vmcnt(0)
	ds_write_b32 v126, v128
	s_waitcnt lgkmcnt(0)
	; wave barrier
	s_waitcnt lgkmcnt(0)
	s_and_saveexec_b64 s[6:7], vcc
	s_cbranch_execz .LBB61_1020
; %bb.1011:
	s_and_b64 vcc, exec, s[4:5]
	s_cbranch_vccnz .LBB61_1013
; %bb.1012:
	buffer_load_dword v128, v127, s[0:3], 0 offen
	ds_read_b32 v129, v126
	s_waitcnt vmcnt(0) lgkmcnt(0)
	v_mul_f32_e32 v128, v128, v129
	s_cbranch_execz .LBB61_1014
	s_branch .LBB61_1015
.LBB61_1013:
                                        ; implicit-def: $vgpr128
.LBB61_1014:
	ds_read_b32 v128, v126
.LBB61_1015:
	v_cmp_ne_u32_e32 vcc, 41, v0
	s_and_saveexec_b64 s[8:9], vcc
	s_cbranch_execz .LBB61_1019
; %bb.1016:
	v_mov_b32_e32 v130, 0
	v_add_u32_e32 v129, 0x104, v1
	v_add3_u32 v130, v1, v130, 4
	s_mov_b64 s[10:11], 0
	v_mov_b32_e32 v131, v0
.LBB61_1017:                            ; =>This Inner Loop Header: Depth=1
	buffer_load_dword v132, v130, s[0:3], 0 offen
	ds_read_b32 v133, v129
	v_add_u32_e32 v131, 1, v131
	v_cmp_lt_u32_e32 vcc, 40, v131
	v_add_u32_e32 v129, 4, v129
	v_add_u32_e32 v130, 4, v130
	s_or_b64 s[10:11], vcc, s[10:11]
	s_waitcnt vmcnt(0) lgkmcnt(0)
	v_fmac_f32_e32 v128, v132, v133
	s_andn2_b64 exec, exec, s[10:11]
	s_cbranch_execnz .LBB61_1017
; %bb.1018:
	s_or_b64 exec, exec, s[10:11]
.LBB61_1019:
	s_or_b64 exec, exec, s[8:9]
	v_mov_b32_e32 v129, 0
	ds_read_b32 v129, v129 offset:168
	s_waitcnt lgkmcnt(0)
	v_mul_f32_e32 v128, v128, v129
	buffer_store_dword v128, off, s[0:3], 0 offset:168
.LBB61_1020:
	;; [unrolled: 56-line block ×19, first 2 shown]
	s_or_b64 exec, exec, s[6:7]
	buffer_load_dword v128, off, s[0:3], 0 offset:240
	v_cmp_gt_u32_e64 s[6:7], 60, v0
	s_waitcnt vmcnt(0)
	ds_write_b32 v126, v128
	s_waitcnt lgkmcnt(0)
	; wave barrier
	s_waitcnt lgkmcnt(0)
	s_and_saveexec_b64 s[8:9], s[6:7]
	s_cbranch_execz .LBB61_1200
; %bb.1191:
	s_and_b64 vcc, exec, s[4:5]
	s_cbranch_vccnz .LBB61_1193
; %bb.1192:
	buffer_load_dword v128, v127, s[0:3], 0 offen
	ds_read_b32 v129, v126
	s_waitcnt vmcnt(0) lgkmcnt(0)
	v_mul_f32_e32 v128, v128, v129
	s_cbranch_execz .LBB61_1194
	s_branch .LBB61_1195
.LBB61_1193:
                                        ; implicit-def: $vgpr128
.LBB61_1194:
	ds_read_b32 v128, v126
.LBB61_1195:
	v_cmp_ne_u32_e32 vcc, 59, v0
	s_and_saveexec_b64 s[10:11], vcc
	s_cbranch_execz .LBB61_1199
; %bb.1196:
	v_mov_b32_e32 v130, 0
	v_add_u32_e32 v129, 0x104, v1
	v_add3_u32 v130, v1, v130, 4
	s_mov_b64 s[12:13], 0
	v_mov_b32_e32 v131, v0
.LBB61_1197:                            ; =>This Inner Loop Header: Depth=1
	buffer_load_dword v132, v130, s[0:3], 0 offen
	ds_read_b32 v133, v129
	v_add_u32_e32 v131, 1, v131
	v_cmp_lt_u32_e32 vcc, 58, v131
	v_add_u32_e32 v129, 4, v129
	v_add_u32_e32 v130, 4, v130
	s_or_b64 s[12:13], vcc, s[12:13]
	s_waitcnt vmcnt(0) lgkmcnt(0)
	v_fmac_f32_e32 v128, v132, v133
	s_andn2_b64 exec, exec, s[12:13]
	s_cbranch_execnz .LBB61_1197
; %bb.1198:
	s_or_b64 exec, exec, s[12:13]
.LBB61_1199:
	s_or_b64 exec, exec, s[10:11]
	v_mov_b32_e32 v129, 0
	ds_read_b32 v129, v129 offset:240
	s_waitcnt lgkmcnt(0)
	v_mul_f32_e32 v128, v128, v129
	buffer_store_dword v128, off, s[0:3], 0 offset:240
.LBB61_1200:
	s_or_b64 exec, exec, s[8:9]
	buffer_load_dword v128, off, s[0:3], 0 offset:244
	v_cmp_ne_u32_e32 vcc, 61, v0
	s_waitcnt vmcnt(0)
	ds_write_b32 v126, v128
	s_waitcnt lgkmcnt(0)
	; wave barrier
	s_waitcnt lgkmcnt(0)
	s_and_saveexec_b64 s[8:9], vcc
	s_cbranch_execz .LBB61_1210
; %bb.1201:
	s_and_b64 vcc, exec, s[4:5]
	s_cbranch_vccnz .LBB61_1203
; %bb.1202:
	buffer_load_dword v127, v127, s[0:3], 0 offen
	ds_read_b32 v128, v126
	s_waitcnt vmcnt(0) lgkmcnt(0)
	v_mul_f32_e32 v127, v127, v128
	s_cbranch_execz .LBB61_1204
	s_branch .LBB61_1205
.LBB61_1203:
                                        ; implicit-def: $vgpr127
.LBB61_1204:
	ds_read_b32 v127, v126
.LBB61_1205:
	s_and_saveexec_b64 s[4:5], s[6:7]
	s_cbranch_execz .LBB61_1209
; %bb.1206:
	v_mov_b32_e32 v128, 0
	v_add_u32_e32 v126, 0x104, v1
	v_add3_u32 v1, v1, v128, 4
	s_mov_b64 s[6:7], 0
.LBB61_1207:                            ; =>This Inner Loop Header: Depth=1
	buffer_load_dword v128, v1, s[0:3], 0 offen
	ds_read_b32 v129, v126
	v_add_u32_e32 v0, 1, v0
	v_cmp_lt_u32_e32 vcc, 59, v0
	v_add_u32_e32 v126, 4, v126
	v_add_u32_e32 v1, 4, v1
	s_or_b64 s[6:7], vcc, s[6:7]
	s_waitcnt vmcnt(0) lgkmcnt(0)
	v_fmac_f32_e32 v127, v128, v129
	s_andn2_b64 exec, exec, s[6:7]
	s_cbranch_execnz .LBB61_1207
; %bb.1208:
	s_or_b64 exec, exec, s[6:7]
.LBB61_1209:
	s_or_b64 exec, exec, s[4:5]
	v_mov_b32_e32 v0, 0
	ds_read_b32 v0, v0 offset:244
	s_waitcnt lgkmcnt(0)
	v_mul_f32_e32 v0, v127, v0
	buffer_store_dword v0, off, s[0:3], 0 offset:244
.LBB61_1210:
	s_or_b64 exec, exec, s[8:9]
.LBB61_1211:
	buffer_load_dword v0, off, s[0:3], 0
	buffer_load_dword v1, off, s[0:3], 0 offset:4
	buffer_load_dword v126, off, s[0:3], 0 offset:8
	;; [unrolled: 1-line block ×39, first 2 shown]
	s_waitcnt vmcnt(39)
	global_store_dword v[114:115], v0, off
	s_waitcnt vmcnt(39)
	global_store_dword v[116:117], v1, off
	;; [unrolled: 2-line block ×3, first 2 shown]
	buffer_load_dword v0, off, s[0:3], 0 offset:160
	buffer_load_dword v1, off, s[0:3], 0 offset:164
	s_nop 0
	buffer_load_dword v4, off, s[0:3], 0 offset:168
	buffer_load_dword v5, off, s[0:3], 0 offset:172
	;; [unrolled: 1-line block ×6, first 2 shown]
	s_waitcnt vmcnt(47)
	global_store_dword v[2:3], v127, off
	s_waitcnt vmcnt(47)
	global_store_dword v[6:7], v128, off
	;; [unrolled: 2-line block ×3, first 2 shown]
	buffer_load_dword v2, off, s[0:3], 0 offset:192
	buffer_load_dword v3, off, s[0:3], 0 offset:196
	;; [unrolled: 1-line block ×4, first 2 shown]
	s_nop 0
	buffer_load_dword v10, off, s[0:3], 0 offset:208
	buffer_load_dword v11, off, s[0:3], 0 offset:212
	;; [unrolled: 1-line block ×4, first 2 shown]
	s_waitcnt vmcnt(55)
	global_store_dword v[8:9], v130, off
	s_waitcnt vmcnt(55)
	global_store_dword v[12:13], v131, off
	buffer_load_dword v8, off, s[0:3], 0 offset:224
	buffer_load_dword v9, off, s[0:3], 0 offset:228
	s_nop 0
	buffer_load_dword v12, off, s[0:3], 0 offset:232
	buffer_load_dword v13, off, s[0:3], 0 offset:236
	;; [unrolled: 1-line block ×4, first 2 shown]
	s_waitcnt vmcnt(61)
	global_store_dword v[14:15], v132, off
	s_waitcnt vmcnt(61)
	global_store_dword v[16:17], v133, off
	;; [unrolled: 2-line block ×54, first 2 shown]
.LBB61_1212:
	s_endpgm
	.section	.rodata,"a",@progbits
	.p2align	6, 0x0
	.amdhsa_kernel _ZN9rocsolver6v33100L18trti2_kernel_smallILi62EfPfEEv13rocblas_fill_17rocblas_diagonal_T1_iil
		.amdhsa_group_segment_fixed_size 504
		.amdhsa_private_segment_fixed_size 256
		.amdhsa_kernarg_size 32
		.amdhsa_user_sgpr_count 8
		.amdhsa_user_sgpr_private_segment_buffer 1
		.amdhsa_user_sgpr_dispatch_ptr 0
		.amdhsa_user_sgpr_queue_ptr 0
		.amdhsa_user_sgpr_kernarg_segment_ptr 1
		.amdhsa_user_sgpr_dispatch_id 0
		.amdhsa_user_sgpr_flat_scratch_init 1
		.amdhsa_user_sgpr_kernarg_preload_length 0
		.amdhsa_user_sgpr_kernarg_preload_offset 0
		.amdhsa_user_sgpr_private_segment_size 0
		.amdhsa_uses_dynamic_stack 0
		.amdhsa_system_sgpr_private_segment_wavefront_offset 1
		.amdhsa_system_sgpr_workgroup_id_x 1
		.amdhsa_system_sgpr_workgroup_id_y 0
		.amdhsa_system_sgpr_workgroup_id_z 0
		.amdhsa_system_sgpr_workgroup_info 0
		.amdhsa_system_vgpr_workitem_id 0
		.amdhsa_next_free_vgpr 164
		.amdhsa_next_free_sgpr 20
		.amdhsa_accum_offset 164
		.amdhsa_reserve_vcc 1
		.amdhsa_reserve_flat_scratch 0
		.amdhsa_float_round_mode_32 0
		.amdhsa_float_round_mode_16_64 0
		.amdhsa_float_denorm_mode_32 3
		.amdhsa_float_denorm_mode_16_64 3
		.amdhsa_dx10_clamp 1
		.amdhsa_ieee_mode 1
		.amdhsa_fp16_overflow 0
		.amdhsa_tg_split 0
		.amdhsa_exception_fp_ieee_invalid_op 0
		.amdhsa_exception_fp_denorm_src 0
		.amdhsa_exception_fp_ieee_div_zero 0
		.amdhsa_exception_fp_ieee_overflow 0
		.amdhsa_exception_fp_ieee_underflow 0
		.amdhsa_exception_fp_ieee_inexact 0
		.amdhsa_exception_int_div_zero 0
	.end_amdhsa_kernel
	.section	.text._ZN9rocsolver6v33100L18trti2_kernel_smallILi62EfPfEEv13rocblas_fill_17rocblas_diagonal_T1_iil,"axG",@progbits,_ZN9rocsolver6v33100L18trti2_kernel_smallILi62EfPfEEv13rocblas_fill_17rocblas_diagonal_T1_iil,comdat
.Lfunc_end61:
	.size	_ZN9rocsolver6v33100L18trti2_kernel_smallILi62EfPfEEv13rocblas_fill_17rocblas_diagonal_T1_iil, .Lfunc_end61-_ZN9rocsolver6v33100L18trti2_kernel_smallILi62EfPfEEv13rocblas_fill_17rocblas_diagonal_T1_iil
                                        ; -- End function
	.section	.AMDGPU.csdata,"",@progbits
; Kernel info:
; codeLenInByte = 30464
; NumSgprs: 24
; NumVgprs: 164
; NumAgprs: 0
; TotalNumVgprs: 164
; ScratchSize: 256
; MemoryBound: 0
; FloatMode: 240
; IeeeMode: 1
; LDSByteSize: 504 bytes/workgroup (compile time only)
; SGPRBlocks: 2
; VGPRBlocks: 20
; NumSGPRsForWavesPerEU: 24
; NumVGPRsForWavesPerEU: 164
; AccumOffset: 164
; Occupancy: 3
; WaveLimiterHint : 0
; COMPUTE_PGM_RSRC2:SCRATCH_EN: 1
; COMPUTE_PGM_RSRC2:USER_SGPR: 8
; COMPUTE_PGM_RSRC2:TRAP_HANDLER: 0
; COMPUTE_PGM_RSRC2:TGID_X_EN: 1
; COMPUTE_PGM_RSRC2:TGID_Y_EN: 0
; COMPUTE_PGM_RSRC2:TGID_Z_EN: 0
; COMPUTE_PGM_RSRC2:TIDIG_COMP_CNT: 0
; COMPUTE_PGM_RSRC3_GFX90A:ACCUM_OFFSET: 40
; COMPUTE_PGM_RSRC3_GFX90A:TG_SPLIT: 0
	.section	.text._ZN9rocsolver6v33100L18trti2_kernel_smallILi63EfPfEEv13rocblas_fill_17rocblas_diagonal_T1_iil,"axG",@progbits,_ZN9rocsolver6v33100L18trti2_kernel_smallILi63EfPfEEv13rocblas_fill_17rocblas_diagonal_T1_iil,comdat
	.globl	_ZN9rocsolver6v33100L18trti2_kernel_smallILi63EfPfEEv13rocblas_fill_17rocblas_diagonal_T1_iil ; -- Begin function _ZN9rocsolver6v33100L18trti2_kernel_smallILi63EfPfEEv13rocblas_fill_17rocblas_diagonal_T1_iil
	.p2align	8
	.type	_ZN9rocsolver6v33100L18trti2_kernel_smallILi63EfPfEEv13rocblas_fill_17rocblas_diagonal_T1_iil,@function
_ZN9rocsolver6v33100L18trti2_kernel_smallILi63EfPfEEv13rocblas_fill_17rocblas_diagonal_T1_iil: ; @_ZN9rocsolver6v33100L18trti2_kernel_smallILi63EfPfEEv13rocblas_fill_17rocblas_diagonal_T1_iil
; %bb.0:
	s_add_u32 s0, s0, s9
	s_addc_u32 s1, s1, 0
	v_cmp_gt_u32_e32 vcc, 63, v0
	s_and_saveexec_b64 s[6:7], vcc
	s_cbranch_execz .LBB62_1232
; %bb.1:
	s_load_dwordx8 s[12:19], s[4:5], 0x0
	s_ashr_i32 s6, s8, 31
	s_waitcnt lgkmcnt(0)
	s_mul_i32 s7, s8, s19
	s_mul_hi_u32 s9, s8, s18
	s_add_i32 s7, s9, s7
	s_mul_i32 s6, s6, s18
	s_add_i32 s7, s7, s6
	s_mul_i32 s6, s8, s18
	s_ashr_i32 s5, s16, 31
	s_lshl_b64 s[6:7], s[6:7], 2
	s_mov_b32 s4, s16
	s_add_u32 s6, s14, s6
	s_addc_u32 s7, s15, s7
	s_lshl_b64 s[4:5], s[4:5], 2
	s_add_u32 s4, s6, s4
	s_addc_u32 s5, s7, s5
	s_add_i32 s6, s17, s17
	v_add_u32_e32 v4, s6, v0
	v_ashrrev_i32_e32 v5, 31, v4
	v_lshlrev_b64 v[2:3], 2, v[4:5]
	v_add_u32_e32 v4, s17, v4
	v_mov_b32_e32 v1, s5
	v_add_co_u32_e32 v2, vcc, s4, v2
	v_ashrrev_i32_e32 v5, 31, v4
	v_addc_co_u32_e32 v3, vcc, v1, v3, vcc
	v_lshlrev_b64 v[6:7], 2, v[4:5]
	v_add_u32_e32 v8, s17, v4
	v_add_co_u32_e32 v6, vcc, s4, v6
	v_ashrrev_i32_e32 v9, 31, v8
	v_addc_co_u32_e32 v7, vcc, v1, v7, vcc
	v_lshlrev_b64 v[4:5], 2, v[8:9]
	v_add_u32_e32 v8, s17, v8
	;; [unrolled: 5-line block ×51, first 2 shown]
	v_add_co_u32_e32 v104, vcc, s4, v104
	v_ashrrev_i32_e32 v109, 31, v108
	v_addc_co_u32_e32 v105, vcc, v1, v105, vcc
	v_lshlrev_b64 v[106:107], 2, v[108:109]
	v_add_co_u32_e32 v106, vcc, s4, v106
	v_add_u32_e32 v110, s17, v108
	v_addc_co_u32_e32 v107, vcc, v1, v107, vcc
	v_ashrrev_i32_e32 v111, 31, v110
	v_lshlrev_b32_e32 v1, 2, v0
	v_lshlrev_b64 v[108:109], 2, v[110:111]
	v_mov_b32_e32 v111, s5
	v_add_co_u32_e32 v120, vcc, s4, v1
	s_ashr_i32 s7, s17, 31
	s_mov_b32 s6, s17
	v_addc_co_u32_e32 v121, vcc, 0, v111, vcc
	s_lshl_b64 s[6:7], s[6:7], 2
	v_mov_b32_e32 v111, s7
	v_add_co_u32_e32 v116, vcc, s6, v120
	v_addc_co_u32_e32 v117, vcc, v121, v111, vcc
	global_load_dword v128, v1, s[4:5]
	global_load_dword v129, v[116:117], off
	global_load_dword v130, v[4:5], off
	global_load_dword v131, v[10:11], off
	global_load_dword v132, v[8:9], off
	global_load_dword v133, v[12:13], off
	global_load_dword v134, v[16:17], off
	global_load_dword v135, v[6:7], off
	global_load_dword v136, v[2:3], off
	global_load_dword v137, v[14:15], off
	global_load_dword v138, v[22:23], off
	global_load_dword v139, v[24:25], off
	global_load_dword v140, v[26:27], off
	global_load_dword v141, v[28:29], off
	global_load_dword v142, v[30:31], off
	global_load_dword v143, v[20:21], off
	global_load_dword v144, v[18:19], off
	global_load_dword v145, v[32:33], off
	global_load_dword v146, v[34:35], off
	global_load_dword v147, v[36:37], off
	global_load_dword v148, v[46:47], off
	global_load_dword v149, v[44:45], off
	global_load_dword v150, v[42:43], off
	global_load_dword v151, v[40:41], off
	global_load_dword v152, v[38:39], off
	global_load_dword v153, v[48:49], off
	global_load_dword v154, v[52:53], off
	v_mov_b32_e32 v112, s5
	v_add_co_u32_e32 v108, vcc, s4, v108
	v_addc_co_u32_e32 v109, vcc, v112, v109, vcc
	v_add_u32_e32 v112, s17, v110
	v_ashrrev_i32_e32 v113, 31, v112
	v_lshlrev_b64 v[110:111], 2, v[112:113]
	v_mov_b32_e32 v114, s5
	v_add_co_u32_e32 v110, vcc, s4, v110
	v_addc_co_u32_e32 v111, vcc, v114, v111, vcc
	v_add_u32_e32 v114, s17, v112
	v_ashrrev_i32_e32 v115, 31, v114
	v_lshlrev_b64 v[112:113], 2, v[114:115]
	;; [unrolled: 6-line block ×6, first 2 shown]
	v_add_u32_e32 v126, s17, v126
	v_mov_b32_e32 v155, s5
	v_add_co_u32_e32 v124, vcc, s4, v124
	v_ashrrev_i32_e32 v127, 31, v126
	v_addc_co_u32_e32 v125, vcc, v155, v125, vcc
	v_lshlrev_b64 v[126:127], 2, v[126:127]
	v_add_co_u32_e32 v126, vcc, s4, v126
	v_addc_co_u32_e32 v127, vcc, v155, v127, vcc
	global_load_dword v155, v[126:127], off
	s_waitcnt vmcnt(27)
	buffer_store_dword v128, off, s[0:3], 0
	s_waitcnt vmcnt(27)
	buffer_store_dword v129, off, s[0:3], 0 offset:4
	s_waitcnt vmcnt(22)
	buffer_store_dword v135, off, s[0:3], 0 offset:12
	;; [unrolled: 2-line block ×3, first 2 shown]
	buffer_store_dword v130, off, s[0:3], 0 offset:16
	buffer_store_dword v131, off, s[0:3], 0 offset:20
	;; [unrolled: 1-line block ×5, first 2 shown]
	s_waitcnt vmcnt(27)
	buffer_store_dword v137, off, s[0:3], 0 offset:36
	s_waitcnt vmcnt(22)
	buffer_store_dword v143, off, s[0:3], 0 offset:44
	s_waitcnt vmcnt(22)
	buffer_store_dword v144, off, s[0:3], 0 offset:40
	buffer_store_dword v138, off, s[0:3], 0 offset:48
	buffer_store_dword v139, off, s[0:3], 0 offset:52
	;; [unrolled: 1-line block ×5, first 2 shown]
	s_waitcnt vmcnt(27)
	buffer_store_dword v145, off, s[0:3], 0 offset:68
	s_waitcnt vmcnt(27)
	buffer_store_dword v146, off, s[0:3], 0 offset:72
	s_waitcnt vmcnt(27)
	buffer_store_dword v147, off, s[0:3], 0 offset:76
	s_waitcnt vmcnt(24)
	buffer_store_dword v151, off, s[0:3], 0 offset:84
	s_waitcnt vmcnt(24)
	buffer_store_dword v152, off, s[0:3], 0 offset:80
	buffer_store_dword v149, off, s[0:3], 0 offset:92
	global_load_dword v128, v[62:63], off
	global_load_dword v129, v[60:61], off
	;; [unrolled: 1-line block ×30, first 2 shown]
	s_nop 0
	buffer_store_dword v150, off, s[0:3], 0 offset:88
	s_waitcnt vmcnt(56)
	buffer_store_dword v153, off, s[0:3], 0 offset:100
	buffer_store_dword v148, off, s[0:3], 0 offset:96
	s_waitcnt vmcnt(57)
	buffer_store_dword v154, off, s[0:3], 0 offset:108
	global_load_dword v148, v[112:113], off
	global_load_dword v150, v[122:123], off
	global_load_dword v153, v[118:119], off
	s_nop 0
	global_load_dword v154, v[114:115], off
	global_load_dword v163, v[124:125], off
	s_cmpk_lg_i32 s13, 0x84
	s_waitcnt vmcnt(33)
	buffer_store_dword v133, off, s[0:3], 0 offset:104
	buffer_store_dword v131, off, s[0:3], 0 offset:116
	buffer_store_dword v132, off, s[0:3], 0 offset:112
	buffer_store_dword v129, off, s[0:3], 0 offset:124
	buffer_store_dword v130, off, s[0:3], 0 offset:120
	s_waitcnt vmcnt(37)
	buffer_store_dword v134, off, s[0:3], 0 offset:132
	buffer_store_dword v128, off, s[0:3], 0 offset:128
	s_waitcnt vmcnt(33)
	buffer_store_dword v140, off, s[0:3], 0 offset:140
	s_waitcnt vmcnt(33)
	buffer_store_dword v141, off, s[0:3], 0 offset:136
	buffer_store_dword v138, off, s[0:3], 0 offset:148
	buffer_store_dword v139, off, s[0:3], 0 offset:144
	buffer_store_dword v136, off, s[0:3], 0 offset:156
	buffer_store_dword v137, off, s[0:3], 0 offset:152
	s_waitcnt vmcnt(37)
	buffer_store_dword v142, off, s[0:3], 0 offset:164
	buffer_store_dword v135, off, s[0:3], 0 offset:160
	s_waitcnt vmcnt(33)
	buffer_store_dword v149, off, s[0:3], 0 offset:172
	;; [unrolled: 11-line block ×4, first 2 shown]
	s_waitcnt vmcnt(33)
	buffer_store_dword v154, off, s[0:3], 0 offset:232
	s_waitcnt vmcnt(33)
	buffer_store_dword v163, off, s[0:3], 0 offset:244
	buffer_store_dword v150, off, s[0:3], 0 offset:240
	;; [unrolled: 1-line block ×3, first 2 shown]
	s_cselect_b64 s[10:11], -1, 0
	s_cmpk_eq_i32 s13, 0x84
	v_mov_b32_e32 v159, 0
	v_mov_b32_e32 v128, -1.0
	s_cbranch_scc1 .LBB62_3
; %bb.2:
	v_lshl_add_u32 v128, v0, 2, v159
	buffer_load_dword v129, v128, s[0:3], 0 offen
	s_waitcnt vmcnt(0)
	v_div_scale_f32 v130, s[4:5], v129, v129, 1.0
	v_rcp_f32_e32 v131, v130
	v_div_scale_f32 v132, vcc, 1.0, v129, 1.0
	v_fma_f32 v133, -v130, v131, 1.0
	v_fmac_f32_e32 v131, v133, v131
	v_mul_f32_e32 v133, v132, v131
	v_fma_f32 v134, -v130, v133, v132
	v_fmac_f32_e32 v133, v134, v131
	v_fma_f32 v130, -v130, v133, v132
	v_div_fmas_f32 v130, v130, v131, v133
	v_div_fixup_f32 v129, v130, v129, 1.0
	buffer_store_dword v129, v128, s[0:3], 0 offen
	v_xor_b32_e32 v128, 0x80000000, v129
.LBB62_3:
	ds_write_b32 v1, v128
	s_cmpk_eq_i32 s12, 0x79
	v_or_b32_e32 v128, 0x100, v1
	v_add_u32_e32 v129, 0, v1
	s_mov_b64 s[4:5], -1
	s_cbranch_scc1 .LBB62_617
; %bb.4:
	buffer_load_dword v130, off, s[0:3], 0 offset:244
	v_cmp_eq_u32_e64 s[4:5], 62, v0
	s_waitcnt vmcnt(0)
	ds_write_b32 v128, v130
	s_waitcnt lgkmcnt(0)
	; wave barrier
	s_waitcnt lgkmcnt(0)
	s_and_saveexec_b64 s[6:7], s[4:5]
	s_cbranch_execz .LBB62_10
; %bb.5:
	s_and_b64 vcc, exec, s[10:11]
	s_cbranch_vccz .LBB62_7
; %bb.6:
	buffer_load_dword v130, v129, s[0:3], 0 offen
	ds_read_b32 v131, v128
	s_waitcnt vmcnt(0) lgkmcnt(0)
	v_mul_f32_e32 v130, v130, v131
	s_cbranch_execz .LBB62_8
	s_branch .LBB62_9
.LBB62_7:
                                        ; implicit-def: $vgpr130
.LBB62_8:
	ds_read_b32 v130, v128
.LBB62_9:
	v_mov_b32_e32 v131, 0
	ds_read_b32 v131, v131 offset:244
	s_waitcnt lgkmcnt(0)
	v_mul_f32_e32 v130, v130, v131
	buffer_store_dword v130, off, s[0:3], 0 offset:244
.LBB62_10:
	s_or_b64 exec, exec, s[6:7]
	buffer_load_dword v160, off, s[0:3], 0 offset:240
	v_or_b32_e32 v130, 8, v159
	v_add_u32_e32 v131, 16, v159
	v_add_u32_e32 v132, 24, v159
	;; [unrolled: 1-line block ×29, first 2 shown]
	v_cmp_lt_u32_e64 s[8:9], 60, v0
	s_waitcnt vmcnt(0)
	ds_write_b32 v128, v160
	s_waitcnt lgkmcnt(0)
	; wave barrier
	s_waitcnt lgkmcnt(0)
	s_and_saveexec_b64 s[6:7], s[8:9]
	s_cbranch_execz .LBB62_16
; %bb.11:
	s_andn2_b64 vcc, exec, s[10:11]
	s_cbranch_vccnz .LBB62_13
; %bb.12:
	buffer_load_dword v160, v129, s[0:3], 0 offen
	ds_read_b32 v161, v128
	s_waitcnt vmcnt(0) lgkmcnt(0)
	v_mul_f32_e32 v160, v160, v161
	s_cbranch_execz .LBB62_14
	s_branch .LBB62_15
.LBB62_13:
                                        ; implicit-def: $vgpr160
.LBB62_14:
	ds_read_b32 v160, v128
.LBB62_15:
	buffer_load_dword v161, off, s[0:3], 0 offset:244
	v_mov_b32_e32 v162, 0
	ds_read2_b32 v[162:163], v162 offset0:60 offset1:125
	s_waitcnt vmcnt(0) lgkmcnt(0)
	v_fma_f32 v161, v161, v163, v160
	v_cndmask_b32_e64 v160, v160, v161, s[4:5]
	v_mul_f32_e32 v160, v160, v162
	buffer_store_dword v160, off, s[0:3], 0 offset:240
.LBB62_16:
	s_or_b64 exec, exec, s[6:7]
	buffer_load_dword v160, off, s[0:3], 0 offset:236
	v_cmp_lt_u32_e64 s[6:7], 59, v0
	s_waitcnt vmcnt(0)
	ds_write_b32 v128, v160
	s_waitcnt lgkmcnt(0)
	; wave barrier
	s_waitcnt lgkmcnt(0)
	s_and_saveexec_b64 s[4:5], s[6:7]
	s_cbranch_execz .LBB62_26
; %bb.17:
	s_andn2_b64 vcc, exec, s[10:11]
	s_cbranch_vccnz .LBB62_19
; %bb.18:
	buffer_load_dword v160, v129, s[0:3], 0 offen
	ds_read_b32 v161, v128
	s_waitcnt vmcnt(0) lgkmcnt(0)
	v_mul_f32_e32 v160, v160, v161
	s_cbranch_execz .LBB62_20
	s_branch .LBB62_21
.LBB62_19:
                                        ; implicit-def: $vgpr160
.LBB62_20:
	ds_read_b32 v160, v128
.LBB62_21:
	s_and_saveexec_b64 s[12:13], s[8:9]
	s_cbranch_execz .LBB62_25
; %bb.22:
	v_subrev_u32_e32 v161, 60, v0
	s_movk_i32 s14, 0x1f0
	s_mov_b64 s[8:9], 0
.LBB62_23:                              ; =>This Inner Loop Header: Depth=1
	buffer_load_dword v162, v159, s[0:3], 0 offen
	v_mov_b32_e32 v163, s14
	ds_read_b32 v163, v163
	v_add_u32_e32 v161, -1, v161
	s_add_i32 s14, s14, 4
	v_cmp_eq_u32_e32 vcc, 0, v161
	v_add_u32_e32 v159, 4, v159
	s_or_b64 s[8:9], vcc, s[8:9]
	s_waitcnt vmcnt(0) lgkmcnt(0)
	v_fmac_f32_e32 v160, v162, v163
	s_andn2_b64 exec, exec, s[8:9]
	s_cbranch_execnz .LBB62_23
; %bb.24:
	s_or_b64 exec, exec, s[8:9]
.LBB62_25:
	s_or_b64 exec, exec, s[12:13]
	v_mov_b32_e32 v159, 0
	ds_read_b32 v159, v159 offset:236
	s_waitcnt lgkmcnt(0)
	v_mul_f32_e32 v159, v160, v159
	buffer_store_dword v159, off, s[0:3], 0 offset:236
.LBB62_26:
	s_or_b64 exec, exec, s[4:5]
	buffer_load_dword v159, off, s[0:3], 0 offset:232
	v_cmp_lt_u32_e64 s[4:5], 58, v0
	s_waitcnt vmcnt(0)
	ds_write_b32 v128, v159
	s_waitcnt lgkmcnt(0)
	; wave barrier
	s_waitcnt lgkmcnt(0)
	s_and_saveexec_b64 s[8:9], s[4:5]
	s_cbranch_execz .LBB62_36
; %bb.27:
	s_andn2_b64 vcc, exec, s[10:11]
	s_cbranch_vccnz .LBB62_29
; %bb.28:
	buffer_load_dword v159, v129, s[0:3], 0 offen
	ds_read_b32 v160, v128
	s_waitcnt vmcnt(0) lgkmcnt(0)
	v_mul_f32_e32 v159, v159, v160
	s_cbranch_execz .LBB62_30
	s_branch .LBB62_31
.LBB62_29:
                                        ; implicit-def: $vgpr159
.LBB62_30:
	ds_read_b32 v159, v128
.LBB62_31:
	s_and_saveexec_b64 s[12:13], s[6:7]
	s_cbranch_execz .LBB62_35
; %bb.32:
	v_mov_b32_e32 v160, 0
	v_add_u32_e32 v160, 0xec, v160
	v_subrev_u32_e32 v161, 59, v0
	s_movk_i32 s14, 0x1ec
	s_mov_b64 s[6:7], 0
.LBB62_33:                              ; =>This Inner Loop Header: Depth=1
	buffer_load_dword v162, v160, s[0:3], 0 offen
	v_mov_b32_e32 v163, s14
	ds_read_b32 v163, v163
	v_add_u32_e32 v161, -1, v161
	s_add_i32 s14, s14, 4
	v_cmp_eq_u32_e32 vcc, 0, v161
	v_add_u32_e32 v160, 4, v160
	s_or_b64 s[6:7], vcc, s[6:7]
	s_waitcnt vmcnt(0) lgkmcnt(0)
	v_fmac_f32_e32 v159, v162, v163
	s_andn2_b64 exec, exec, s[6:7]
	s_cbranch_execnz .LBB62_33
; %bb.34:
	s_or_b64 exec, exec, s[6:7]
.LBB62_35:
	s_or_b64 exec, exec, s[12:13]
	v_mov_b32_e32 v160, 0
	ds_read_b32 v160, v160 offset:232
	s_waitcnt lgkmcnt(0)
	v_mul_f32_e32 v159, v159, v160
	buffer_store_dword v159, off, s[0:3], 0 offset:232
.LBB62_36:
	s_or_b64 exec, exec, s[8:9]
	buffer_load_dword v159, off, s[0:3], 0 offset:228
	v_cmp_lt_u32_e64 s[6:7], 57, v0
	s_waitcnt vmcnt(0)
	ds_write_b32 v128, v159
	s_waitcnt lgkmcnt(0)
	; wave barrier
	s_waitcnt lgkmcnt(0)
	s_and_saveexec_b64 s[8:9], s[6:7]
	s_cbranch_execz .LBB62_46
; %bb.37:
	s_andn2_b64 vcc, exec, s[10:11]
	s_cbranch_vccnz .LBB62_39
; %bb.38:
	buffer_load_dword v159, v129, s[0:3], 0 offen
	ds_read_b32 v160, v128
	s_waitcnt vmcnt(0) lgkmcnt(0)
	v_mul_f32_e32 v159, v159, v160
	s_cbranch_execz .LBB62_40
	s_branch .LBB62_41
.LBB62_39:
                                        ; implicit-def: $vgpr159
.LBB62_40:
	ds_read_b32 v159, v128
.LBB62_41:
	s_and_saveexec_b64 s[12:13], s[4:5]
	s_cbranch_execz .LBB62_45
; %bb.42:
	v_subrev_u32_e32 v160, 58, v0
	s_movk_i32 s14, 0x1e8
	s_mov_b64 s[4:5], 0
.LBB62_43:                              ; =>This Inner Loop Header: Depth=1
	buffer_load_dword v161, v158, s[0:3], 0 offen
	v_mov_b32_e32 v162, s14
	ds_read_b32 v162, v162
	v_add_u32_e32 v160, -1, v160
	s_add_i32 s14, s14, 4
	v_cmp_eq_u32_e32 vcc, 0, v160
	v_add_u32_e32 v158, 4, v158
	s_or_b64 s[4:5], vcc, s[4:5]
	s_waitcnt vmcnt(0) lgkmcnt(0)
	v_fmac_f32_e32 v159, v161, v162
	s_andn2_b64 exec, exec, s[4:5]
	s_cbranch_execnz .LBB62_43
; %bb.44:
	s_or_b64 exec, exec, s[4:5]
.LBB62_45:
	s_or_b64 exec, exec, s[12:13]
	v_mov_b32_e32 v158, 0
	ds_read_b32 v158, v158 offset:228
	s_waitcnt lgkmcnt(0)
	v_mul_f32_e32 v158, v159, v158
	buffer_store_dword v158, off, s[0:3], 0 offset:228
.LBB62_46:
	s_or_b64 exec, exec, s[8:9]
	buffer_load_dword v158, off, s[0:3], 0 offset:224
	v_cmp_lt_u32_e64 s[4:5], 56, v0
	s_waitcnt vmcnt(0)
	ds_write_b32 v128, v158
	s_waitcnt lgkmcnt(0)
	; wave barrier
	s_waitcnt lgkmcnt(0)
	s_and_saveexec_b64 s[8:9], s[4:5]
	s_cbranch_execz .LBB62_56
; %bb.47:
	s_andn2_b64 vcc, exec, s[10:11]
	s_cbranch_vccnz .LBB62_49
; %bb.48:
	buffer_load_dword v158, v129, s[0:3], 0 offen
	ds_read_b32 v159, v128
	s_waitcnt vmcnt(0) lgkmcnt(0)
	v_mul_f32_e32 v158, v158, v159
	s_cbranch_execz .LBB62_50
	s_branch .LBB62_51
.LBB62_49:
                                        ; implicit-def: $vgpr158
.LBB62_50:
	ds_read_b32 v158, v128
.LBB62_51:
	s_and_saveexec_b64 s[12:13], s[6:7]
	s_cbranch_execz .LBB62_55
; %bb.52:
	v_mov_b32_e32 v159, 0
	v_add_u32_e32 v159, 0xe4, v159
	v_subrev_u32_e32 v160, 57, v0
	s_movk_i32 s14, 0x1e4
	s_mov_b64 s[6:7], 0
.LBB62_53:                              ; =>This Inner Loop Header: Depth=1
	buffer_load_dword v161, v159, s[0:3], 0 offen
	v_mov_b32_e32 v162, s14
	ds_read_b32 v162, v162
	v_add_u32_e32 v160, -1, v160
	s_add_i32 s14, s14, 4
	v_cmp_eq_u32_e32 vcc, 0, v160
	v_add_u32_e32 v159, 4, v159
	s_or_b64 s[6:7], vcc, s[6:7]
	s_waitcnt vmcnt(0) lgkmcnt(0)
	v_fmac_f32_e32 v158, v161, v162
	s_andn2_b64 exec, exec, s[6:7]
	s_cbranch_execnz .LBB62_53
; %bb.54:
	s_or_b64 exec, exec, s[6:7]
.LBB62_55:
	s_or_b64 exec, exec, s[12:13]
	v_mov_b32_e32 v159, 0
	ds_read_b32 v159, v159 offset:224
	s_waitcnt lgkmcnt(0)
	v_mul_f32_e32 v158, v158, v159
	buffer_store_dword v158, off, s[0:3], 0 offset:224
.LBB62_56:
	s_or_b64 exec, exec, s[8:9]
	buffer_load_dword v158, off, s[0:3], 0 offset:220
	v_cmp_lt_u32_e64 s[6:7], 55, v0
	s_waitcnt vmcnt(0)
	ds_write_b32 v128, v158
	s_waitcnt lgkmcnt(0)
	; wave barrier
	s_waitcnt lgkmcnt(0)
	s_and_saveexec_b64 s[8:9], s[6:7]
	s_cbranch_execz .LBB62_66
; %bb.57:
	s_andn2_b64 vcc, exec, s[10:11]
	s_cbranch_vccnz .LBB62_59
; %bb.58:
	buffer_load_dword v158, v129, s[0:3], 0 offen
	ds_read_b32 v159, v128
	s_waitcnt vmcnt(0) lgkmcnt(0)
	v_mul_f32_e32 v158, v158, v159
	s_cbranch_execz .LBB62_60
	s_branch .LBB62_61
.LBB62_59:
                                        ; implicit-def: $vgpr158
.LBB62_60:
	ds_read_b32 v158, v128
.LBB62_61:
	s_and_saveexec_b64 s[12:13], s[4:5]
	s_cbranch_execz .LBB62_65
; %bb.62:
	v_subrev_u32_e32 v159, 56, v0
	s_movk_i32 s14, 0x1e0
	s_mov_b64 s[4:5], 0
.LBB62_63:                              ; =>This Inner Loop Header: Depth=1
	buffer_load_dword v160, v157, s[0:3], 0 offen
	v_mov_b32_e32 v161, s14
	ds_read_b32 v161, v161
	v_add_u32_e32 v159, -1, v159
	s_add_i32 s14, s14, 4
	v_cmp_eq_u32_e32 vcc, 0, v159
	v_add_u32_e32 v157, 4, v157
	s_or_b64 s[4:5], vcc, s[4:5]
	s_waitcnt vmcnt(0) lgkmcnt(0)
	v_fmac_f32_e32 v158, v160, v161
	s_andn2_b64 exec, exec, s[4:5]
	s_cbranch_execnz .LBB62_63
; %bb.64:
	s_or_b64 exec, exec, s[4:5]
.LBB62_65:
	s_or_b64 exec, exec, s[12:13]
	v_mov_b32_e32 v157, 0
	ds_read_b32 v157, v157 offset:220
	s_waitcnt lgkmcnt(0)
	v_mul_f32_e32 v157, v158, v157
	buffer_store_dword v157, off, s[0:3], 0 offset:220
.LBB62_66:
	s_or_b64 exec, exec, s[8:9]
	buffer_load_dword v157, off, s[0:3], 0 offset:216
	v_cmp_lt_u32_e64 s[4:5], 54, v0
	s_waitcnt vmcnt(0)
	ds_write_b32 v128, v157
	s_waitcnt lgkmcnt(0)
	; wave barrier
	s_waitcnt lgkmcnt(0)
	s_and_saveexec_b64 s[8:9], s[4:5]
	s_cbranch_execz .LBB62_76
; %bb.67:
	s_andn2_b64 vcc, exec, s[10:11]
	s_cbranch_vccnz .LBB62_69
; %bb.68:
	buffer_load_dword v157, v129, s[0:3], 0 offen
	ds_read_b32 v158, v128
	s_waitcnt vmcnt(0) lgkmcnt(0)
	v_mul_f32_e32 v157, v157, v158
	s_cbranch_execz .LBB62_70
	s_branch .LBB62_71
.LBB62_69:
                                        ; implicit-def: $vgpr157
.LBB62_70:
	ds_read_b32 v157, v128
.LBB62_71:
	s_and_saveexec_b64 s[12:13], s[6:7]
	s_cbranch_execz .LBB62_75
; %bb.72:
	v_mov_b32_e32 v158, 0
	v_add_u32_e32 v158, 0xdc, v158
	v_subrev_u32_e32 v159, 55, v0
	s_movk_i32 s14, 0x1dc
	s_mov_b64 s[6:7], 0
.LBB62_73:                              ; =>This Inner Loop Header: Depth=1
	buffer_load_dword v160, v158, s[0:3], 0 offen
	v_mov_b32_e32 v161, s14
	ds_read_b32 v161, v161
	v_add_u32_e32 v159, -1, v159
	s_add_i32 s14, s14, 4
	v_cmp_eq_u32_e32 vcc, 0, v159
	v_add_u32_e32 v158, 4, v158
	s_or_b64 s[6:7], vcc, s[6:7]
	s_waitcnt vmcnt(0) lgkmcnt(0)
	v_fmac_f32_e32 v157, v160, v161
	s_andn2_b64 exec, exec, s[6:7]
	s_cbranch_execnz .LBB62_73
; %bb.74:
	s_or_b64 exec, exec, s[6:7]
.LBB62_75:
	s_or_b64 exec, exec, s[12:13]
	v_mov_b32_e32 v158, 0
	ds_read_b32 v158, v158 offset:216
	s_waitcnt lgkmcnt(0)
	v_mul_f32_e32 v157, v157, v158
	buffer_store_dword v157, off, s[0:3], 0 offset:216
.LBB62_76:
	s_or_b64 exec, exec, s[8:9]
	buffer_load_dword v157, off, s[0:3], 0 offset:212
	v_cmp_lt_u32_e64 s[6:7], 53, v0
	s_waitcnt vmcnt(0)
	ds_write_b32 v128, v157
	s_waitcnt lgkmcnt(0)
	; wave barrier
	s_waitcnt lgkmcnt(0)
	s_and_saveexec_b64 s[8:9], s[6:7]
	s_cbranch_execz .LBB62_86
; %bb.77:
	s_andn2_b64 vcc, exec, s[10:11]
	s_cbranch_vccnz .LBB62_79
; %bb.78:
	buffer_load_dword v157, v129, s[0:3], 0 offen
	ds_read_b32 v158, v128
	s_waitcnt vmcnt(0) lgkmcnt(0)
	v_mul_f32_e32 v157, v157, v158
	s_cbranch_execz .LBB62_80
	s_branch .LBB62_81
.LBB62_79:
                                        ; implicit-def: $vgpr157
.LBB62_80:
	ds_read_b32 v157, v128
.LBB62_81:
	s_and_saveexec_b64 s[12:13], s[4:5]
	s_cbranch_execz .LBB62_85
; %bb.82:
	v_subrev_u32_e32 v158, 54, v0
	s_movk_i32 s14, 0x1d8
	s_mov_b64 s[4:5], 0
.LBB62_83:                              ; =>This Inner Loop Header: Depth=1
	buffer_load_dword v159, v156, s[0:3], 0 offen
	v_mov_b32_e32 v160, s14
	ds_read_b32 v160, v160
	v_add_u32_e32 v158, -1, v158
	s_add_i32 s14, s14, 4
	v_cmp_eq_u32_e32 vcc, 0, v158
	v_add_u32_e32 v156, 4, v156
	s_or_b64 s[4:5], vcc, s[4:5]
	s_waitcnt vmcnt(0) lgkmcnt(0)
	v_fmac_f32_e32 v157, v159, v160
	s_andn2_b64 exec, exec, s[4:5]
	s_cbranch_execnz .LBB62_83
; %bb.84:
	s_or_b64 exec, exec, s[4:5]
.LBB62_85:
	s_or_b64 exec, exec, s[12:13]
	v_mov_b32_e32 v156, 0
	ds_read_b32 v156, v156 offset:212
	s_waitcnt lgkmcnt(0)
	v_mul_f32_e32 v156, v157, v156
	buffer_store_dword v156, off, s[0:3], 0 offset:212
.LBB62_86:
	s_or_b64 exec, exec, s[8:9]
	buffer_load_dword v156, off, s[0:3], 0 offset:208
	v_cmp_lt_u32_e64 s[4:5], 52, v0
	s_waitcnt vmcnt(0)
	ds_write_b32 v128, v156
	s_waitcnt lgkmcnt(0)
	; wave barrier
	s_waitcnt lgkmcnt(0)
	s_and_saveexec_b64 s[8:9], s[4:5]
	s_cbranch_execz .LBB62_96
; %bb.87:
	s_andn2_b64 vcc, exec, s[10:11]
	s_cbranch_vccnz .LBB62_89
; %bb.88:
	buffer_load_dword v156, v129, s[0:3], 0 offen
	ds_read_b32 v157, v128
	s_waitcnt vmcnt(0) lgkmcnt(0)
	v_mul_f32_e32 v156, v156, v157
	s_cbranch_execz .LBB62_90
	s_branch .LBB62_91
.LBB62_89:
                                        ; implicit-def: $vgpr156
.LBB62_90:
	ds_read_b32 v156, v128
.LBB62_91:
	s_and_saveexec_b64 s[12:13], s[6:7]
	s_cbranch_execz .LBB62_95
; %bb.92:
	v_mov_b32_e32 v157, 0
	v_add_u32_e32 v157, 0xd4, v157
	v_subrev_u32_e32 v158, 53, v0
	s_movk_i32 s14, 0x1d4
	s_mov_b64 s[6:7], 0
.LBB62_93:                              ; =>This Inner Loop Header: Depth=1
	buffer_load_dword v159, v157, s[0:3], 0 offen
	v_mov_b32_e32 v160, s14
	ds_read_b32 v160, v160
	v_add_u32_e32 v158, -1, v158
	s_add_i32 s14, s14, 4
	v_cmp_eq_u32_e32 vcc, 0, v158
	v_add_u32_e32 v157, 4, v157
	s_or_b64 s[6:7], vcc, s[6:7]
	s_waitcnt vmcnt(0) lgkmcnt(0)
	v_fmac_f32_e32 v156, v159, v160
	s_andn2_b64 exec, exec, s[6:7]
	s_cbranch_execnz .LBB62_93
; %bb.94:
	s_or_b64 exec, exec, s[6:7]
.LBB62_95:
	s_or_b64 exec, exec, s[12:13]
	v_mov_b32_e32 v157, 0
	ds_read_b32 v157, v157 offset:208
	s_waitcnt lgkmcnt(0)
	v_mul_f32_e32 v156, v156, v157
	buffer_store_dword v156, off, s[0:3], 0 offset:208
.LBB62_96:
	s_or_b64 exec, exec, s[8:9]
	buffer_load_dword v156, off, s[0:3], 0 offset:204
	v_cmp_lt_u32_e64 s[6:7], 51, v0
	s_waitcnt vmcnt(0)
	ds_write_b32 v128, v156
	s_waitcnt lgkmcnt(0)
	; wave barrier
	s_waitcnt lgkmcnt(0)
	s_and_saveexec_b64 s[8:9], s[6:7]
	s_cbranch_execz .LBB62_106
; %bb.97:
	s_andn2_b64 vcc, exec, s[10:11]
	s_cbranch_vccnz .LBB62_99
; %bb.98:
	buffer_load_dword v156, v129, s[0:3], 0 offen
	ds_read_b32 v157, v128
	s_waitcnt vmcnt(0) lgkmcnt(0)
	v_mul_f32_e32 v156, v156, v157
	s_cbranch_execz .LBB62_100
	s_branch .LBB62_101
.LBB62_99:
                                        ; implicit-def: $vgpr156
.LBB62_100:
	ds_read_b32 v156, v128
.LBB62_101:
	s_and_saveexec_b64 s[12:13], s[4:5]
	s_cbranch_execz .LBB62_105
; %bb.102:
	v_subrev_u32_e32 v157, 52, v0
	s_movk_i32 s14, 0x1d0
	s_mov_b64 s[4:5], 0
.LBB62_103:                             ; =>This Inner Loop Header: Depth=1
	buffer_load_dword v158, v155, s[0:3], 0 offen
	v_mov_b32_e32 v159, s14
	ds_read_b32 v159, v159
	v_add_u32_e32 v157, -1, v157
	s_add_i32 s14, s14, 4
	v_cmp_eq_u32_e32 vcc, 0, v157
	v_add_u32_e32 v155, 4, v155
	s_or_b64 s[4:5], vcc, s[4:5]
	s_waitcnt vmcnt(0) lgkmcnt(0)
	v_fmac_f32_e32 v156, v158, v159
	s_andn2_b64 exec, exec, s[4:5]
	s_cbranch_execnz .LBB62_103
; %bb.104:
	s_or_b64 exec, exec, s[4:5]
.LBB62_105:
	s_or_b64 exec, exec, s[12:13]
	v_mov_b32_e32 v155, 0
	ds_read_b32 v155, v155 offset:204
	s_waitcnt lgkmcnt(0)
	v_mul_f32_e32 v155, v156, v155
	buffer_store_dword v155, off, s[0:3], 0 offset:204
.LBB62_106:
	s_or_b64 exec, exec, s[8:9]
	buffer_load_dword v155, off, s[0:3], 0 offset:200
	v_cmp_lt_u32_e64 s[4:5], 50, v0
	s_waitcnt vmcnt(0)
	ds_write_b32 v128, v155
	s_waitcnt lgkmcnt(0)
	; wave barrier
	s_waitcnt lgkmcnt(0)
	s_and_saveexec_b64 s[8:9], s[4:5]
	s_cbranch_execz .LBB62_116
; %bb.107:
	s_andn2_b64 vcc, exec, s[10:11]
	s_cbranch_vccnz .LBB62_109
; %bb.108:
	buffer_load_dword v155, v129, s[0:3], 0 offen
	ds_read_b32 v156, v128
	s_waitcnt vmcnt(0) lgkmcnt(0)
	v_mul_f32_e32 v155, v155, v156
	s_cbranch_execz .LBB62_110
	s_branch .LBB62_111
.LBB62_109:
                                        ; implicit-def: $vgpr155
.LBB62_110:
	ds_read_b32 v155, v128
.LBB62_111:
	s_and_saveexec_b64 s[12:13], s[6:7]
	s_cbranch_execz .LBB62_115
; %bb.112:
	v_mov_b32_e32 v156, 0
	v_add_u32_e32 v156, 0xcc, v156
	v_subrev_u32_e32 v157, 51, v0
	s_movk_i32 s14, 0x1cc
	s_mov_b64 s[6:7], 0
.LBB62_113:                             ; =>This Inner Loop Header: Depth=1
	buffer_load_dword v158, v156, s[0:3], 0 offen
	v_mov_b32_e32 v159, s14
	ds_read_b32 v159, v159
	v_add_u32_e32 v157, -1, v157
	s_add_i32 s14, s14, 4
	v_cmp_eq_u32_e32 vcc, 0, v157
	v_add_u32_e32 v156, 4, v156
	s_or_b64 s[6:7], vcc, s[6:7]
	s_waitcnt vmcnt(0) lgkmcnt(0)
	v_fmac_f32_e32 v155, v158, v159
	s_andn2_b64 exec, exec, s[6:7]
	s_cbranch_execnz .LBB62_113
; %bb.114:
	s_or_b64 exec, exec, s[6:7]
.LBB62_115:
	s_or_b64 exec, exec, s[12:13]
	v_mov_b32_e32 v156, 0
	ds_read_b32 v156, v156 offset:200
	s_waitcnt lgkmcnt(0)
	v_mul_f32_e32 v155, v155, v156
	buffer_store_dword v155, off, s[0:3], 0 offset:200
.LBB62_116:
	s_or_b64 exec, exec, s[8:9]
	buffer_load_dword v155, off, s[0:3], 0 offset:196
	v_cmp_lt_u32_e64 s[6:7], 49, v0
	s_waitcnt vmcnt(0)
	ds_write_b32 v128, v155
	s_waitcnt lgkmcnt(0)
	; wave barrier
	s_waitcnt lgkmcnt(0)
	s_and_saveexec_b64 s[8:9], s[6:7]
	s_cbranch_execz .LBB62_126
; %bb.117:
	s_andn2_b64 vcc, exec, s[10:11]
	s_cbranch_vccnz .LBB62_119
; %bb.118:
	buffer_load_dword v155, v129, s[0:3], 0 offen
	ds_read_b32 v156, v128
	s_waitcnt vmcnt(0) lgkmcnt(0)
	v_mul_f32_e32 v155, v155, v156
	s_cbranch_execz .LBB62_120
	s_branch .LBB62_121
.LBB62_119:
                                        ; implicit-def: $vgpr155
.LBB62_120:
	ds_read_b32 v155, v128
.LBB62_121:
	s_and_saveexec_b64 s[12:13], s[4:5]
	s_cbranch_execz .LBB62_125
; %bb.122:
	v_subrev_u32_e32 v156, 50, v0
	s_movk_i32 s14, 0x1c8
	s_mov_b64 s[4:5], 0
.LBB62_123:                             ; =>This Inner Loop Header: Depth=1
	buffer_load_dword v157, v154, s[0:3], 0 offen
	v_mov_b32_e32 v158, s14
	ds_read_b32 v158, v158
	v_add_u32_e32 v156, -1, v156
	s_add_i32 s14, s14, 4
	v_cmp_eq_u32_e32 vcc, 0, v156
	v_add_u32_e32 v154, 4, v154
	s_or_b64 s[4:5], vcc, s[4:5]
	s_waitcnt vmcnt(0) lgkmcnt(0)
	v_fmac_f32_e32 v155, v157, v158
	s_andn2_b64 exec, exec, s[4:5]
	s_cbranch_execnz .LBB62_123
; %bb.124:
	s_or_b64 exec, exec, s[4:5]
.LBB62_125:
	s_or_b64 exec, exec, s[12:13]
	v_mov_b32_e32 v154, 0
	ds_read_b32 v154, v154 offset:196
	s_waitcnt lgkmcnt(0)
	v_mul_f32_e32 v154, v155, v154
	buffer_store_dword v154, off, s[0:3], 0 offset:196
.LBB62_126:
	s_or_b64 exec, exec, s[8:9]
	buffer_load_dword v154, off, s[0:3], 0 offset:192
	v_cmp_lt_u32_e64 s[4:5], 48, v0
	s_waitcnt vmcnt(0)
	ds_write_b32 v128, v154
	s_waitcnt lgkmcnt(0)
	; wave barrier
	s_waitcnt lgkmcnt(0)
	s_and_saveexec_b64 s[8:9], s[4:5]
	s_cbranch_execz .LBB62_136
; %bb.127:
	s_andn2_b64 vcc, exec, s[10:11]
	s_cbranch_vccnz .LBB62_129
; %bb.128:
	buffer_load_dword v154, v129, s[0:3], 0 offen
	ds_read_b32 v155, v128
	s_waitcnt vmcnt(0) lgkmcnt(0)
	v_mul_f32_e32 v154, v154, v155
	s_cbranch_execz .LBB62_130
	s_branch .LBB62_131
.LBB62_129:
                                        ; implicit-def: $vgpr154
.LBB62_130:
	ds_read_b32 v154, v128
.LBB62_131:
	s_and_saveexec_b64 s[12:13], s[6:7]
	s_cbranch_execz .LBB62_135
; %bb.132:
	v_mov_b32_e32 v155, 0
	v_add_u32_e32 v155, 0xc4, v155
	v_subrev_u32_e32 v156, 49, v0
	s_movk_i32 s14, 0x1c4
	s_mov_b64 s[6:7], 0
.LBB62_133:                             ; =>This Inner Loop Header: Depth=1
	buffer_load_dword v157, v155, s[0:3], 0 offen
	v_mov_b32_e32 v158, s14
	ds_read_b32 v158, v158
	v_add_u32_e32 v156, -1, v156
	s_add_i32 s14, s14, 4
	v_cmp_eq_u32_e32 vcc, 0, v156
	v_add_u32_e32 v155, 4, v155
	s_or_b64 s[6:7], vcc, s[6:7]
	s_waitcnt vmcnt(0) lgkmcnt(0)
	v_fmac_f32_e32 v154, v157, v158
	s_andn2_b64 exec, exec, s[6:7]
	s_cbranch_execnz .LBB62_133
; %bb.134:
	s_or_b64 exec, exec, s[6:7]
.LBB62_135:
	s_or_b64 exec, exec, s[12:13]
	v_mov_b32_e32 v155, 0
	ds_read_b32 v155, v155 offset:192
	s_waitcnt lgkmcnt(0)
	v_mul_f32_e32 v154, v154, v155
	buffer_store_dword v154, off, s[0:3], 0 offset:192
.LBB62_136:
	s_or_b64 exec, exec, s[8:9]
	buffer_load_dword v154, off, s[0:3], 0 offset:188
	v_cmp_lt_u32_e64 s[6:7], 47, v0
	s_waitcnt vmcnt(0)
	ds_write_b32 v128, v154
	s_waitcnt lgkmcnt(0)
	; wave barrier
	s_waitcnt lgkmcnt(0)
	s_and_saveexec_b64 s[8:9], s[6:7]
	s_cbranch_execz .LBB62_146
; %bb.137:
	s_andn2_b64 vcc, exec, s[10:11]
	s_cbranch_vccnz .LBB62_139
; %bb.138:
	buffer_load_dword v154, v129, s[0:3], 0 offen
	ds_read_b32 v155, v128
	s_waitcnt vmcnt(0) lgkmcnt(0)
	v_mul_f32_e32 v154, v154, v155
	s_cbranch_execz .LBB62_140
	s_branch .LBB62_141
.LBB62_139:
                                        ; implicit-def: $vgpr154
.LBB62_140:
	ds_read_b32 v154, v128
.LBB62_141:
	s_and_saveexec_b64 s[12:13], s[4:5]
	s_cbranch_execz .LBB62_145
; %bb.142:
	v_subrev_u32_e32 v155, 48, v0
	s_movk_i32 s14, 0x1c0
	s_mov_b64 s[4:5], 0
.LBB62_143:                             ; =>This Inner Loop Header: Depth=1
	buffer_load_dword v156, v153, s[0:3], 0 offen
	v_mov_b32_e32 v157, s14
	ds_read_b32 v157, v157
	v_add_u32_e32 v155, -1, v155
	s_add_i32 s14, s14, 4
	v_cmp_eq_u32_e32 vcc, 0, v155
	v_add_u32_e32 v153, 4, v153
	s_or_b64 s[4:5], vcc, s[4:5]
	s_waitcnt vmcnt(0) lgkmcnt(0)
	v_fmac_f32_e32 v154, v156, v157
	s_andn2_b64 exec, exec, s[4:5]
	s_cbranch_execnz .LBB62_143
; %bb.144:
	s_or_b64 exec, exec, s[4:5]
.LBB62_145:
	s_or_b64 exec, exec, s[12:13]
	v_mov_b32_e32 v153, 0
	ds_read_b32 v153, v153 offset:188
	s_waitcnt lgkmcnt(0)
	v_mul_f32_e32 v153, v154, v153
	buffer_store_dword v153, off, s[0:3], 0 offset:188
.LBB62_146:
	s_or_b64 exec, exec, s[8:9]
	buffer_load_dword v153, off, s[0:3], 0 offset:184
	v_cmp_lt_u32_e64 s[4:5], 46, v0
	s_waitcnt vmcnt(0)
	ds_write_b32 v128, v153
	s_waitcnt lgkmcnt(0)
	; wave barrier
	s_waitcnt lgkmcnt(0)
	s_and_saveexec_b64 s[8:9], s[4:5]
	s_cbranch_execz .LBB62_156
; %bb.147:
	s_andn2_b64 vcc, exec, s[10:11]
	s_cbranch_vccnz .LBB62_149
; %bb.148:
	buffer_load_dword v153, v129, s[0:3], 0 offen
	ds_read_b32 v154, v128
	s_waitcnt vmcnt(0) lgkmcnt(0)
	v_mul_f32_e32 v153, v153, v154
	s_cbranch_execz .LBB62_150
	s_branch .LBB62_151
.LBB62_149:
                                        ; implicit-def: $vgpr153
.LBB62_150:
	ds_read_b32 v153, v128
.LBB62_151:
	s_and_saveexec_b64 s[12:13], s[6:7]
	s_cbranch_execz .LBB62_155
; %bb.152:
	v_mov_b32_e32 v154, 0
	v_add_u32_e32 v154, 0xbc, v154
	v_subrev_u32_e32 v155, 47, v0
	s_movk_i32 s14, 0x1bc
	s_mov_b64 s[6:7], 0
.LBB62_153:                             ; =>This Inner Loop Header: Depth=1
	buffer_load_dword v156, v154, s[0:3], 0 offen
	v_mov_b32_e32 v157, s14
	ds_read_b32 v157, v157
	v_add_u32_e32 v155, -1, v155
	s_add_i32 s14, s14, 4
	v_cmp_eq_u32_e32 vcc, 0, v155
	v_add_u32_e32 v154, 4, v154
	s_or_b64 s[6:7], vcc, s[6:7]
	s_waitcnt vmcnt(0) lgkmcnt(0)
	v_fmac_f32_e32 v153, v156, v157
	s_andn2_b64 exec, exec, s[6:7]
	s_cbranch_execnz .LBB62_153
; %bb.154:
	s_or_b64 exec, exec, s[6:7]
.LBB62_155:
	s_or_b64 exec, exec, s[12:13]
	v_mov_b32_e32 v154, 0
	ds_read_b32 v154, v154 offset:184
	s_waitcnt lgkmcnt(0)
	v_mul_f32_e32 v153, v153, v154
	buffer_store_dword v153, off, s[0:3], 0 offset:184
.LBB62_156:
	s_or_b64 exec, exec, s[8:9]
	buffer_load_dword v153, off, s[0:3], 0 offset:180
	v_cmp_lt_u32_e64 s[6:7], 45, v0
	s_waitcnt vmcnt(0)
	ds_write_b32 v128, v153
	s_waitcnt lgkmcnt(0)
	; wave barrier
	s_waitcnt lgkmcnt(0)
	s_and_saveexec_b64 s[8:9], s[6:7]
	s_cbranch_execz .LBB62_166
; %bb.157:
	s_andn2_b64 vcc, exec, s[10:11]
	s_cbranch_vccnz .LBB62_159
; %bb.158:
	buffer_load_dword v153, v129, s[0:3], 0 offen
	ds_read_b32 v154, v128
	s_waitcnt vmcnt(0) lgkmcnt(0)
	v_mul_f32_e32 v153, v153, v154
	s_cbranch_execz .LBB62_160
	s_branch .LBB62_161
.LBB62_159:
                                        ; implicit-def: $vgpr153
.LBB62_160:
	ds_read_b32 v153, v128
.LBB62_161:
	s_and_saveexec_b64 s[12:13], s[4:5]
	s_cbranch_execz .LBB62_165
; %bb.162:
	v_subrev_u32_e32 v154, 46, v0
	s_movk_i32 s14, 0x1b8
	s_mov_b64 s[4:5], 0
.LBB62_163:                             ; =>This Inner Loop Header: Depth=1
	buffer_load_dword v155, v152, s[0:3], 0 offen
	v_mov_b32_e32 v156, s14
	ds_read_b32 v156, v156
	v_add_u32_e32 v154, -1, v154
	s_add_i32 s14, s14, 4
	v_cmp_eq_u32_e32 vcc, 0, v154
	v_add_u32_e32 v152, 4, v152
	s_or_b64 s[4:5], vcc, s[4:5]
	s_waitcnt vmcnt(0) lgkmcnt(0)
	v_fmac_f32_e32 v153, v155, v156
	s_andn2_b64 exec, exec, s[4:5]
	s_cbranch_execnz .LBB62_163
; %bb.164:
	s_or_b64 exec, exec, s[4:5]
.LBB62_165:
	s_or_b64 exec, exec, s[12:13]
	v_mov_b32_e32 v152, 0
	ds_read_b32 v152, v152 offset:180
	s_waitcnt lgkmcnt(0)
	v_mul_f32_e32 v152, v153, v152
	buffer_store_dword v152, off, s[0:3], 0 offset:180
.LBB62_166:
	s_or_b64 exec, exec, s[8:9]
	buffer_load_dword v152, off, s[0:3], 0 offset:176
	v_cmp_lt_u32_e64 s[4:5], 44, v0
	s_waitcnt vmcnt(0)
	ds_write_b32 v128, v152
	s_waitcnt lgkmcnt(0)
	; wave barrier
	s_waitcnt lgkmcnt(0)
	s_and_saveexec_b64 s[8:9], s[4:5]
	s_cbranch_execz .LBB62_176
; %bb.167:
	s_andn2_b64 vcc, exec, s[10:11]
	s_cbranch_vccnz .LBB62_169
; %bb.168:
	buffer_load_dword v152, v129, s[0:3], 0 offen
	ds_read_b32 v153, v128
	s_waitcnt vmcnt(0) lgkmcnt(0)
	v_mul_f32_e32 v152, v152, v153
	s_cbranch_execz .LBB62_170
	s_branch .LBB62_171
.LBB62_169:
                                        ; implicit-def: $vgpr152
.LBB62_170:
	ds_read_b32 v152, v128
.LBB62_171:
	s_and_saveexec_b64 s[12:13], s[6:7]
	s_cbranch_execz .LBB62_175
; %bb.172:
	v_mov_b32_e32 v153, 0
	v_add_u32_e32 v153, 0xb4, v153
	v_subrev_u32_e32 v154, 45, v0
	s_movk_i32 s14, 0x1b4
	s_mov_b64 s[6:7], 0
.LBB62_173:                             ; =>This Inner Loop Header: Depth=1
	buffer_load_dword v155, v153, s[0:3], 0 offen
	v_mov_b32_e32 v156, s14
	ds_read_b32 v156, v156
	v_add_u32_e32 v154, -1, v154
	s_add_i32 s14, s14, 4
	v_cmp_eq_u32_e32 vcc, 0, v154
	v_add_u32_e32 v153, 4, v153
	s_or_b64 s[6:7], vcc, s[6:7]
	s_waitcnt vmcnt(0) lgkmcnt(0)
	v_fmac_f32_e32 v152, v155, v156
	s_andn2_b64 exec, exec, s[6:7]
	s_cbranch_execnz .LBB62_173
; %bb.174:
	s_or_b64 exec, exec, s[6:7]
.LBB62_175:
	s_or_b64 exec, exec, s[12:13]
	v_mov_b32_e32 v153, 0
	ds_read_b32 v153, v153 offset:176
	s_waitcnt lgkmcnt(0)
	v_mul_f32_e32 v152, v152, v153
	buffer_store_dword v152, off, s[0:3], 0 offset:176
.LBB62_176:
	s_or_b64 exec, exec, s[8:9]
	buffer_load_dword v152, off, s[0:3], 0 offset:172
	v_cmp_lt_u32_e64 s[6:7], 43, v0
	s_waitcnt vmcnt(0)
	ds_write_b32 v128, v152
	s_waitcnt lgkmcnt(0)
	; wave barrier
	s_waitcnt lgkmcnt(0)
	s_and_saveexec_b64 s[8:9], s[6:7]
	s_cbranch_execz .LBB62_186
; %bb.177:
	s_andn2_b64 vcc, exec, s[10:11]
	s_cbranch_vccnz .LBB62_179
; %bb.178:
	buffer_load_dword v152, v129, s[0:3], 0 offen
	ds_read_b32 v153, v128
	s_waitcnt vmcnt(0) lgkmcnt(0)
	v_mul_f32_e32 v152, v152, v153
	s_cbranch_execz .LBB62_180
	s_branch .LBB62_181
.LBB62_179:
                                        ; implicit-def: $vgpr152
.LBB62_180:
	ds_read_b32 v152, v128
.LBB62_181:
	s_and_saveexec_b64 s[12:13], s[4:5]
	s_cbranch_execz .LBB62_185
; %bb.182:
	v_subrev_u32_e32 v153, 44, v0
	s_movk_i32 s14, 0x1b0
	s_mov_b64 s[4:5], 0
.LBB62_183:                             ; =>This Inner Loop Header: Depth=1
	buffer_load_dword v154, v151, s[0:3], 0 offen
	v_mov_b32_e32 v155, s14
	ds_read_b32 v155, v155
	v_add_u32_e32 v153, -1, v153
	s_add_i32 s14, s14, 4
	v_cmp_eq_u32_e32 vcc, 0, v153
	v_add_u32_e32 v151, 4, v151
	s_or_b64 s[4:5], vcc, s[4:5]
	s_waitcnt vmcnt(0) lgkmcnt(0)
	v_fmac_f32_e32 v152, v154, v155
	s_andn2_b64 exec, exec, s[4:5]
	s_cbranch_execnz .LBB62_183
; %bb.184:
	s_or_b64 exec, exec, s[4:5]
.LBB62_185:
	s_or_b64 exec, exec, s[12:13]
	v_mov_b32_e32 v151, 0
	ds_read_b32 v151, v151 offset:172
	s_waitcnt lgkmcnt(0)
	v_mul_f32_e32 v151, v152, v151
	buffer_store_dword v151, off, s[0:3], 0 offset:172
.LBB62_186:
	s_or_b64 exec, exec, s[8:9]
	buffer_load_dword v151, off, s[0:3], 0 offset:168
	v_cmp_lt_u32_e64 s[4:5], 42, v0
	s_waitcnt vmcnt(0)
	ds_write_b32 v128, v151
	s_waitcnt lgkmcnt(0)
	; wave barrier
	s_waitcnt lgkmcnt(0)
	s_and_saveexec_b64 s[8:9], s[4:5]
	s_cbranch_execz .LBB62_196
; %bb.187:
	s_andn2_b64 vcc, exec, s[10:11]
	s_cbranch_vccnz .LBB62_189
; %bb.188:
	buffer_load_dword v151, v129, s[0:3], 0 offen
	ds_read_b32 v152, v128
	s_waitcnt vmcnt(0) lgkmcnt(0)
	v_mul_f32_e32 v151, v151, v152
	s_cbranch_execz .LBB62_190
	s_branch .LBB62_191
.LBB62_189:
                                        ; implicit-def: $vgpr151
.LBB62_190:
	ds_read_b32 v151, v128
.LBB62_191:
	s_and_saveexec_b64 s[12:13], s[6:7]
	s_cbranch_execz .LBB62_195
; %bb.192:
	v_mov_b32_e32 v152, 0
	v_add_u32_e32 v152, 0xac, v152
	v_subrev_u32_e32 v153, 43, v0
	s_movk_i32 s14, 0x1ac
	s_mov_b64 s[6:7], 0
.LBB62_193:                             ; =>This Inner Loop Header: Depth=1
	buffer_load_dword v154, v152, s[0:3], 0 offen
	v_mov_b32_e32 v155, s14
	ds_read_b32 v155, v155
	v_add_u32_e32 v153, -1, v153
	s_add_i32 s14, s14, 4
	v_cmp_eq_u32_e32 vcc, 0, v153
	v_add_u32_e32 v152, 4, v152
	s_or_b64 s[6:7], vcc, s[6:7]
	s_waitcnt vmcnt(0) lgkmcnt(0)
	v_fmac_f32_e32 v151, v154, v155
	s_andn2_b64 exec, exec, s[6:7]
	s_cbranch_execnz .LBB62_193
; %bb.194:
	s_or_b64 exec, exec, s[6:7]
.LBB62_195:
	s_or_b64 exec, exec, s[12:13]
	v_mov_b32_e32 v152, 0
	ds_read_b32 v152, v152 offset:168
	s_waitcnt lgkmcnt(0)
	v_mul_f32_e32 v151, v151, v152
	buffer_store_dword v151, off, s[0:3], 0 offset:168
.LBB62_196:
	s_or_b64 exec, exec, s[8:9]
	buffer_load_dword v151, off, s[0:3], 0 offset:164
	v_cmp_lt_u32_e64 s[6:7], 41, v0
	s_waitcnt vmcnt(0)
	ds_write_b32 v128, v151
	s_waitcnt lgkmcnt(0)
	; wave barrier
	s_waitcnt lgkmcnt(0)
	s_and_saveexec_b64 s[8:9], s[6:7]
	s_cbranch_execz .LBB62_206
; %bb.197:
	s_andn2_b64 vcc, exec, s[10:11]
	s_cbranch_vccnz .LBB62_199
; %bb.198:
	buffer_load_dword v151, v129, s[0:3], 0 offen
	ds_read_b32 v152, v128
	s_waitcnt vmcnt(0) lgkmcnt(0)
	v_mul_f32_e32 v151, v151, v152
	s_cbranch_execz .LBB62_200
	s_branch .LBB62_201
.LBB62_199:
                                        ; implicit-def: $vgpr151
.LBB62_200:
	ds_read_b32 v151, v128
.LBB62_201:
	s_and_saveexec_b64 s[12:13], s[4:5]
	s_cbranch_execz .LBB62_205
; %bb.202:
	v_subrev_u32_e32 v152, 42, v0
	s_movk_i32 s14, 0x1a8
	s_mov_b64 s[4:5], 0
.LBB62_203:                             ; =>This Inner Loop Header: Depth=1
	buffer_load_dword v153, v150, s[0:3], 0 offen
	v_mov_b32_e32 v154, s14
	ds_read_b32 v154, v154
	v_add_u32_e32 v152, -1, v152
	s_add_i32 s14, s14, 4
	v_cmp_eq_u32_e32 vcc, 0, v152
	v_add_u32_e32 v150, 4, v150
	s_or_b64 s[4:5], vcc, s[4:5]
	s_waitcnt vmcnt(0) lgkmcnt(0)
	v_fmac_f32_e32 v151, v153, v154
	s_andn2_b64 exec, exec, s[4:5]
	s_cbranch_execnz .LBB62_203
; %bb.204:
	s_or_b64 exec, exec, s[4:5]
.LBB62_205:
	s_or_b64 exec, exec, s[12:13]
	v_mov_b32_e32 v150, 0
	ds_read_b32 v150, v150 offset:164
	s_waitcnt lgkmcnt(0)
	v_mul_f32_e32 v150, v151, v150
	buffer_store_dword v150, off, s[0:3], 0 offset:164
.LBB62_206:
	s_or_b64 exec, exec, s[8:9]
	buffer_load_dword v150, off, s[0:3], 0 offset:160
	v_cmp_lt_u32_e64 s[4:5], 40, v0
	s_waitcnt vmcnt(0)
	ds_write_b32 v128, v150
	s_waitcnt lgkmcnt(0)
	; wave barrier
	s_waitcnt lgkmcnt(0)
	s_and_saveexec_b64 s[8:9], s[4:5]
	s_cbranch_execz .LBB62_216
; %bb.207:
	s_andn2_b64 vcc, exec, s[10:11]
	s_cbranch_vccnz .LBB62_209
; %bb.208:
	buffer_load_dword v150, v129, s[0:3], 0 offen
	ds_read_b32 v151, v128
	s_waitcnt vmcnt(0) lgkmcnt(0)
	v_mul_f32_e32 v150, v150, v151
	s_cbranch_execz .LBB62_210
	s_branch .LBB62_211
.LBB62_209:
                                        ; implicit-def: $vgpr150
.LBB62_210:
	ds_read_b32 v150, v128
.LBB62_211:
	s_and_saveexec_b64 s[12:13], s[6:7]
	s_cbranch_execz .LBB62_215
; %bb.212:
	v_mov_b32_e32 v151, 0
	v_add_u32_e32 v151, 0xa4, v151
	v_subrev_u32_e32 v152, 41, v0
	s_movk_i32 s14, 0x1a4
	s_mov_b64 s[6:7], 0
.LBB62_213:                             ; =>This Inner Loop Header: Depth=1
	buffer_load_dword v153, v151, s[0:3], 0 offen
	v_mov_b32_e32 v154, s14
	ds_read_b32 v154, v154
	v_add_u32_e32 v152, -1, v152
	s_add_i32 s14, s14, 4
	v_cmp_eq_u32_e32 vcc, 0, v152
	v_add_u32_e32 v151, 4, v151
	s_or_b64 s[6:7], vcc, s[6:7]
	s_waitcnt vmcnt(0) lgkmcnt(0)
	v_fmac_f32_e32 v150, v153, v154
	s_andn2_b64 exec, exec, s[6:7]
	s_cbranch_execnz .LBB62_213
; %bb.214:
	s_or_b64 exec, exec, s[6:7]
.LBB62_215:
	s_or_b64 exec, exec, s[12:13]
	v_mov_b32_e32 v151, 0
	ds_read_b32 v151, v151 offset:160
	s_waitcnt lgkmcnt(0)
	v_mul_f32_e32 v150, v150, v151
	buffer_store_dword v150, off, s[0:3], 0 offset:160
.LBB62_216:
	s_or_b64 exec, exec, s[8:9]
	buffer_load_dword v150, off, s[0:3], 0 offset:156
	v_cmp_lt_u32_e64 s[6:7], 39, v0
	s_waitcnt vmcnt(0)
	ds_write_b32 v128, v150
	s_waitcnt lgkmcnt(0)
	; wave barrier
	s_waitcnt lgkmcnt(0)
	s_and_saveexec_b64 s[8:9], s[6:7]
	s_cbranch_execz .LBB62_226
; %bb.217:
	s_andn2_b64 vcc, exec, s[10:11]
	s_cbranch_vccnz .LBB62_219
; %bb.218:
	buffer_load_dword v150, v129, s[0:3], 0 offen
	ds_read_b32 v151, v128
	s_waitcnt vmcnt(0) lgkmcnt(0)
	v_mul_f32_e32 v150, v150, v151
	s_cbranch_execz .LBB62_220
	s_branch .LBB62_221
.LBB62_219:
                                        ; implicit-def: $vgpr150
.LBB62_220:
	ds_read_b32 v150, v128
.LBB62_221:
	s_and_saveexec_b64 s[12:13], s[4:5]
	s_cbranch_execz .LBB62_225
; %bb.222:
	v_subrev_u32_e32 v151, 40, v0
	s_movk_i32 s14, 0x1a0
	s_mov_b64 s[4:5], 0
.LBB62_223:                             ; =>This Inner Loop Header: Depth=1
	buffer_load_dword v152, v149, s[0:3], 0 offen
	v_mov_b32_e32 v153, s14
	ds_read_b32 v153, v153
	v_add_u32_e32 v151, -1, v151
	s_add_i32 s14, s14, 4
	v_cmp_eq_u32_e32 vcc, 0, v151
	v_add_u32_e32 v149, 4, v149
	s_or_b64 s[4:5], vcc, s[4:5]
	s_waitcnt vmcnt(0) lgkmcnt(0)
	v_fmac_f32_e32 v150, v152, v153
	s_andn2_b64 exec, exec, s[4:5]
	s_cbranch_execnz .LBB62_223
; %bb.224:
	s_or_b64 exec, exec, s[4:5]
.LBB62_225:
	s_or_b64 exec, exec, s[12:13]
	v_mov_b32_e32 v149, 0
	ds_read_b32 v149, v149 offset:156
	s_waitcnt lgkmcnt(0)
	v_mul_f32_e32 v149, v150, v149
	buffer_store_dword v149, off, s[0:3], 0 offset:156
.LBB62_226:
	s_or_b64 exec, exec, s[8:9]
	buffer_load_dword v149, off, s[0:3], 0 offset:152
	v_cmp_lt_u32_e64 s[4:5], 38, v0
	s_waitcnt vmcnt(0)
	ds_write_b32 v128, v149
	s_waitcnt lgkmcnt(0)
	; wave barrier
	s_waitcnt lgkmcnt(0)
	s_and_saveexec_b64 s[8:9], s[4:5]
	s_cbranch_execz .LBB62_236
; %bb.227:
	s_andn2_b64 vcc, exec, s[10:11]
	s_cbranch_vccnz .LBB62_229
; %bb.228:
	buffer_load_dword v149, v129, s[0:3], 0 offen
	ds_read_b32 v150, v128
	s_waitcnt vmcnt(0) lgkmcnt(0)
	v_mul_f32_e32 v149, v149, v150
	s_cbranch_execz .LBB62_230
	s_branch .LBB62_231
.LBB62_229:
                                        ; implicit-def: $vgpr149
.LBB62_230:
	ds_read_b32 v149, v128
.LBB62_231:
	s_and_saveexec_b64 s[12:13], s[6:7]
	s_cbranch_execz .LBB62_235
; %bb.232:
	v_mov_b32_e32 v150, 0
	v_add_u32_e32 v150, 0x9c, v150
	v_subrev_u32_e32 v151, 39, v0
	s_movk_i32 s14, 0x19c
	s_mov_b64 s[6:7], 0
.LBB62_233:                             ; =>This Inner Loop Header: Depth=1
	buffer_load_dword v152, v150, s[0:3], 0 offen
	v_mov_b32_e32 v153, s14
	ds_read_b32 v153, v153
	v_add_u32_e32 v151, -1, v151
	s_add_i32 s14, s14, 4
	v_cmp_eq_u32_e32 vcc, 0, v151
	v_add_u32_e32 v150, 4, v150
	s_or_b64 s[6:7], vcc, s[6:7]
	s_waitcnt vmcnt(0) lgkmcnt(0)
	v_fmac_f32_e32 v149, v152, v153
	s_andn2_b64 exec, exec, s[6:7]
	s_cbranch_execnz .LBB62_233
; %bb.234:
	s_or_b64 exec, exec, s[6:7]
.LBB62_235:
	s_or_b64 exec, exec, s[12:13]
	v_mov_b32_e32 v150, 0
	ds_read_b32 v150, v150 offset:152
	s_waitcnt lgkmcnt(0)
	v_mul_f32_e32 v149, v149, v150
	buffer_store_dword v149, off, s[0:3], 0 offset:152
.LBB62_236:
	s_or_b64 exec, exec, s[8:9]
	buffer_load_dword v149, off, s[0:3], 0 offset:148
	v_cmp_lt_u32_e64 s[6:7], 37, v0
	s_waitcnt vmcnt(0)
	ds_write_b32 v128, v149
	s_waitcnt lgkmcnt(0)
	; wave barrier
	s_waitcnt lgkmcnt(0)
	s_and_saveexec_b64 s[8:9], s[6:7]
	s_cbranch_execz .LBB62_246
; %bb.237:
	s_andn2_b64 vcc, exec, s[10:11]
	s_cbranch_vccnz .LBB62_239
; %bb.238:
	buffer_load_dword v149, v129, s[0:3], 0 offen
	ds_read_b32 v150, v128
	s_waitcnt vmcnt(0) lgkmcnt(0)
	v_mul_f32_e32 v149, v149, v150
	s_cbranch_execz .LBB62_240
	s_branch .LBB62_241
.LBB62_239:
                                        ; implicit-def: $vgpr149
.LBB62_240:
	ds_read_b32 v149, v128
.LBB62_241:
	s_and_saveexec_b64 s[12:13], s[4:5]
	s_cbranch_execz .LBB62_245
; %bb.242:
	v_subrev_u32_e32 v150, 38, v0
	s_movk_i32 s14, 0x198
	s_mov_b64 s[4:5], 0
.LBB62_243:                             ; =>This Inner Loop Header: Depth=1
	buffer_load_dword v151, v148, s[0:3], 0 offen
	v_mov_b32_e32 v152, s14
	ds_read_b32 v152, v152
	v_add_u32_e32 v150, -1, v150
	s_add_i32 s14, s14, 4
	v_cmp_eq_u32_e32 vcc, 0, v150
	v_add_u32_e32 v148, 4, v148
	s_or_b64 s[4:5], vcc, s[4:5]
	s_waitcnt vmcnt(0) lgkmcnt(0)
	v_fmac_f32_e32 v149, v151, v152
	s_andn2_b64 exec, exec, s[4:5]
	s_cbranch_execnz .LBB62_243
; %bb.244:
	s_or_b64 exec, exec, s[4:5]
.LBB62_245:
	s_or_b64 exec, exec, s[12:13]
	v_mov_b32_e32 v148, 0
	ds_read_b32 v148, v148 offset:148
	s_waitcnt lgkmcnt(0)
	v_mul_f32_e32 v148, v149, v148
	buffer_store_dword v148, off, s[0:3], 0 offset:148
.LBB62_246:
	s_or_b64 exec, exec, s[8:9]
	buffer_load_dword v148, off, s[0:3], 0 offset:144
	v_cmp_lt_u32_e64 s[4:5], 36, v0
	s_waitcnt vmcnt(0)
	ds_write_b32 v128, v148
	s_waitcnt lgkmcnt(0)
	; wave barrier
	s_waitcnt lgkmcnt(0)
	s_and_saveexec_b64 s[8:9], s[4:5]
	s_cbranch_execz .LBB62_256
; %bb.247:
	s_andn2_b64 vcc, exec, s[10:11]
	s_cbranch_vccnz .LBB62_249
; %bb.248:
	buffer_load_dword v148, v129, s[0:3], 0 offen
	ds_read_b32 v149, v128
	s_waitcnt vmcnt(0) lgkmcnt(0)
	v_mul_f32_e32 v148, v148, v149
	s_cbranch_execz .LBB62_250
	s_branch .LBB62_251
.LBB62_249:
                                        ; implicit-def: $vgpr148
.LBB62_250:
	ds_read_b32 v148, v128
.LBB62_251:
	s_and_saveexec_b64 s[12:13], s[6:7]
	s_cbranch_execz .LBB62_255
; %bb.252:
	v_mov_b32_e32 v149, 0
	v_add_u32_e32 v149, 0x94, v149
	v_subrev_u32_e32 v150, 37, v0
	s_movk_i32 s14, 0x194
	s_mov_b64 s[6:7], 0
.LBB62_253:                             ; =>This Inner Loop Header: Depth=1
	buffer_load_dword v151, v149, s[0:3], 0 offen
	v_mov_b32_e32 v152, s14
	ds_read_b32 v152, v152
	v_add_u32_e32 v150, -1, v150
	s_add_i32 s14, s14, 4
	v_cmp_eq_u32_e32 vcc, 0, v150
	v_add_u32_e32 v149, 4, v149
	s_or_b64 s[6:7], vcc, s[6:7]
	s_waitcnt vmcnt(0) lgkmcnt(0)
	v_fmac_f32_e32 v148, v151, v152
	s_andn2_b64 exec, exec, s[6:7]
	s_cbranch_execnz .LBB62_253
; %bb.254:
	s_or_b64 exec, exec, s[6:7]
.LBB62_255:
	s_or_b64 exec, exec, s[12:13]
	v_mov_b32_e32 v149, 0
	ds_read_b32 v149, v149 offset:144
	s_waitcnt lgkmcnt(0)
	v_mul_f32_e32 v148, v148, v149
	buffer_store_dword v148, off, s[0:3], 0 offset:144
.LBB62_256:
	s_or_b64 exec, exec, s[8:9]
	buffer_load_dword v148, off, s[0:3], 0 offset:140
	v_cmp_lt_u32_e64 s[6:7], 35, v0
	s_waitcnt vmcnt(0)
	ds_write_b32 v128, v148
	s_waitcnt lgkmcnt(0)
	; wave barrier
	s_waitcnt lgkmcnt(0)
	s_and_saveexec_b64 s[8:9], s[6:7]
	s_cbranch_execz .LBB62_266
; %bb.257:
	s_andn2_b64 vcc, exec, s[10:11]
	s_cbranch_vccnz .LBB62_259
; %bb.258:
	buffer_load_dword v148, v129, s[0:3], 0 offen
	ds_read_b32 v149, v128
	s_waitcnt vmcnt(0) lgkmcnt(0)
	v_mul_f32_e32 v148, v148, v149
	s_cbranch_execz .LBB62_260
	s_branch .LBB62_261
.LBB62_259:
                                        ; implicit-def: $vgpr148
.LBB62_260:
	ds_read_b32 v148, v128
.LBB62_261:
	s_and_saveexec_b64 s[12:13], s[4:5]
	s_cbranch_execz .LBB62_265
; %bb.262:
	v_subrev_u32_e32 v149, 36, v0
	s_movk_i32 s14, 0x190
	s_mov_b64 s[4:5], 0
.LBB62_263:                             ; =>This Inner Loop Header: Depth=1
	buffer_load_dword v150, v147, s[0:3], 0 offen
	v_mov_b32_e32 v151, s14
	ds_read_b32 v151, v151
	v_add_u32_e32 v149, -1, v149
	s_add_i32 s14, s14, 4
	v_cmp_eq_u32_e32 vcc, 0, v149
	v_add_u32_e32 v147, 4, v147
	s_or_b64 s[4:5], vcc, s[4:5]
	s_waitcnt vmcnt(0) lgkmcnt(0)
	v_fmac_f32_e32 v148, v150, v151
	s_andn2_b64 exec, exec, s[4:5]
	s_cbranch_execnz .LBB62_263
; %bb.264:
	s_or_b64 exec, exec, s[4:5]
.LBB62_265:
	s_or_b64 exec, exec, s[12:13]
	v_mov_b32_e32 v147, 0
	ds_read_b32 v147, v147 offset:140
	s_waitcnt lgkmcnt(0)
	v_mul_f32_e32 v147, v148, v147
	buffer_store_dword v147, off, s[0:3], 0 offset:140
.LBB62_266:
	s_or_b64 exec, exec, s[8:9]
	buffer_load_dword v147, off, s[0:3], 0 offset:136
	v_cmp_lt_u32_e64 s[4:5], 34, v0
	s_waitcnt vmcnt(0)
	ds_write_b32 v128, v147
	s_waitcnt lgkmcnt(0)
	; wave barrier
	s_waitcnt lgkmcnt(0)
	s_and_saveexec_b64 s[8:9], s[4:5]
	s_cbranch_execz .LBB62_276
; %bb.267:
	s_andn2_b64 vcc, exec, s[10:11]
	s_cbranch_vccnz .LBB62_269
; %bb.268:
	buffer_load_dword v147, v129, s[0:3], 0 offen
	ds_read_b32 v148, v128
	s_waitcnt vmcnt(0) lgkmcnt(0)
	v_mul_f32_e32 v147, v147, v148
	s_cbranch_execz .LBB62_270
	s_branch .LBB62_271
.LBB62_269:
                                        ; implicit-def: $vgpr147
.LBB62_270:
	ds_read_b32 v147, v128
.LBB62_271:
	s_and_saveexec_b64 s[12:13], s[6:7]
	s_cbranch_execz .LBB62_275
; %bb.272:
	v_mov_b32_e32 v148, 0
	v_add_u32_e32 v148, 0x8c, v148
	v_subrev_u32_e32 v149, 35, v0
	s_movk_i32 s14, 0x18c
	s_mov_b64 s[6:7], 0
.LBB62_273:                             ; =>This Inner Loop Header: Depth=1
	buffer_load_dword v150, v148, s[0:3], 0 offen
	v_mov_b32_e32 v151, s14
	ds_read_b32 v151, v151
	v_add_u32_e32 v149, -1, v149
	s_add_i32 s14, s14, 4
	v_cmp_eq_u32_e32 vcc, 0, v149
	v_add_u32_e32 v148, 4, v148
	s_or_b64 s[6:7], vcc, s[6:7]
	s_waitcnt vmcnt(0) lgkmcnt(0)
	v_fmac_f32_e32 v147, v150, v151
	s_andn2_b64 exec, exec, s[6:7]
	s_cbranch_execnz .LBB62_273
; %bb.274:
	s_or_b64 exec, exec, s[6:7]
.LBB62_275:
	s_or_b64 exec, exec, s[12:13]
	v_mov_b32_e32 v148, 0
	ds_read_b32 v148, v148 offset:136
	s_waitcnt lgkmcnt(0)
	v_mul_f32_e32 v147, v147, v148
	buffer_store_dword v147, off, s[0:3], 0 offset:136
.LBB62_276:
	s_or_b64 exec, exec, s[8:9]
	buffer_load_dword v147, off, s[0:3], 0 offset:132
	v_cmp_lt_u32_e64 s[6:7], 33, v0
	s_waitcnt vmcnt(0)
	ds_write_b32 v128, v147
	s_waitcnt lgkmcnt(0)
	; wave barrier
	s_waitcnt lgkmcnt(0)
	s_and_saveexec_b64 s[8:9], s[6:7]
	s_cbranch_execz .LBB62_286
; %bb.277:
	s_andn2_b64 vcc, exec, s[10:11]
	s_cbranch_vccnz .LBB62_279
; %bb.278:
	buffer_load_dword v147, v129, s[0:3], 0 offen
	ds_read_b32 v148, v128
	s_waitcnt vmcnt(0) lgkmcnt(0)
	v_mul_f32_e32 v147, v147, v148
	s_cbranch_execz .LBB62_280
	s_branch .LBB62_281
.LBB62_279:
                                        ; implicit-def: $vgpr147
.LBB62_280:
	ds_read_b32 v147, v128
.LBB62_281:
	s_and_saveexec_b64 s[12:13], s[4:5]
	s_cbranch_execz .LBB62_285
; %bb.282:
	v_subrev_u32_e32 v148, 34, v0
	s_movk_i32 s14, 0x188
	s_mov_b64 s[4:5], 0
.LBB62_283:                             ; =>This Inner Loop Header: Depth=1
	buffer_load_dword v149, v146, s[0:3], 0 offen
	v_mov_b32_e32 v150, s14
	ds_read_b32 v150, v150
	v_add_u32_e32 v148, -1, v148
	s_add_i32 s14, s14, 4
	v_cmp_eq_u32_e32 vcc, 0, v148
	v_add_u32_e32 v146, 4, v146
	s_or_b64 s[4:5], vcc, s[4:5]
	s_waitcnt vmcnt(0) lgkmcnt(0)
	v_fmac_f32_e32 v147, v149, v150
	s_andn2_b64 exec, exec, s[4:5]
	s_cbranch_execnz .LBB62_283
; %bb.284:
	s_or_b64 exec, exec, s[4:5]
.LBB62_285:
	s_or_b64 exec, exec, s[12:13]
	v_mov_b32_e32 v146, 0
	ds_read_b32 v146, v146 offset:132
	s_waitcnt lgkmcnt(0)
	v_mul_f32_e32 v146, v147, v146
	buffer_store_dword v146, off, s[0:3], 0 offset:132
.LBB62_286:
	s_or_b64 exec, exec, s[8:9]
	buffer_load_dword v146, off, s[0:3], 0 offset:128
	v_cmp_lt_u32_e64 s[4:5], 32, v0
	s_waitcnt vmcnt(0)
	ds_write_b32 v128, v146
	s_waitcnt lgkmcnt(0)
	; wave barrier
	s_waitcnt lgkmcnt(0)
	s_and_saveexec_b64 s[8:9], s[4:5]
	s_cbranch_execz .LBB62_296
; %bb.287:
	s_andn2_b64 vcc, exec, s[10:11]
	s_cbranch_vccnz .LBB62_289
; %bb.288:
	buffer_load_dword v146, v129, s[0:3], 0 offen
	ds_read_b32 v147, v128
	s_waitcnt vmcnt(0) lgkmcnt(0)
	v_mul_f32_e32 v146, v146, v147
	s_cbranch_execz .LBB62_290
	s_branch .LBB62_291
.LBB62_289:
                                        ; implicit-def: $vgpr146
.LBB62_290:
	ds_read_b32 v146, v128
.LBB62_291:
	s_and_saveexec_b64 s[12:13], s[6:7]
	s_cbranch_execz .LBB62_295
; %bb.292:
	v_mov_b32_e32 v147, 0
	v_add_u32_e32 v147, 0x84, v147
	v_subrev_u32_e32 v148, 33, v0
	s_movk_i32 s14, 0x184
	s_mov_b64 s[6:7], 0
.LBB62_293:                             ; =>This Inner Loop Header: Depth=1
	buffer_load_dword v149, v147, s[0:3], 0 offen
	v_mov_b32_e32 v150, s14
	ds_read_b32 v150, v150
	v_add_u32_e32 v148, -1, v148
	s_add_i32 s14, s14, 4
	v_cmp_eq_u32_e32 vcc, 0, v148
	v_add_u32_e32 v147, 4, v147
	s_or_b64 s[6:7], vcc, s[6:7]
	s_waitcnt vmcnt(0) lgkmcnt(0)
	v_fmac_f32_e32 v146, v149, v150
	s_andn2_b64 exec, exec, s[6:7]
	s_cbranch_execnz .LBB62_293
; %bb.294:
	s_or_b64 exec, exec, s[6:7]
.LBB62_295:
	s_or_b64 exec, exec, s[12:13]
	v_mov_b32_e32 v147, 0
	ds_read_b32 v147, v147 offset:128
	s_waitcnt lgkmcnt(0)
	v_mul_f32_e32 v146, v146, v147
	buffer_store_dword v146, off, s[0:3], 0 offset:128
.LBB62_296:
	s_or_b64 exec, exec, s[8:9]
	buffer_load_dword v146, off, s[0:3], 0 offset:124
	v_cmp_lt_u32_e64 s[6:7], 31, v0
	s_waitcnt vmcnt(0)
	ds_write_b32 v128, v146
	s_waitcnt lgkmcnt(0)
	; wave barrier
	s_waitcnt lgkmcnt(0)
	s_and_saveexec_b64 s[8:9], s[6:7]
	s_cbranch_execz .LBB62_306
; %bb.297:
	s_andn2_b64 vcc, exec, s[10:11]
	s_cbranch_vccnz .LBB62_299
; %bb.298:
	buffer_load_dword v146, v129, s[0:3], 0 offen
	ds_read_b32 v147, v128
	s_waitcnt vmcnt(0) lgkmcnt(0)
	v_mul_f32_e32 v146, v146, v147
	s_cbranch_execz .LBB62_300
	s_branch .LBB62_301
.LBB62_299:
                                        ; implicit-def: $vgpr146
.LBB62_300:
	ds_read_b32 v146, v128
.LBB62_301:
	s_and_saveexec_b64 s[12:13], s[4:5]
	s_cbranch_execz .LBB62_305
; %bb.302:
	v_subrev_u32_e32 v147, 32, v0
	s_movk_i32 s14, 0x180
	s_mov_b64 s[4:5], 0
.LBB62_303:                             ; =>This Inner Loop Header: Depth=1
	buffer_load_dword v148, v145, s[0:3], 0 offen
	v_mov_b32_e32 v149, s14
	ds_read_b32 v149, v149
	v_add_u32_e32 v147, -1, v147
	s_add_i32 s14, s14, 4
	v_cmp_eq_u32_e32 vcc, 0, v147
	v_add_u32_e32 v145, 4, v145
	s_or_b64 s[4:5], vcc, s[4:5]
	s_waitcnt vmcnt(0) lgkmcnt(0)
	v_fmac_f32_e32 v146, v148, v149
	s_andn2_b64 exec, exec, s[4:5]
	s_cbranch_execnz .LBB62_303
; %bb.304:
	s_or_b64 exec, exec, s[4:5]
.LBB62_305:
	s_or_b64 exec, exec, s[12:13]
	v_mov_b32_e32 v145, 0
	ds_read_b32 v145, v145 offset:124
	s_waitcnt lgkmcnt(0)
	v_mul_f32_e32 v145, v146, v145
	buffer_store_dword v145, off, s[0:3], 0 offset:124
.LBB62_306:
	s_or_b64 exec, exec, s[8:9]
	buffer_load_dword v145, off, s[0:3], 0 offset:120
	v_cmp_lt_u32_e64 s[4:5], 30, v0
	s_waitcnt vmcnt(0)
	ds_write_b32 v128, v145
	s_waitcnt lgkmcnt(0)
	; wave barrier
	s_waitcnt lgkmcnt(0)
	s_and_saveexec_b64 s[8:9], s[4:5]
	s_cbranch_execz .LBB62_316
; %bb.307:
	s_andn2_b64 vcc, exec, s[10:11]
	s_cbranch_vccnz .LBB62_309
; %bb.308:
	buffer_load_dword v145, v129, s[0:3], 0 offen
	ds_read_b32 v146, v128
	s_waitcnt vmcnt(0) lgkmcnt(0)
	v_mul_f32_e32 v145, v145, v146
	s_cbranch_execz .LBB62_310
	s_branch .LBB62_311
.LBB62_309:
                                        ; implicit-def: $vgpr145
.LBB62_310:
	ds_read_b32 v145, v128
.LBB62_311:
	s_and_saveexec_b64 s[12:13], s[6:7]
	s_cbranch_execz .LBB62_315
; %bb.312:
	v_mov_b32_e32 v146, 0
	v_add_u32_e32 v146, 0x7c, v146
	v_subrev_u32_e32 v147, 31, v0
	s_movk_i32 s14, 0x17c
	s_mov_b64 s[6:7], 0
.LBB62_313:                             ; =>This Inner Loop Header: Depth=1
	buffer_load_dword v148, v146, s[0:3], 0 offen
	v_mov_b32_e32 v149, s14
	ds_read_b32 v149, v149
	v_add_u32_e32 v147, -1, v147
	s_add_i32 s14, s14, 4
	v_cmp_eq_u32_e32 vcc, 0, v147
	v_add_u32_e32 v146, 4, v146
	s_or_b64 s[6:7], vcc, s[6:7]
	s_waitcnt vmcnt(0) lgkmcnt(0)
	v_fmac_f32_e32 v145, v148, v149
	s_andn2_b64 exec, exec, s[6:7]
	s_cbranch_execnz .LBB62_313
; %bb.314:
	s_or_b64 exec, exec, s[6:7]
.LBB62_315:
	s_or_b64 exec, exec, s[12:13]
	v_mov_b32_e32 v146, 0
	ds_read_b32 v146, v146 offset:120
	s_waitcnt lgkmcnt(0)
	v_mul_f32_e32 v145, v145, v146
	buffer_store_dword v145, off, s[0:3], 0 offset:120
.LBB62_316:
	s_or_b64 exec, exec, s[8:9]
	buffer_load_dword v145, off, s[0:3], 0 offset:116
	v_cmp_lt_u32_e64 s[6:7], 29, v0
	s_waitcnt vmcnt(0)
	ds_write_b32 v128, v145
	s_waitcnt lgkmcnt(0)
	; wave barrier
	s_waitcnt lgkmcnt(0)
	s_and_saveexec_b64 s[8:9], s[6:7]
	s_cbranch_execz .LBB62_326
; %bb.317:
	s_andn2_b64 vcc, exec, s[10:11]
	s_cbranch_vccnz .LBB62_319
; %bb.318:
	buffer_load_dword v145, v129, s[0:3], 0 offen
	ds_read_b32 v146, v128
	s_waitcnt vmcnt(0) lgkmcnt(0)
	v_mul_f32_e32 v145, v145, v146
	s_cbranch_execz .LBB62_320
	s_branch .LBB62_321
.LBB62_319:
                                        ; implicit-def: $vgpr145
.LBB62_320:
	ds_read_b32 v145, v128
.LBB62_321:
	s_and_saveexec_b64 s[12:13], s[4:5]
	s_cbranch_execz .LBB62_325
; %bb.322:
	v_subrev_u32_e32 v146, 30, v0
	s_movk_i32 s14, 0x178
	s_mov_b64 s[4:5], 0
.LBB62_323:                             ; =>This Inner Loop Header: Depth=1
	buffer_load_dword v147, v144, s[0:3], 0 offen
	v_mov_b32_e32 v148, s14
	ds_read_b32 v148, v148
	v_add_u32_e32 v146, -1, v146
	s_add_i32 s14, s14, 4
	v_cmp_eq_u32_e32 vcc, 0, v146
	v_add_u32_e32 v144, 4, v144
	s_or_b64 s[4:5], vcc, s[4:5]
	s_waitcnt vmcnt(0) lgkmcnt(0)
	v_fmac_f32_e32 v145, v147, v148
	s_andn2_b64 exec, exec, s[4:5]
	s_cbranch_execnz .LBB62_323
; %bb.324:
	s_or_b64 exec, exec, s[4:5]
.LBB62_325:
	s_or_b64 exec, exec, s[12:13]
	v_mov_b32_e32 v144, 0
	ds_read_b32 v144, v144 offset:116
	s_waitcnt lgkmcnt(0)
	v_mul_f32_e32 v144, v145, v144
	buffer_store_dword v144, off, s[0:3], 0 offset:116
.LBB62_326:
	s_or_b64 exec, exec, s[8:9]
	buffer_load_dword v144, off, s[0:3], 0 offset:112
	v_cmp_lt_u32_e64 s[4:5], 28, v0
	s_waitcnt vmcnt(0)
	ds_write_b32 v128, v144
	s_waitcnt lgkmcnt(0)
	; wave barrier
	s_waitcnt lgkmcnt(0)
	s_and_saveexec_b64 s[8:9], s[4:5]
	s_cbranch_execz .LBB62_336
; %bb.327:
	s_andn2_b64 vcc, exec, s[10:11]
	s_cbranch_vccnz .LBB62_329
; %bb.328:
	buffer_load_dword v144, v129, s[0:3], 0 offen
	ds_read_b32 v145, v128
	s_waitcnt vmcnt(0) lgkmcnt(0)
	v_mul_f32_e32 v144, v144, v145
	s_cbranch_execz .LBB62_330
	s_branch .LBB62_331
.LBB62_329:
                                        ; implicit-def: $vgpr144
.LBB62_330:
	ds_read_b32 v144, v128
.LBB62_331:
	s_and_saveexec_b64 s[12:13], s[6:7]
	s_cbranch_execz .LBB62_335
; %bb.332:
	v_mov_b32_e32 v145, 0
	v_add_u32_e32 v145, 0x74, v145
	v_subrev_u32_e32 v146, 29, v0
	s_movk_i32 s14, 0x174
	s_mov_b64 s[6:7], 0
.LBB62_333:                             ; =>This Inner Loop Header: Depth=1
	buffer_load_dword v147, v145, s[0:3], 0 offen
	v_mov_b32_e32 v148, s14
	ds_read_b32 v148, v148
	v_add_u32_e32 v146, -1, v146
	s_add_i32 s14, s14, 4
	v_cmp_eq_u32_e32 vcc, 0, v146
	v_add_u32_e32 v145, 4, v145
	s_or_b64 s[6:7], vcc, s[6:7]
	s_waitcnt vmcnt(0) lgkmcnt(0)
	v_fmac_f32_e32 v144, v147, v148
	s_andn2_b64 exec, exec, s[6:7]
	s_cbranch_execnz .LBB62_333
; %bb.334:
	s_or_b64 exec, exec, s[6:7]
.LBB62_335:
	s_or_b64 exec, exec, s[12:13]
	v_mov_b32_e32 v145, 0
	ds_read_b32 v145, v145 offset:112
	s_waitcnt lgkmcnt(0)
	v_mul_f32_e32 v144, v144, v145
	buffer_store_dword v144, off, s[0:3], 0 offset:112
.LBB62_336:
	s_or_b64 exec, exec, s[8:9]
	buffer_load_dword v144, off, s[0:3], 0 offset:108
	v_cmp_lt_u32_e64 s[6:7], 27, v0
	s_waitcnt vmcnt(0)
	ds_write_b32 v128, v144
	s_waitcnt lgkmcnt(0)
	; wave barrier
	s_waitcnt lgkmcnt(0)
	s_and_saveexec_b64 s[8:9], s[6:7]
	s_cbranch_execz .LBB62_346
; %bb.337:
	s_andn2_b64 vcc, exec, s[10:11]
	s_cbranch_vccnz .LBB62_339
; %bb.338:
	buffer_load_dword v144, v129, s[0:3], 0 offen
	ds_read_b32 v145, v128
	s_waitcnt vmcnt(0) lgkmcnt(0)
	v_mul_f32_e32 v144, v144, v145
	s_cbranch_execz .LBB62_340
	s_branch .LBB62_341
.LBB62_339:
                                        ; implicit-def: $vgpr144
.LBB62_340:
	ds_read_b32 v144, v128
.LBB62_341:
	s_and_saveexec_b64 s[12:13], s[4:5]
	s_cbranch_execz .LBB62_345
; %bb.342:
	v_subrev_u32_e32 v145, 28, v0
	s_movk_i32 s14, 0x170
	s_mov_b64 s[4:5], 0
.LBB62_343:                             ; =>This Inner Loop Header: Depth=1
	buffer_load_dword v146, v143, s[0:3], 0 offen
	v_mov_b32_e32 v147, s14
	ds_read_b32 v147, v147
	v_add_u32_e32 v145, -1, v145
	s_add_i32 s14, s14, 4
	v_cmp_eq_u32_e32 vcc, 0, v145
	v_add_u32_e32 v143, 4, v143
	s_or_b64 s[4:5], vcc, s[4:5]
	s_waitcnt vmcnt(0) lgkmcnt(0)
	v_fmac_f32_e32 v144, v146, v147
	s_andn2_b64 exec, exec, s[4:5]
	s_cbranch_execnz .LBB62_343
; %bb.344:
	s_or_b64 exec, exec, s[4:5]
.LBB62_345:
	s_or_b64 exec, exec, s[12:13]
	v_mov_b32_e32 v143, 0
	ds_read_b32 v143, v143 offset:108
	s_waitcnt lgkmcnt(0)
	v_mul_f32_e32 v143, v144, v143
	buffer_store_dword v143, off, s[0:3], 0 offset:108
.LBB62_346:
	s_or_b64 exec, exec, s[8:9]
	buffer_load_dword v143, off, s[0:3], 0 offset:104
	v_cmp_lt_u32_e64 s[4:5], 26, v0
	s_waitcnt vmcnt(0)
	ds_write_b32 v128, v143
	s_waitcnt lgkmcnt(0)
	; wave barrier
	s_waitcnt lgkmcnt(0)
	s_and_saveexec_b64 s[8:9], s[4:5]
	s_cbranch_execz .LBB62_356
; %bb.347:
	s_andn2_b64 vcc, exec, s[10:11]
	s_cbranch_vccnz .LBB62_349
; %bb.348:
	buffer_load_dword v143, v129, s[0:3], 0 offen
	ds_read_b32 v144, v128
	s_waitcnt vmcnt(0) lgkmcnt(0)
	v_mul_f32_e32 v143, v143, v144
	s_cbranch_execz .LBB62_350
	s_branch .LBB62_351
.LBB62_349:
                                        ; implicit-def: $vgpr143
.LBB62_350:
	ds_read_b32 v143, v128
.LBB62_351:
	s_and_saveexec_b64 s[12:13], s[6:7]
	s_cbranch_execz .LBB62_355
; %bb.352:
	v_mov_b32_e32 v144, 0
	v_add_u32_e32 v144, 0x6c, v144
	v_subrev_u32_e32 v145, 27, v0
	s_movk_i32 s14, 0x16c
	s_mov_b64 s[6:7], 0
.LBB62_353:                             ; =>This Inner Loop Header: Depth=1
	buffer_load_dword v146, v144, s[0:3], 0 offen
	v_mov_b32_e32 v147, s14
	ds_read_b32 v147, v147
	v_add_u32_e32 v145, -1, v145
	s_add_i32 s14, s14, 4
	v_cmp_eq_u32_e32 vcc, 0, v145
	v_add_u32_e32 v144, 4, v144
	s_or_b64 s[6:7], vcc, s[6:7]
	s_waitcnt vmcnt(0) lgkmcnt(0)
	v_fmac_f32_e32 v143, v146, v147
	s_andn2_b64 exec, exec, s[6:7]
	s_cbranch_execnz .LBB62_353
; %bb.354:
	s_or_b64 exec, exec, s[6:7]
.LBB62_355:
	s_or_b64 exec, exec, s[12:13]
	v_mov_b32_e32 v144, 0
	ds_read_b32 v144, v144 offset:104
	s_waitcnt lgkmcnt(0)
	v_mul_f32_e32 v143, v143, v144
	buffer_store_dword v143, off, s[0:3], 0 offset:104
.LBB62_356:
	s_or_b64 exec, exec, s[8:9]
	buffer_load_dword v143, off, s[0:3], 0 offset:100
	v_cmp_lt_u32_e64 s[6:7], 25, v0
	s_waitcnt vmcnt(0)
	ds_write_b32 v128, v143
	s_waitcnt lgkmcnt(0)
	; wave barrier
	s_waitcnt lgkmcnt(0)
	s_and_saveexec_b64 s[8:9], s[6:7]
	s_cbranch_execz .LBB62_366
; %bb.357:
	s_andn2_b64 vcc, exec, s[10:11]
	s_cbranch_vccnz .LBB62_359
; %bb.358:
	buffer_load_dword v143, v129, s[0:3], 0 offen
	ds_read_b32 v144, v128
	s_waitcnt vmcnt(0) lgkmcnt(0)
	v_mul_f32_e32 v143, v143, v144
	s_cbranch_execz .LBB62_360
	s_branch .LBB62_361
.LBB62_359:
                                        ; implicit-def: $vgpr143
.LBB62_360:
	ds_read_b32 v143, v128
.LBB62_361:
	s_and_saveexec_b64 s[12:13], s[4:5]
	s_cbranch_execz .LBB62_365
; %bb.362:
	v_subrev_u32_e32 v144, 26, v0
	s_movk_i32 s14, 0x168
	s_mov_b64 s[4:5], 0
.LBB62_363:                             ; =>This Inner Loop Header: Depth=1
	buffer_load_dword v145, v142, s[0:3], 0 offen
	v_mov_b32_e32 v146, s14
	ds_read_b32 v146, v146
	v_add_u32_e32 v144, -1, v144
	s_add_i32 s14, s14, 4
	v_cmp_eq_u32_e32 vcc, 0, v144
	v_add_u32_e32 v142, 4, v142
	s_or_b64 s[4:5], vcc, s[4:5]
	s_waitcnt vmcnt(0) lgkmcnt(0)
	v_fmac_f32_e32 v143, v145, v146
	s_andn2_b64 exec, exec, s[4:5]
	s_cbranch_execnz .LBB62_363
; %bb.364:
	s_or_b64 exec, exec, s[4:5]
.LBB62_365:
	s_or_b64 exec, exec, s[12:13]
	v_mov_b32_e32 v142, 0
	ds_read_b32 v142, v142 offset:100
	s_waitcnt lgkmcnt(0)
	v_mul_f32_e32 v142, v143, v142
	buffer_store_dword v142, off, s[0:3], 0 offset:100
.LBB62_366:
	s_or_b64 exec, exec, s[8:9]
	buffer_load_dword v142, off, s[0:3], 0 offset:96
	v_cmp_lt_u32_e64 s[4:5], 24, v0
	s_waitcnt vmcnt(0)
	ds_write_b32 v128, v142
	s_waitcnt lgkmcnt(0)
	; wave barrier
	s_waitcnt lgkmcnt(0)
	s_and_saveexec_b64 s[8:9], s[4:5]
	s_cbranch_execz .LBB62_376
; %bb.367:
	s_andn2_b64 vcc, exec, s[10:11]
	s_cbranch_vccnz .LBB62_369
; %bb.368:
	buffer_load_dword v142, v129, s[0:3], 0 offen
	ds_read_b32 v143, v128
	s_waitcnt vmcnt(0) lgkmcnt(0)
	v_mul_f32_e32 v142, v142, v143
	s_cbranch_execz .LBB62_370
	s_branch .LBB62_371
.LBB62_369:
                                        ; implicit-def: $vgpr142
.LBB62_370:
	ds_read_b32 v142, v128
.LBB62_371:
	s_and_saveexec_b64 s[12:13], s[6:7]
	s_cbranch_execz .LBB62_375
; %bb.372:
	v_mov_b32_e32 v143, 0
	v_add_u32_e32 v143, 0x64, v143
	v_subrev_u32_e32 v144, 25, v0
	s_movk_i32 s14, 0x164
	s_mov_b64 s[6:7], 0
.LBB62_373:                             ; =>This Inner Loop Header: Depth=1
	buffer_load_dword v145, v143, s[0:3], 0 offen
	v_mov_b32_e32 v146, s14
	ds_read_b32 v146, v146
	v_add_u32_e32 v144, -1, v144
	s_add_i32 s14, s14, 4
	v_cmp_eq_u32_e32 vcc, 0, v144
	v_add_u32_e32 v143, 4, v143
	s_or_b64 s[6:7], vcc, s[6:7]
	s_waitcnt vmcnt(0) lgkmcnt(0)
	v_fmac_f32_e32 v142, v145, v146
	s_andn2_b64 exec, exec, s[6:7]
	s_cbranch_execnz .LBB62_373
; %bb.374:
	s_or_b64 exec, exec, s[6:7]
.LBB62_375:
	s_or_b64 exec, exec, s[12:13]
	v_mov_b32_e32 v143, 0
	ds_read_b32 v143, v143 offset:96
	s_waitcnt lgkmcnt(0)
	v_mul_f32_e32 v142, v142, v143
	buffer_store_dword v142, off, s[0:3], 0 offset:96
.LBB62_376:
	s_or_b64 exec, exec, s[8:9]
	buffer_load_dword v142, off, s[0:3], 0 offset:92
	v_cmp_lt_u32_e64 s[6:7], 23, v0
	s_waitcnt vmcnt(0)
	ds_write_b32 v128, v142
	s_waitcnt lgkmcnt(0)
	; wave barrier
	s_waitcnt lgkmcnt(0)
	s_and_saveexec_b64 s[8:9], s[6:7]
	s_cbranch_execz .LBB62_386
; %bb.377:
	s_andn2_b64 vcc, exec, s[10:11]
	s_cbranch_vccnz .LBB62_379
; %bb.378:
	buffer_load_dword v142, v129, s[0:3], 0 offen
	ds_read_b32 v143, v128
	s_waitcnt vmcnt(0) lgkmcnt(0)
	v_mul_f32_e32 v142, v142, v143
	s_cbranch_execz .LBB62_380
	s_branch .LBB62_381
.LBB62_379:
                                        ; implicit-def: $vgpr142
.LBB62_380:
	ds_read_b32 v142, v128
.LBB62_381:
	s_and_saveexec_b64 s[12:13], s[4:5]
	s_cbranch_execz .LBB62_385
; %bb.382:
	v_subrev_u32_e32 v143, 24, v0
	s_movk_i32 s14, 0x160
	s_mov_b64 s[4:5], 0
.LBB62_383:                             ; =>This Inner Loop Header: Depth=1
	buffer_load_dword v144, v141, s[0:3], 0 offen
	v_mov_b32_e32 v145, s14
	ds_read_b32 v145, v145
	v_add_u32_e32 v143, -1, v143
	s_add_i32 s14, s14, 4
	v_cmp_eq_u32_e32 vcc, 0, v143
	v_add_u32_e32 v141, 4, v141
	s_or_b64 s[4:5], vcc, s[4:5]
	s_waitcnt vmcnt(0) lgkmcnt(0)
	v_fmac_f32_e32 v142, v144, v145
	s_andn2_b64 exec, exec, s[4:5]
	s_cbranch_execnz .LBB62_383
; %bb.384:
	s_or_b64 exec, exec, s[4:5]
.LBB62_385:
	s_or_b64 exec, exec, s[12:13]
	v_mov_b32_e32 v141, 0
	ds_read_b32 v141, v141 offset:92
	s_waitcnt lgkmcnt(0)
	v_mul_f32_e32 v141, v142, v141
	buffer_store_dword v141, off, s[0:3], 0 offset:92
.LBB62_386:
	s_or_b64 exec, exec, s[8:9]
	buffer_load_dword v141, off, s[0:3], 0 offset:88
	v_cmp_lt_u32_e64 s[4:5], 22, v0
	s_waitcnt vmcnt(0)
	ds_write_b32 v128, v141
	s_waitcnt lgkmcnt(0)
	; wave barrier
	s_waitcnt lgkmcnt(0)
	s_and_saveexec_b64 s[8:9], s[4:5]
	s_cbranch_execz .LBB62_396
; %bb.387:
	s_andn2_b64 vcc, exec, s[10:11]
	s_cbranch_vccnz .LBB62_389
; %bb.388:
	buffer_load_dword v141, v129, s[0:3], 0 offen
	ds_read_b32 v142, v128
	s_waitcnt vmcnt(0) lgkmcnt(0)
	v_mul_f32_e32 v141, v141, v142
	s_cbranch_execz .LBB62_390
	s_branch .LBB62_391
.LBB62_389:
                                        ; implicit-def: $vgpr141
.LBB62_390:
	ds_read_b32 v141, v128
.LBB62_391:
	s_and_saveexec_b64 s[12:13], s[6:7]
	s_cbranch_execz .LBB62_395
; %bb.392:
	v_mov_b32_e32 v142, 0
	v_add_u32_e32 v142, 0x5c, v142
	v_subrev_u32_e32 v143, 23, v0
	s_movk_i32 s14, 0x15c
	s_mov_b64 s[6:7], 0
.LBB62_393:                             ; =>This Inner Loop Header: Depth=1
	buffer_load_dword v144, v142, s[0:3], 0 offen
	v_mov_b32_e32 v145, s14
	ds_read_b32 v145, v145
	v_add_u32_e32 v143, -1, v143
	s_add_i32 s14, s14, 4
	v_cmp_eq_u32_e32 vcc, 0, v143
	v_add_u32_e32 v142, 4, v142
	s_or_b64 s[6:7], vcc, s[6:7]
	s_waitcnt vmcnt(0) lgkmcnt(0)
	v_fmac_f32_e32 v141, v144, v145
	s_andn2_b64 exec, exec, s[6:7]
	s_cbranch_execnz .LBB62_393
; %bb.394:
	s_or_b64 exec, exec, s[6:7]
.LBB62_395:
	s_or_b64 exec, exec, s[12:13]
	v_mov_b32_e32 v142, 0
	ds_read_b32 v142, v142 offset:88
	s_waitcnt lgkmcnt(0)
	v_mul_f32_e32 v141, v141, v142
	buffer_store_dword v141, off, s[0:3], 0 offset:88
.LBB62_396:
	s_or_b64 exec, exec, s[8:9]
	buffer_load_dword v141, off, s[0:3], 0 offset:84
	v_cmp_lt_u32_e64 s[6:7], 21, v0
	s_waitcnt vmcnt(0)
	ds_write_b32 v128, v141
	s_waitcnt lgkmcnt(0)
	; wave barrier
	s_waitcnt lgkmcnt(0)
	s_and_saveexec_b64 s[8:9], s[6:7]
	s_cbranch_execz .LBB62_406
; %bb.397:
	s_andn2_b64 vcc, exec, s[10:11]
	s_cbranch_vccnz .LBB62_399
; %bb.398:
	buffer_load_dword v141, v129, s[0:3], 0 offen
	ds_read_b32 v142, v128
	s_waitcnt vmcnt(0) lgkmcnt(0)
	v_mul_f32_e32 v141, v141, v142
	s_cbranch_execz .LBB62_400
	s_branch .LBB62_401
.LBB62_399:
                                        ; implicit-def: $vgpr141
.LBB62_400:
	ds_read_b32 v141, v128
.LBB62_401:
	s_and_saveexec_b64 s[12:13], s[4:5]
	s_cbranch_execz .LBB62_405
; %bb.402:
	v_subrev_u32_e32 v142, 22, v0
	s_movk_i32 s14, 0x158
	s_mov_b64 s[4:5], 0
.LBB62_403:                             ; =>This Inner Loop Header: Depth=1
	buffer_load_dword v143, v140, s[0:3], 0 offen
	v_mov_b32_e32 v144, s14
	ds_read_b32 v144, v144
	v_add_u32_e32 v142, -1, v142
	s_add_i32 s14, s14, 4
	v_cmp_eq_u32_e32 vcc, 0, v142
	v_add_u32_e32 v140, 4, v140
	s_or_b64 s[4:5], vcc, s[4:5]
	s_waitcnt vmcnt(0) lgkmcnt(0)
	v_fmac_f32_e32 v141, v143, v144
	s_andn2_b64 exec, exec, s[4:5]
	s_cbranch_execnz .LBB62_403
; %bb.404:
	s_or_b64 exec, exec, s[4:5]
.LBB62_405:
	s_or_b64 exec, exec, s[12:13]
	v_mov_b32_e32 v140, 0
	ds_read_b32 v140, v140 offset:84
	s_waitcnt lgkmcnt(0)
	v_mul_f32_e32 v140, v141, v140
	buffer_store_dword v140, off, s[0:3], 0 offset:84
.LBB62_406:
	s_or_b64 exec, exec, s[8:9]
	buffer_load_dword v140, off, s[0:3], 0 offset:80
	v_cmp_lt_u32_e64 s[4:5], 20, v0
	s_waitcnt vmcnt(0)
	ds_write_b32 v128, v140
	s_waitcnt lgkmcnt(0)
	; wave barrier
	s_waitcnt lgkmcnt(0)
	s_and_saveexec_b64 s[8:9], s[4:5]
	s_cbranch_execz .LBB62_416
; %bb.407:
	s_andn2_b64 vcc, exec, s[10:11]
	s_cbranch_vccnz .LBB62_409
; %bb.408:
	buffer_load_dword v140, v129, s[0:3], 0 offen
	ds_read_b32 v141, v128
	s_waitcnt vmcnt(0) lgkmcnt(0)
	v_mul_f32_e32 v140, v140, v141
	s_cbranch_execz .LBB62_410
	s_branch .LBB62_411
.LBB62_409:
                                        ; implicit-def: $vgpr140
.LBB62_410:
	ds_read_b32 v140, v128
.LBB62_411:
	s_and_saveexec_b64 s[12:13], s[6:7]
	s_cbranch_execz .LBB62_415
; %bb.412:
	v_mov_b32_e32 v141, 0
	v_add_u32_e32 v141, 0x54, v141
	v_subrev_u32_e32 v142, 21, v0
	s_movk_i32 s14, 0x154
	s_mov_b64 s[6:7], 0
.LBB62_413:                             ; =>This Inner Loop Header: Depth=1
	buffer_load_dword v143, v141, s[0:3], 0 offen
	v_mov_b32_e32 v144, s14
	ds_read_b32 v144, v144
	v_add_u32_e32 v142, -1, v142
	s_add_i32 s14, s14, 4
	v_cmp_eq_u32_e32 vcc, 0, v142
	v_add_u32_e32 v141, 4, v141
	s_or_b64 s[6:7], vcc, s[6:7]
	s_waitcnt vmcnt(0) lgkmcnt(0)
	v_fmac_f32_e32 v140, v143, v144
	s_andn2_b64 exec, exec, s[6:7]
	s_cbranch_execnz .LBB62_413
; %bb.414:
	s_or_b64 exec, exec, s[6:7]
.LBB62_415:
	s_or_b64 exec, exec, s[12:13]
	v_mov_b32_e32 v141, 0
	ds_read_b32 v141, v141 offset:80
	s_waitcnt lgkmcnt(0)
	v_mul_f32_e32 v140, v140, v141
	buffer_store_dword v140, off, s[0:3], 0 offset:80
.LBB62_416:
	s_or_b64 exec, exec, s[8:9]
	buffer_load_dword v140, off, s[0:3], 0 offset:76
	v_cmp_lt_u32_e64 s[6:7], 19, v0
	s_waitcnt vmcnt(0)
	ds_write_b32 v128, v140
	s_waitcnt lgkmcnt(0)
	; wave barrier
	s_waitcnt lgkmcnt(0)
	s_and_saveexec_b64 s[8:9], s[6:7]
	s_cbranch_execz .LBB62_426
; %bb.417:
	s_andn2_b64 vcc, exec, s[10:11]
	s_cbranch_vccnz .LBB62_419
; %bb.418:
	buffer_load_dword v140, v129, s[0:3], 0 offen
	ds_read_b32 v141, v128
	s_waitcnt vmcnt(0) lgkmcnt(0)
	v_mul_f32_e32 v140, v140, v141
	s_cbranch_execz .LBB62_420
	s_branch .LBB62_421
.LBB62_419:
                                        ; implicit-def: $vgpr140
.LBB62_420:
	ds_read_b32 v140, v128
.LBB62_421:
	s_and_saveexec_b64 s[12:13], s[4:5]
	s_cbranch_execz .LBB62_425
; %bb.422:
	v_subrev_u32_e32 v141, 20, v0
	s_movk_i32 s14, 0x150
	s_mov_b64 s[4:5], 0
.LBB62_423:                             ; =>This Inner Loop Header: Depth=1
	buffer_load_dword v142, v139, s[0:3], 0 offen
	v_mov_b32_e32 v143, s14
	ds_read_b32 v143, v143
	v_add_u32_e32 v141, -1, v141
	s_add_i32 s14, s14, 4
	v_cmp_eq_u32_e32 vcc, 0, v141
	v_add_u32_e32 v139, 4, v139
	s_or_b64 s[4:5], vcc, s[4:5]
	s_waitcnt vmcnt(0) lgkmcnt(0)
	v_fmac_f32_e32 v140, v142, v143
	s_andn2_b64 exec, exec, s[4:5]
	s_cbranch_execnz .LBB62_423
; %bb.424:
	s_or_b64 exec, exec, s[4:5]
.LBB62_425:
	s_or_b64 exec, exec, s[12:13]
	v_mov_b32_e32 v139, 0
	ds_read_b32 v139, v139 offset:76
	s_waitcnt lgkmcnt(0)
	v_mul_f32_e32 v139, v140, v139
	buffer_store_dword v139, off, s[0:3], 0 offset:76
.LBB62_426:
	s_or_b64 exec, exec, s[8:9]
	buffer_load_dword v139, off, s[0:3], 0 offset:72
	v_cmp_lt_u32_e64 s[4:5], 18, v0
	s_waitcnt vmcnt(0)
	ds_write_b32 v128, v139
	s_waitcnt lgkmcnt(0)
	; wave barrier
	s_waitcnt lgkmcnt(0)
	s_and_saveexec_b64 s[8:9], s[4:5]
	s_cbranch_execz .LBB62_436
; %bb.427:
	s_andn2_b64 vcc, exec, s[10:11]
	s_cbranch_vccnz .LBB62_429
; %bb.428:
	buffer_load_dword v139, v129, s[0:3], 0 offen
	ds_read_b32 v140, v128
	s_waitcnt vmcnt(0) lgkmcnt(0)
	v_mul_f32_e32 v139, v139, v140
	s_cbranch_execz .LBB62_430
	s_branch .LBB62_431
.LBB62_429:
                                        ; implicit-def: $vgpr139
.LBB62_430:
	ds_read_b32 v139, v128
.LBB62_431:
	s_and_saveexec_b64 s[12:13], s[6:7]
	s_cbranch_execz .LBB62_435
; %bb.432:
	v_mov_b32_e32 v140, 0
	v_add_u32_e32 v140, 0x4c, v140
	v_subrev_u32_e32 v141, 19, v0
	s_movk_i32 s14, 0x14c
	s_mov_b64 s[6:7], 0
.LBB62_433:                             ; =>This Inner Loop Header: Depth=1
	buffer_load_dword v142, v140, s[0:3], 0 offen
	v_mov_b32_e32 v143, s14
	ds_read_b32 v143, v143
	v_add_u32_e32 v141, -1, v141
	s_add_i32 s14, s14, 4
	v_cmp_eq_u32_e32 vcc, 0, v141
	v_add_u32_e32 v140, 4, v140
	s_or_b64 s[6:7], vcc, s[6:7]
	s_waitcnt vmcnt(0) lgkmcnt(0)
	v_fmac_f32_e32 v139, v142, v143
	s_andn2_b64 exec, exec, s[6:7]
	s_cbranch_execnz .LBB62_433
; %bb.434:
	s_or_b64 exec, exec, s[6:7]
.LBB62_435:
	s_or_b64 exec, exec, s[12:13]
	v_mov_b32_e32 v140, 0
	ds_read_b32 v140, v140 offset:72
	s_waitcnt lgkmcnt(0)
	v_mul_f32_e32 v139, v139, v140
	buffer_store_dword v139, off, s[0:3], 0 offset:72
.LBB62_436:
	s_or_b64 exec, exec, s[8:9]
	buffer_load_dword v139, off, s[0:3], 0 offset:68
	v_cmp_lt_u32_e64 s[6:7], 17, v0
	s_waitcnt vmcnt(0)
	ds_write_b32 v128, v139
	s_waitcnt lgkmcnt(0)
	; wave barrier
	s_waitcnt lgkmcnt(0)
	s_and_saveexec_b64 s[8:9], s[6:7]
	s_cbranch_execz .LBB62_446
; %bb.437:
	s_andn2_b64 vcc, exec, s[10:11]
	s_cbranch_vccnz .LBB62_439
; %bb.438:
	buffer_load_dword v139, v129, s[0:3], 0 offen
	ds_read_b32 v140, v128
	s_waitcnt vmcnt(0) lgkmcnt(0)
	v_mul_f32_e32 v139, v139, v140
	s_cbranch_execz .LBB62_440
	s_branch .LBB62_441
.LBB62_439:
                                        ; implicit-def: $vgpr139
.LBB62_440:
	ds_read_b32 v139, v128
.LBB62_441:
	s_and_saveexec_b64 s[12:13], s[4:5]
	s_cbranch_execz .LBB62_445
; %bb.442:
	v_subrev_u32_e32 v140, 18, v0
	s_movk_i32 s14, 0x148
	s_mov_b64 s[4:5], 0
.LBB62_443:                             ; =>This Inner Loop Header: Depth=1
	buffer_load_dword v141, v138, s[0:3], 0 offen
	v_mov_b32_e32 v142, s14
	ds_read_b32 v142, v142
	v_add_u32_e32 v140, -1, v140
	s_add_i32 s14, s14, 4
	v_cmp_eq_u32_e32 vcc, 0, v140
	v_add_u32_e32 v138, 4, v138
	s_or_b64 s[4:5], vcc, s[4:5]
	s_waitcnt vmcnt(0) lgkmcnt(0)
	v_fmac_f32_e32 v139, v141, v142
	s_andn2_b64 exec, exec, s[4:5]
	s_cbranch_execnz .LBB62_443
; %bb.444:
	s_or_b64 exec, exec, s[4:5]
.LBB62_445:
	s_or_b64 exec, exec, s[12:13]
	v_mov_b32_e32 v138, 0
	ds_read_b32 v138, v138 offset:68
	s_waitcnt lgkmcnt(0)
	v_mul_f32_e32 v138, v139, v138
	buffer_store_dword v138, off, s[0:3], 0 offset:68
.LBB62_446:
	s_or_b64 exec, exec, s[8:9]
	buffer_load_dword v138, off, s[0:3], 0 offset:64
	v_cmp_lt_u32_e64 s[4:5], 16, v0
	s_waitcnt vmcnt(0)
	ds_write_b32 v128, v138
	s_waitcnt lgkmcnt(0)
	; wave barrier
	s_waitcnt lgkmcnt(0)
	s_and_saveexec_b64 s[8:9], s[4:5]
	s_cbranch_execz .LBB62_456
; %bb.447:
	s_andn2_b64 vcc, exec, s[10:11]
	s_cbranch_vccnz .LBB62_449
; %bb.448:
	buffer_load_dword v138, v129, s[0:3], 0 offen
	ds_read_b32 v139, v128
	s_waitcnt vmcnt(0) lgkmcnt(0)
	v_mul_f32_e32 v138, v138, v139
	s_cbranch_execz .LBB62_450
	s_branch .LBB62_451
.LBB62_449:
                                        ; implicit-def: $vgpr138
.LBB62_450:
	ds_read_b32 v138, v128
.LBB62_451:
	s_and_saveexec_b64 s[12:13], s[6:7]
	s_cbranch_execz .LBB62_455
; %bb.452:
	v_mov_b32_e32 v139, 0
	v_add_u32_e32 v139, 0x44, v139
	v_subrev_u32_e32 v140, 17, v0
	s_movk_i32 s14, 0x144
	s_mov_b64 s[6:7], 0
.LBB62_453:                             ; =>This Inner Loop Header: Depth=1
	buffer_load_dword v141, v139, s[0:3], 0 offen
	v_mov_b32_e32 v142, s14
	ds_read_b32 v142, v142
	v_add_u32_e32 v140, -1, v140
	s_add_i32 s14, s14, 4
	v_cmp_eq_u32_e32 vcc, 0, v140
	v_add_u32_e32 v139, 4, v139
	s_or_b64 s[6:7], vcc, s[6:7]
	s_waitcnt vmcnt(0) lgkmcnt(0)
	v_fmac_f32_e32 v138, v141, v142
	s_andn2_b64 exec, exec, s[6:7]
	s_cbranch_execnz .LBB62_453
; %bb.454:
	s_or_b64 exec, exec, s[6:7]
.LBB62_455:
	s_or_b64 exec, exec, s[12:13]
	v_mov_b32_e32 v139, 0
	ds_read_b32 v139, v139 offset:64
	s_waitcnt lgkmcnt(0)
	v_mul_f32_e32 v138, v138, v139
	buffer_store_dword v138, off, s[0:3], 0 offset:64
.LBB62_456:
	s_or_b64 exec, exec, s[8:9]
	buffer_load_dword v138, off, s[0:3], 0 offset:60
	v_cmp_lt_u32_e64 s[6:7], 15, v0
	s_waitcnt vmcnt(0)
	ds_write_b32 v128, v138
	s_waitcnt lgkmcnt(0)
	; wave barrier
	s_waitcnt lgkmcnt(0)
	s_and_saveexec_b64 s[8:9], s[6:7]
	s_cbranch_execz .LBB62_466
; %bb.457:
	s_andn2_b64 vcc, exec, s[10:11]
	s_cbranch_vccnz .LBB62_459
; %bb.458:
	buffer_load_dword v138, v129, s[0:3], 0 offen
	ds_read_b32 v139, v128
	s_waitcnt vmcnt(0) lgkmcnt(0)
	v_mul_f32_e32 v138, v138, v139
	s_cbranch_execz .LBB62_460
	s_branch .LBB62_461
.LBB62_459:
                                        ; implicit-def: $vgpr138
.LBB62_460:
	ds_read_b32 v138, v128
.LBB62_461:
	s_and_saveexec_b64 s[12:13], s[4:5]
	s_cbranch_execz .LBB62_465
; %bb.462:
	v_add_u32_e32 v139, -16, v0
	s_movk_i32 s14, 0x140
	s_mov_b64 s[4:5], 0
.LBB62_463:                             ; =>This Inner Loop Header: Depth=1
	buffer_load_dword v140, v137, s[0:3], 0 offen
	v_mov_b32_e32 v141, s14
	ds_read_b32 v141, v141
	v_add_u32_e32 v139, -1, v139
	s_add_i32 s14, s14, 4
	v_cmp_eq_u32_e32 vcc, 0, v139
	v_add_u32_e32 v137, 4, v137
	s_or_b64 s[4:5], vcc, s[4:5]
	s_waitcnt vmcnt(0) lgkmcnt(0)
	v_fmac_f32_e32 v138, v140, v141
	s_andn2_b64 exec, exec, s[4:5]
	s_cbranch_execnz .LBB62_463
; %bb.464:
	s_or_b64 exec, exec, s[4:5]
.LBB62_465:
	s_or_b64 exec, exec, s[12:13]
	v_mov_b32_e32 v137, 0
	ds_read_b32 v137, v137 offset:60
	s_waitcnt lgkmcnt(0)
	v_mul_f32_e32 v137, v138, v137
	buffer_store_dword v137, off, s[0:3], 0 offset:60
.LBB62_466:
	s_or_b64 exec, exec, s[8:9]
	buffer_load_dword v137, off, s[0:3], 0 offset:56
	v_cmp_lt_u32_e64 s[4:5], 14, v0
	s_waitcnt vmcnt(0)
	ds_write_b32 v128, v137
	s_waitcnt lgkmcnt(0)
	; wave barrier
	s_waitcnt lgkmcnt(0)
	s_and_saveexec_b64 s[8:9], s[4:5]
	s_cbranch_execz .LBB62_476
; %bb.467:
	s_andn2_b64 vcc, exec, s[10:11]
	s_cbranch_vccnz .LBB62_469
; %bb.468:
	buffer_load_dword v137, v129, s[0:3], 0 offen
	ds_read_b32 v138, v128
	s_waitcnt vmcnt(0) lgkmcnt(0)
	v_mul_f32_e32 v137, v137, v138
	s_cbranch_execz .LBB62_470
	s_branch .LBB62_471
.LBB62_469:
                                        ; implicit-def: $vgpr137
.LBB62_470:
	ds_read_b32 v137, v128
.LBB62_471:
	s_and_saveexec_b64 s[12:13], s[6:7]
	s_cbranch_execz .LBB62_475
; %bb.472:
	v_mov_b32_e32 v138, 0
	v_add_u32_e32 v138, 60, v138
	v_add_u32_e32 v139, -15, v0
	s_movk_i32 s14, 0x13c
	s_mov_b64 s[6:7], 0
.LBB62_473:                             ; =>This Inner Loop Header: Depth=1
	buffer_load_dword v140, v138, s[0:3], 0 offen
	v_mov_b32_e32 v141, s14
	ds_read_b32 v141, v141
	v_add_u32_e32 v139, -1, v139
	s_add_i32 s14, s14, 4
	v_cmp_eq_u32_e32 vcc, 0, v139
	v_add_u32_e32 v138, 4, v138
	s_or_b64 s[6:7], vcc, s[6:7]
	s_waitcnt vmcnt(0) lgkmcnt(0)
	v_fmac_f32_e32 v137, v140, v141
	s_andn2_b64 exec, exec, s[6:7]
	s_cbranch_execnz .LBB62_473
; %bb.474:
	s_or_b64 exec, exec, s[6:7]
.LBB62_475:
	s_or_b64 exec, exec, s[12:13]
	v_mov_b32_e32 v138, 0
	ds_read_b32 v138, v138 offset:56
	s_waitcnt lgkmcnt(0)
	v_mul_f32_e32 v137, v137, v138
	buffer_store_dword v137, off, s[0:3], 0 offset:56
.LBB62_476:
	s_or_b64 exec, exec, s[8:9]
	buffer_load_dword v137, off, s[0:3], 0 offset:52
	v_cmp_lt_u32_e64 s[6:7], 13, v0
	s_waitcnt vmcnt(0)
	ds_write_b32 v128, v137
	s_waitcnt lgkmcnt(0)
	; wave barrier
	s_waitcnt lgkmcnt(0)
	s_and_saveexec_b64 s[8:9], s[6:7]
	s_cbranch_execz .LBB62_486
; %bb.477:
	s_andn2_b64 vcc, exec, s[10:11]
	s_cbranch_vccnz .LBB62_479
; %bb.478:
	buffer_load_dword v137, v129, s[0:3], 0 offen
	ds_read_b32 v138, v128
	s_waitcnt vmcnt(0) lgkmcnt(0)
	v_mul_f32_e32 v137, v137, v138
	s_cbranch_execz .LBB62_480
	s_branch .LBB62_481
.LBB62_479:
                                        ; implicit-def: $vgpr137
.LBB62_480:
	ds_read_b32 v137, v128
.LBB62_481:
	s_and_saveexec_b64 s[12:13], s[4:5]
	s_cbranch_execz .LBB62_485
; %bb.482:
	v_add_u32_e32 v138, -14, v0
	s_movk_i32 s14, 0x138
	s_mov_b64 s[4:5], 0
.LBB62_483:                             ; =>This Inner Loop Header: Depth=1
	buffer_load_dword v139, v136, s[0:3], 0 offen
	v_mov_b32_e32 v140, s14
	ds_read_b32 v140, v140
	v_add_u32_e32 v138, -1, v138
	s_add_i32 s14, s14, 4
	v_cmp_eq_u32_e32 vcc, 0, v138
	v_add_u32_e32 v136, 4, v136
	s_or_b64 s[4:5], vcc, s[4:5]
	s_waitcnt vmcnt(0) lgkmcnt(0)
	v_fmac_f32_e32 v137, v139, v140
	s_andn2_b64 exec, exec, s[4:5]
	s_cbranch_execnz .LBB62_483
; %bb.484:
	s_or_b64 exec, exec, s[4:5]
.LBB62_485:
	s_or_b64 exec, exec, s[12:13]
	v_mov_b32_e32 v136, 0
	ds_read_b32 v136, v136 offset:52
	s_waitcnt lgkmcnt(0)
	v_mul_f32_e32 v136, v137, v136
	buffer_store_dword v136, off, s[0:3], 0 offset:52
.LBB62_486:
	s_or_b64 exec, exec, s[8:9]
	buffer_load_dword v136, off, s[0:3], 0 offset:48
	v_cmp_lt_u32_e64 s[4:5], 12, v0
	s_waitcnt vmcnt(0)
	ds_write_b32 v128, v136
	s_waitcnt lgkmcnt(0)
	; wave barrier
	s_waitcnt lgkmcnt(0)
	s_and_saveexec_b64 s[8:9], s[4:5]
	s_cbranch_execz .LBB62_496
; %bb.487:
	s_andn2_b64 vcc, exec, s[10:11]
	s_cbranch_vccnz .LBB62_489
; %bb.488:
	buffer_load_dword v136, v129, s[0:3], 0 offen
	ds_read_b32 v137, v128
	s_waitcnt vmcnt(0) lgkmcnt(0)
	v_mul_f32_e32 v136, v136, v137
	s_cbranch_execz .LBB62_490
	s_branch .LBB62_491
.LBB62_489:
                                        ; implicit-def: $vgpr136
.LBB62_490:
	ds_read_b32 v136, v128
.LBB62_491:
	s_and_saveexec_b64 s[12:13], s[6:7]
	s_cbranch_execz .LBB62_495
; %bb.492:
	v_mov_b32_e32 v137, 0
	v_add_u32_e32 v137, 52, v137
	v_add_u32_e32 v138, -13, v0
	s_movk_i32 s14, 0x134
	s_mov_b64 s[6:7], 0
.LBB62_493:                             ; =>This Inner Loop Header: Depth=1
	buffer_load_dword v139, v137, s[0:3], 0 offen
	v_mov_b32_e32 v140, s14
	ds_read_b32 v140, v140
	v_add_u32_e32 v138, -1, v138
	s_add_i32 s14, s14, 4
	v_cmp_eq_u32_e32 vcc, 0, v138
	v_add_u32_e32 v137, 4, v137
	s_or_b64 s[6:7], vcc, s[6:7]
	s_waitcnt vmcnt(0) lgkmcnt(0)
	v_fmac_f32_e32 v136, v139, v140
	s_andn2_b64 exec, exec, s[6:7]
	s_cbranch_execnz .LBB62_493
; %bb.494:
	s_or_b64 exec, exec, s[6:7]
.LBB62_495:
	s_or_b64 exec, exec, s[12:13]
	v_mov_b32_e32 v137, 0
	ds_read_b32 v137, v137 offset:48
	s_waitcnt lgkmcnt(0)
	v_mul_f32_e32 v136, v136, v137
	buffer_store_dword v136, off, s[0:3], 0 offset:48
.LBB62_496:
	s_or_b64 exec, exec, s[8:9]
	buffer_load_dword v136, off, s[0:3], 0 offset:44
	v_cmp_lt_u32_e64 s[6:7], 11, v0
	s_waitcnt vmcnt(0)
	ds_write_b32 v128, v136
	s_waitcnt lgkmcnt(0)
	; wave barrier
	s_waitcnt lgkmcnt(0)
	s_and_saveexec_b64 s[8:9], s[6:7]
	s_cbranch_execz .LBB62_506
; %bb.497:
	s_andn2_b64 vcc, exec, s[10:11]
	s_cbranch_vccnz .LBB62_499
; %bb.498:
	buffer_load_dword v136, v129, s[0:3], 0 offen
	ds_read_b32 v137, v128
	s_waitcnt vmcnt(0) lgkmcnt(0)
	v_mul_f32_e32 v136, v136, v137
	s_cbranch_execz .LBB62_500
	s_branch .LBB62_501
.LBB62_499:
                                        ; implicit-def: $vgpr136
.LBB62_500:
	ds_read_b32 v136, v128
.LBB62_501:
	s_and_saveexec_b64 s[12:13], s[4:5]
	s_cbranch_execz .LBB62_505
; %bb.502:
	v_add_u32_e32 v137, -12, v0
	s_movk_i32 s14, 0x130
	s_mov_b64 s[4:5], 0
.LBB62_503:                             ; =>This Inner Loop Header: Depth=1
	buffer_load_dword v138, v135, s[0:3], 0 offen
	v_mov_b32_e32 v139, s14
	ds_read_b32 v139, v139
	v_add_u32_e32 v137, -1, v137
	s_add_i32 s14, s14, 4
	v_cmp_eq_u32_e32 vcc, 0, v137
	v_add_u32_e32 v135, 4, v135
	s_or_b64 s[4:5], vcc, s[4:5]
	s_waitcnt vmcnt(0) lgkmcnt(0)
	v_fmac_f32_e32 v136, v138, v139
	s_andn2_b64 exec, exec, s[4:5]
	s_cbranch_execnz .LBB62_503
; %bb.504:
	s_or_b64 exec, exec, s[4:5]
.LBB62_505:
	s_or_b64 exec, exec, s[12:13]
	v_mov_b32_e32 v135, 0
	ds_read_b32 v135, v135 offset:44
	s_waitcnt lgkmcnt(0)
	v_mul_f32_e32 v135, v136, v135
	buffer_store_dword v135, off, s[0:3], 0 offset:44
.LBB62_506:
	s_or_b64 exec, exec, s[8:9]
	buffer_load_dword v135, off, s[0:3], 0 offset:40
	v_cmp_lt_u32_e64 s[4:5], 10, v0
	s_waitcnt vmcnt(0)
	ds_write_b32 v128, v135
	s_waitcnt lgkmcnt(0)
	; wave barrier
	s_waitcnt lgkmcnt(0)
	s_and_saveexec_b64 s[8:9], s[4:5]
	s_cbranch_execz .LBB62_516
; %bb.507:
	s_andn2_b64 vcc, exec, s[10:11]
	s_cbranch_vccnz .LBB62_509
; %bb.508:
	buffer_load_dword v135, v129, s[0:3], 0 offen
	ds_read_b32 v136, v128
	s_waitcnt vmcnt(0) lgkmcnt(0)
	v_mul_f32_e32 v135, v135, v136
	s_cbranch_execz .LBB62_510
	s_branch .LBB62_511
.LBB62_509:
                                        ; implicit-def: $vgpr135
.LBB62_510:
	ds_read_b32 v135, v128
.LBB62_511:
	s_and_saveexec_b64 s[12:13], s[6:7]
	s_cbranch_execz .LBB62_515
; %bb.512:
	v_mov_b32_e32 v136, 0
	v_add_u32_e32 v136, 44, v136
	v_add_u32_e32 v137, -11, v0
	s_movk_i32 s14, 0x12c
	s_mov_b64 s[6:7], 0
.LBB62_513:                             ; =>This Inner Loop Header: Depth=1
	buffer_load_dword v138, v136, s[0:3], 0 offen
	v_mov_b32_e32 v139, s14
	ds_read_b32 v139, v139
	v_add_u32_e32 v137, -1, v137
	s_add_i32 s14, s14, 4
	v_cmp_eq_u32_e32 vcc, 0, v137
	v_add_u32_e32 v136, 4, v136
	s_or_b64 s[6:7], vcc, s[6:7]
	s_waitcnt vmcnt(0) lgkmcnt(0)
	v_fmac_f32_e32 v135, v138, v139
	s_andn2_b64 exec, exec, s[6:7]
	s_cbranch_execnz .LBB62_513
; %bb.514:
	s_or_b64 exec, exec, s[6:7]
.LBB62_515:
	s_or_b64 exec, exec, s[12:13]
	v_mov_b32_e32 v136, 0
	ds_read_b32 v136, v136 offset:40
	s_waitcnt lgkmcnt(0)
	v_mul_f32_e32 v135, v135, v136
	buffer_store_dword v135, off, s[0:3], 0 offset:40
.LBB62_516:
	s_or_b64 exec, exec, s[8:9]
	buffer_load_dword v135, off, s[0:3], 0 offset:36
	v_cmp_lt_u32_e64 s[6:7], 9, v0
	s_waitcnt vmcnt(0)
	ds_write_b32 v128, v135
	s_waitcnt lgkmcnt(0)
	; wave barrier
	s_waitcnt lgkmcnt(0)
	s_and_saveexec_b64 s[8:9], s[6:7]
	s_cbranch_execz .LBB62_526
; %bb.517:
	s_andn2_b64 vcc, exec, s[10:11]
	s_cbranch_vccnz .LBB62_519
; %bb.518:
	buffer_load_dword v135, v129, s[0:3], 0 offen
	ds_read_b32 v136, v128
	s_waitcnt vmcnt(0) lgkmcnt(0)
	v_mul_f32_e32 v135, v135, v136
	s_cbranch_execz .LBB62_520
	s_branch .LBB62_521
.LBB62_519:
                                        ; implicit-def: $vgpr135
.LBB62_520:
	ds_read_b32 v135, v128
.LBB62_521:
	s_and_saveexec_b64 s[12:13], s[4:5]
	s_cbranch_execz .LBB62_525
; %bb.522:
	v_add_u32_e32 v136, -10, v0
	s_movk_i32 s14, 0x128
	s_mov_b64 s[4:5], 0
.LBB62_523:                             ; =>This Inner Loop Header: Depth=1
	buffer_load_dword v137, v134, s[0:3], 0 offen
	v_mov_b32_e32 v138, s14
	ds_read_b32 v138, v138
	v_add_u32_e32 v136, -1, v136
	s_add_i32 s14, s14, 4
	v_cmp_eq_u32_e32 vcc, 0, v136
	v_add_u32_e32 v134, 4, v134
	s_or_b64 s[4:5], vcc, s[4:5]
	s_waitcnt vmcnt(0) lgkmcnt(0)
	v_fmac_f32_e32 v135, v137, v138
	s_andn2_b64 exec, exec, s[4:5]
	s_cbranch_execnz .LBB62_523
; %bb.524:
	s_or_b64 exec, exec, s[4:5]
.LBB62_525:
	s_or_b64 exec, exec, s[12:13]
	v_mov_b32_e32 v134, 0
	ds_read_b32 v134, v134 offset:36
	s_waitcnt lgkmcnt(0)
	v_mul_f32_e32 v134, v135, v134
	buffer_store_dword v134, off, s[0:3], 0 offset:36
.LBB62_526:
	s_or_b64 exec, exec, s[8:9]
	buffer_load_dword v134, off, s[0:3], 0 offset:32
	v_cmp_lt_u32_e64 s[4:5], 8, v0
	s_waitcnt vmcnt(0)
	ds_write_b32 v128, v134
	s_waitcnt lgkmcnt(0)
	; wave barrier
	s_waitcnt lgkmcnt(0)
	s_and_saveexec_b64 s[8:9], s[4:5]
	s_cbranch_execz .LBB62_536
; %bb.527:
	s_andn2_b64 vcc, exec, s[10:11]
	s_cbranch_vccnz .LBB62_529
; %bb.528:
	buffer_load_dword v134, v129, s[0:3], 0 offen
	ds_read_b32 v135, v128
	s_waitcnt vmcnt(0) lgkmcnt(0)
	v_mul_f32_e32 v134, v134, v135
	s_cbranch_execz .LBB62_530
	s_branch .LBB62_531
.LBB62_529:
                                        ; implicit-def: $vgpr134
.LBB62_530:
	ds_read_b32 v134, v128
.LBB62_531:
	s_and_saveexec_b64 s[12:13], s[6:7]
	s_cbranch_execz .LBB62_535
; %bb.532:
	v_mov_b32_e32 v135, 0
	v_add_u32_e32 v135, 36, v135
	v_add_u32_e32 v136, -9, v0
	s_movk_i32 s14, 0x124
	s_mov_b64 s[6:7], 0
.LBB62_533:                             ; =>This Inner Loop Header: Depth=1
	buffer_load_dword v137, v135, s[0:3], 0 offen
	v_mov_b32_e32 v138, s14
	ds_read_b32 v138, v138
	v_add_u32_e32 v136, -1, v136
	s_add_i32 s14, s14, 4
	v_cmp_eq_u32_e32 vcc, 0, v136
	v_add_u32_e32 v135, 4, v135
	s_or_b64 s[6:7], vcc, s[6:7]
	s_waitcnt vmcnt(0) lgkmcnt(0)
	v_fmac_f32_e32 v134, v137, v138
	s_andn2_b64 exec, exec, s[6:7]
	s_cbranch_execnz .LBB62_533
; %bb.534:
	s_or_b64 exec, exec, s[6:7]
.LBB62_535:
	s_or_b64 exec, exec, s[12:13]
	v_mov_b32_e32 v135, 0
	ds_read_b32 v135, v135 offset:32
	s_waitcnt lgkmcnt(0)
	v_mul_f32_e32 v134, v134, v135
	buffer_store_dword v134, off, s[0:3], 0 offset:32
.LBB62_536:
	s_or_b64 exec, exec, s[8:9]
	buffer_load_dword v134, off, s[0:3], 0 offset:28
	v_cmp_lt_u32_e64 s[6:7], 7, v0
	s_waitcnt vmcnt(0)
	ds_write_b32 v128, v134
	s_waitcnt lgkmcnt(0)
	; wave barrier
	s_waitcnt lgkmcnt(0)
	s_and_saveexec_b64 s[8:9], s[6:7]
	s_cbranch_execz .LBB62_546
; %bb.537:
	s_andn2_b64 vcc, exec, s[10:11]
	s_cbranch_vccnz .LBB62_539
; %bb.538:
	buffer_load_dword v134, v129, s[0:3], 0 offen
	ds_read_b32 v135, v128
	s_waitcnt vmcnt(0) lgkmcnt(0)
	v_mul_f32_e32 v134, v134, v135
	s_cbranch_execz .LBB62_540
	s_branch .LBB62_541
.LBB62_539:
                                        ; implicit-def: $vgpr134
.LBB62_540:
	ds_read_b32 v134, v128
.LBB62_541:
	s_and_saveexec_b64 s[12:13], s[4:5]
	s_cbranch_execz .LBB62_545
; %bb.542:
	v_add_u32_e32 v135, -8, v0
	s_movk_i32 s14, 0x120
	s_mov_b64 s[4:5], 0
.LBB62_543:                             ; =>This Inner Loop Header: Depth=1
	buffer_load_dword v136, v133, s[0:3], 0 offen
	v_mov_b32_e32 v137, s14
	ds_read_b32 v137, v137
	v_add_u32_e32 v135, -1, v135
	s_add_i32 s14, s14, 4
	v_cmp_eq_u32_e32 vcc, 0, v135
	v_add_u32_e32 v133, 4, v133
	s_or_b64 s[4:5], vcc, s[4:5]
	s_waitcnt vmcnt(0) lgkmcnt(0)
	v_fmac_f32_e32 v134, v136, v137
	s_andn2_b64 exec, exec, s[4:5]
	s_cbranch_execnz .LBB62_543
; %bb.544:
	s_or_b64 exec, exec, s[4:5]
.LBB62_545:
	s_or_b64 exec, exec, s[12:13]
	v_mov_b32_e32 v133, 0
	ds_read_b32 v133, v133 offset:28
	s_waitcnt lgkmcnt(0)
	v_mul_f32_e32 v133, v134, v133
	buffer_store_dword v133, off, s[0:3], 0 offset:28
.LBB62_546:
	s_or_b64 exec, exec, s[8:9]
	buffer_load_dword v133, off, s[0:3], 0 offset:24
	v_cmp_lt_u32_e64 s[4:5], 6, v0
	s_waitcnt vmcnt(0)
	ds_write_b32 v128, v133
	s_waitcnt lgkmcnt(0)
	; wave barrier
	s_waitcnt lgkmcnt(0)
	s_and_saveexec_b64 s[8:9], s[4:5]
	s_cbranch_execz .LBB62_556
; %bb.547:
	s_andn2_b64 vcc, exec, s[10:11]
	s_cbranch_vccnz .LBB62_549
; %bb.548:
	buffer_load_dword v133, v129, s[0:3], 0 offen
	ds_read_b32 v134, v128
	s_waitcnt vmcnt(0) lgkmcnt(0)
	v_mul_f32_e32 v133, v133, v134
	s_cbranch_execz .LBB62_550
	s_branch .LBB62_551
.LBB62_549:
                                        ; implicit-def: $vgpr133
.LBB62_550:
	ds_read_b32 v133, v128
.LBB62_551:
	s_and_saveexec_b64 s[12:13], s[6:7]
	s_cbranch_execz .LBB62_555
; %bb.552:
	v_mov_b32_e32 v134, 0
	v_add_u32_e32 v134, 28, v134
	v_add_u32_e32 v135, -7, v0
	s_movk_i32 s14, 0x11c
	s_mov_b64 s[6:7], 0
.LBB62_553:                             ; =>This Inner Loop Header: Depth=1
	buffer_load_dword v136, v134, s[0:3], 0 offen
	v_mov_b32_e32 v137, s14
	ds_read_b32 v137, v137
	v_add_u32_e32 v135, -1, v135
	s_add_i32 s14, s14, 4
	v_cmp_eq_u32_e32 vcc, 0, v135
	v_add_u32_e32 v134, 4, v134
	s_or_b64 s[6:7], vcc, s[6:7]
	s_waitcnt vmcnt(0) lgkmcnt(0)
	v_fmac_f32_e32 v133, v136, v137
	s_andn2_b64 exec, exec, s[6:7]
	s_cbranch_execnz .LBB62_553
; %bb.554:
	s_or_b64 exec, exec, s[6:7]
.LBB62_555:
	s_or_b64 exec, exec, s[12:13]
	v_mov_b32_e32 v134, 0
	ds_read_b32 v134, v134 offset:24
	s_waitcnt lgkmcnt(0)
	v_mul_f32_e32 v133, v133, v134
	buffer_store_dword v133, off, s[0:3], 0 offset:24
.LBB62_556:
	s_or_b64 exec, exec, s[8:9]
	buffer_load_dword v133, off, s[0:3], 0 offset:20
	v_cmp_lt_u32_e64 s[6:7], 5, v0
	s_waitcnt vmcnt(0)
	ds_write_b32 v128, v133
	s_waitcnt lgkmcnt(0)
	; wave barrier
	s_waitcnt lgkmcnt(0)
	s_and_saveexec_b64 s[8:9], s[6:7]
	s_cbranch_execz .LBB62_566
; %bb.557:
	s_andn2_b64 vcc, exec, s[10:11]
	s_cbranch_vccnz .LBB62_559
; %bb.558:
	buffer_load_dword v133, v129, s[0:3], 0 offen
	ds_read_b32 v134, v128
	s_waitcnt vmcnt(0) lgkmcnt(0)
	v_mul_f32_e32 v133, v133, v134
	s_cbranch_execz .LBB62_560
	s_branch .LBB62_561
.LBB62_559:
                                        ; implicit-def: $vgpr133
.LBB62_560:
	ds_read_b32 v133, v128
.LBB62_561:
	s_and_saveexec_b64 s[12:13], s[4:5]
	s_cbranch_execz .LBB62_565
; %bb.562:
	v_add_u32_e32 v134, -6, v0
	s_movk_i32 s14, 0x118
	s_mov_b64 s[4:5], 0
.LBB62_563:                             ; =>This Inner Loop Header: Depth=1
	buffer_load_dword v135, v132, s[0:3], 0 offen
	v_mov_b32_e32 v136, s14
	ds_read_b32 v136, v136
	v_add_u32_e32 v134, -1, v134
	s_add_i32 s14, s14, 4
	v_cmp_eq_u32_e32 vcc, 0, v134
	v_add_u32_e32 v132, 4, v132
	s_or_b64 s[4:5], vcc, s[4:5]
	s_waitcnt vmcnt(0) lgkmcnt(0)
	v_fmac_f32_e32 v133, v135, v136
	s_andn2_b64 exec, exec, s[4:5]
	s_cbranch_execnz .LBB62_563
; %bb.564:
	s_or_b64 exec, exec, s[4:5]
.LBB62_565:
	s_or_b64 exec, exec, s[12:13]
	v_mov_b32_e32 v132, 0
	ds_read_b32 v132, v132 offset:20
	s_waitcnt lgkmcnt(0)
	v_mul_f32_e32 v132, v133, v132
	buffer_store_dword v132, off, s[0:3], 0 offset:20
.LBB62_566:
	s_or_b64 exec, exec, s[8:9]
	buffer_load_dword v132, off, s[0:3], 0 offset:16
	v_cmp_lt_u32_e64 s[4:5], 4, v0
	s_waitcnt vmcnt(0)
	ds_write_b32 v128, v132
	s_waitcnt lgkmcnt(0)
	; wave barrier
	s_waitcnt lgkmcnt(0)
	s_and_saveexec_b64 s[8:9], s[4:5]
	s_cbranch_execz .LBB62_576
; %bb.567:
	s_andn2_b64 vcc, exec, s[10:11]
	s_cbranch_vccnz .LBB62_569
; %bb.568:
	buffer_load_dword v132, v129, s[0:3], 0 offen
	ds_read_b32 v133, v128
	s_waitcnt vmcnt(0) lgkmcnt(0)
	v_mul_f32_e32 v132, v132, v133
	s_cbranch_execz .LBB62_570
	s_branch .LBB62_571
.LBB62_569:
                                        ; implicit-def: $vgpr132
.LBB62_570:
	ds_read_b32 v132, v128
.LBB62_571:
	s_and_saveexec_b64 s[12:13], s[6:7]
	s_cbranch_execz .LBB62_575
; %bb.572:
	v_mov_b32_e32 v133, 0
	v_add_u32_e32 v133, 20, v133
	v_add_u32_e32 v134, -5, v0
	s_movk_i32 s14, 0x114
	s_mov_b64 s[6:7], 0
.LBB62_573:                             ; =>This Inner Loop Header: Depth=1
	buffer_load_dword v135, v133, s[0:3], 0 offen
	v_mov_b32_e32 v136, s14
	ds_read_b32 v136, v136
	v_add_u32_e32 v134, -1, v134
	s_add_i32 s14, s14, 4
	v_cmp_eq_u32_e32 vcc, 0, v134
	v_add_u32_e32 v133, 4, v133
	s_or_b64 s[6:7], vcc, s[6:7]
	s_waitcnt vmcnt(0) lgkmcnt(0)
	v_fmac_f32_e32 v132, v135, v136
	s_andn2_b64 exec, exec, s[6:7]
	s_cbranch_execnz .LBB62_573
; %bb.574:
	s_or_b64 exec, exec, s[6:7]
.LBB62_575:
	s_or_b64 exec, exec, s[12:13]
	v_mov_b32_e32 v133, 0
	ds_read_b32 v133, v133 offset:16
	s_waitcnt lgkmcnt(0)
	v_mul_f32_e32 v132, v132, v133
	buffer_store_dword v132, off, s[0:3], 0 offset:16
.LBB62_576:
	s_or_b64 exec, exec, s[8:9]
	buffer_load_dword v132, off, s[0:3], 0 offset:12
	v_cmp_lt_u32_e64 s[6:7], 3, v0
	s_waitcnt vmcnt(0)
	ds_write_b32 v128, v132
	s_waitcnt lgkmcnt(0)
	; wave barrier
	s_waitcnt lgkmcnt(0)
	s_and_saveexec_b64 s[8:9], s[6:7]
	s_cbranch_execz .LBB62_586
; %bb.577:
	s_andn2_b64 vcc, exec, s[10:11]
	s_cbranch_vccnz .LBB62_579
; %bb.578:
	buffer_load_dword v132, v129, s[0:3], 0 offen
	ds_read_b32 v133, v128
	s_waitcnt vmcnt(0) lgkmcnt(0)
	v_mul_f32_e32 v132, v132, v133
	s_cbranch_execz .LBB62_580
	s_branch .LBB62_581
.LBB62_579:
                                        ; implicit-def: $vgpr132
.LBB62_580:
	ds_read_b32 v132, v128
.LBB62_581:
	s_and_saveexec_b64 s[12:13], s[4:5]
	s_cbranch_execz .LBB62_585
; %bb.582:
	v_add_u32_e32 v133, -4, v0
	s_movk_i32 s14, 0x110
	s_mov_b64 s[4:5], 0
.LBB62_583:                             ; =>This Inner Loop Header: Depth=1
	buffer_load_dword v134, v131, s[0:3], 0 offen
	v_mov_b32_e32 v135, s14
	ds_read_b32 v135, v135
	v_add_u32_e32 v133, -1, v133
	s_add_i32 s14, s14, 4
	v_cmp_eq_u32_e32 vcc, 0, v133
	v_add_u32_e32 v131, 4, v131
	s_or_b64 s[4:5], vcc, s[4:5]
	s_waitcnt vmcnt(0) lgkmcnt(0)
	v_fmac_f32_e32 v132, v134, v135
	s_andn2_b64 exec, exec, s[4:5]
	s_cbranch_execnz .LBB62_583
; %bb.584:
	s_or_b64 exec, exec, s[4:5]
.LBB62_585:
	s_or_b64 exec, exec, s[12:13]
	v_mov_b32_e32 v131, 0
	ds_read_b32 v131, v131 offset:12
	s_waitcnt lgkmcnt(0)
	v_mul_f32_e32 v131, v132, v131
	buffer_store_dword v131, off, s[0:3], 0 offset:12
.LBB62_586:
	s_or_b64 exec, exec, s[8:9]
	buffer_load_dword v131, off, s[0:3], 0 offset:8
	v_cmp_lt_u32_e64 s[4:5], 2, v0
	s_waitcnt vmcnt(0)
	ds_write_b32 v128, v131
	s_waitcnt lgkmcnt(0)
	; wave barrier
	s_waitcnt lgkmcnt(0)
	s_and_saveexec_b64 s[8:9], s[4:5]
	s_cbranch_execz .LBB62_596
; %bb.587:
	s_andn2_b64 vcc, exec, s[10:11]
	s_cbranch_vccnz .LBB62_589
; %bb.588:
	buffer_load_dword v131, v129, s[0:3], 0 offen
	ds_read_b32 v132, v128
	s_waitcnt vmcnt(0) lgkmcnt(0)
	v_mul_f32_e32 v131, v131, v132
	s_cbranch_execz .LBB62_590
	s_branch .LBB62_591
.LBB62_589:
                                        ; implicit-def: $vgpr131
.LBB62_590:
	ds_read_b32 v131, v128
.LBB62_591:
	s_and_saveexec_b64 s[12:13], s[6:7]
	s_cbranch_execz .LBB62_595
; %bb.592:
	v_mov_b32_e32 v132, 0
	v_or_b32_e32 v132, 12, v132
	v_add_u32_e32 v133, -3, v0
	s_movk_i32 s14, 0x10c
	s_mov_b64 s[6:7], 0
.LBB62_593:                             ; =>This Inner Loop Header: Depth=1
	buffer_load_dword v134, v132, s[0:3], 0 offen
	v_mov_b32_e32 v135, s14
	ds_read_b32 v135, v135
	v_add_u32_e32 v133, -1, v133
	s_add_i32 s14, s14, 4
	v_cmp_eq_u32_e32 vcc, 0, v133
	v_add_u32_e32 v132, 4, v132
	s_or_b64 s[6:7], vcc, s[6:7]
	s_waitcnt vmcnt(0) lgkmcnt(0)
	v_fmac_f32_e32 v131, v134, v135
	s_andn2_b64 exec, exec, s[6:7]
	s_cbranch_execnz .LBB62_593
; %bb.594:
	s_or_b64 exec, exec, s[6:7]
.LBB62_595:
	s_or_b64 exec, exec, s[12:13]
	v_mov_b32_e32 v132, 0
	ds_read_b32 v132, v132 offset:8
	s_waitcnt lgkmcnt(0)
	v_mul_f32_e32 v131, v131, v132
	buffer_store_dword v131, off, s[0:3], 0 offset:8
.LBB62_596:
	s_or_b64 exec, exec, s[8:9]
	buffer_load_dword v131, off, s[0:3], 0 offset:4
	v_cmp_lt_u32_e64 s[6:7], 1, v0
	s_waitcnt vmcnt(0)
	ds_write_b32 v128, v131
	s_waitcnt lgkmcnt(0)
	; wave barrier
	s_waitcnt lgkmcnt(0)
	s_and_saveexec_b64 s[8:9], s[6:7]
	s_cbranch_execz .LBB62_606
; %bb.597:
	s_andn2_b64 vcc, exec, s[10:11]
	s_cbranch_vccnz .LBB62_599
; %bb.598:
	buffer_load_dword v131, v129, s[0:3], 0 offen
	ds_read_b32 v132, v128
	s_waitcnt vmcnt(0) lgkmcnt(0)
	v_mul_f32_e32 v131, v131, v132
	s_cbranch_execz .LBB62_600
	s_branch .LBB62_601
.LBB62_599:
                                        ; implicit-def: $vgpr131
.LBB62_600:
	ds_read_b32 v131, v128
.LBB62_601:
	s_and_saveexec_b64 s[12:13], s[4:5]
	s_cbranch_execz .LBB62_605
; %bb.602:
	v_add_u32_e32 v132, -2, v0
	s_movk_i32 s14, 0x108
	s_mov_b64 s[4:5], 0
.LBB62_603:                             ; =>This Inner Loop Header: Depth=1
	buffer_load_dword v133, v130, s[0:3], 0 offen
	v_mov_b32_e32 v134, s14
	ds_read_b32 v134, v134
	v_add_u32_e32 v132, -1, v132
	s_add_i32 s14, s14, 4
	v_cmp_eq_u32_e32 vcc, 0, v132
	v_add_u32_e32 v130, 4, v130
	s_or_b64 s[4:5], vcc, s[4:5]
	s_waitcnt vmcnt(0) lgkmcnt(0)
	v_fmac_f32_e32 v131, v133, v134
	s_andn2_b64 exec, exec, s[4:5]
	s_cbranch_execnz .LBB62_603
; %bb.604:
	s_or_b64 exec, exec, s[4:5]
.LBB62_605:
	s_or_b64 exec, exec, s[12:13]
	v_mov_b32_e32 v130, 0
	ds_read_b32 v130, v130 offset:4
	s_waitcnt lgkmcnt(0)
	v_mul_f32_e32 v130, v131, v130
	buffer_store_dword v130, off, s[0:3], 0 offset:4
.LBB62_606:
	s_or_b64 exec, exec, s[8:9]
	buffer_load_dword v130, off, s[0:3], 0
	v_cmp_ne_u32_e32 vcc, 0, v0
	s_waitcnt vmcnt(0)
	ds_write_b32 v128, v130
	s_waitcnt lgkmcnt(0)
	; wave barrier
	s_waitcnt lgkmcnt(0)
	s_and_saveexec_b64 s[4:5], vcc
	s_cbranch_execz .LBB62_616
; %bb.607:
	s_andn2_b64 vcc, exec, s[10:11]
	s_cbranch_vccnz .LBB62_609
; %bb.608:
	buffer_load_dword v130, v129, s[0:3], 0 offen
	ds_read_b32 v131, v128
	s_waitcnt vmcnt(0) lgkmcnt(0)
	v_mul_f32_e32 v130, v130, v131
	s_cbranch_execz .LBB62_610
	s_branch .LBB62_611
.LBB62_609:
                                        ; implicit-def: $vgpr130
.LBB62_610:
	ds_read_b32 v130, v128
.LBB62_611:
	s_and_saveexec_b64 s[8:9], s[6:7]
	s_cbranch_execz .LBB62_615
; %bb.612:
	v_mov_b32_e32 v131, 0
	v_or_b32_e32 v131, 4, v131
	v_add_u32_e32 v132, -1, v0
	s_movk_i32 s12, 0x104
	s_mov_b64 s[6:7], 0
.LBB62_613:                             ; =>This Inner Loop Header: Depth=1
	buffer_load_dword v133, v131, s[0:3], 0 offen
	v_mov_b32_e32 v134, s12
	ds_read_b32 v134, v134
	v_add_u32_e32 v132, -1, v132
	s_add_i32 s12, s12, 4
	v_cmp_eq_u32_e32 vcc, 0, v132
	v_add_u32_e32 v131, 4, v131
	s_or_b64 s[6:7], vcc, s[6:7]
	s_waitcnt vmcnt(0) lgkmcnt(0)
	v_fmac_f32_e32 v130, v133, v134
	s_andn2_b64 exec, exec, s[6:7]
	s_cbranch_execnz .LBB62_613
; %bb.614:
	s_or_b64 exec, exec, s[6:7]
.LBB62_615:
	s_or_b64 exec, exec, s[8:9]
	v_mov_b32_e32 v131, 0
	ds_read_b32 v131, v131
	s_waitcnt lgkmcnt(0)
	v_mul_f32_e32 v130, v130, v131
	buffer_store_dword v130, off, s[0:3], 0
.LBB62_616:
	s_or_b64 exec, exec, s[4:5]
	s_mov_b64 s[4:5], 0
.LBB62_617:
	s_and_b64 vcc, exec, s[4:5]
	s_cbranch_vccz .LBB62_1231
; %bb.618:
	buffer_load_dword v130, off, s[0:3], 0 offset:4
	v_cmp_eq_u32_e64 s[6:7], 0, v0
	s_waitcnt vmcnt(0)
	ds_write_b32 v128, v130
	s_waitcnt lgkmcnt(0)
	; wave barrier
	s_waitcnt lgkmcnt(0)
	s_and_saveexec_b64 s[4:5], s[6:7]
	s_cbranch_execz .LBB62_624
; %bb.619:
	s_and_b64 vcc, exec, s[10:11]
	s_cbranch_vccz .LBB62_621
; %bb.620:
	buffer_load_dword v130, v129, s[0:3], 0 offen
	ds_read_b32 v131, v128
	s_waitcnt vmcnt(0) lgkmcnt(0)
	v_mul_f32_e32 v130, v130, v131
	s_cbranch_execz .LBB62_622
	s_branch .LBB62_623
.LBB62_621:
                                        ; implicit-def: $vgpr130
.LBB62_622:
	ds_read_b32 v130, v128
.LBB62_623:
	v_mov_b32_e32 v131, 0
	ds_read_b32 v131, v131 offset:4
	s_waitcnt lgkmcnt(0)
	v_mul_f32_e32 v130, v130, v131
	buffer_store_dword v130, off, s[0:3], 0 offset:4
.LBB62_624:
	s_or_b64 exec, exec, s[4:5]
	buffer_load_dword v130, off, s[0:3], 0 offset:8
	v_cndmask_b32_e64 v131, 0, 1, s[10:11]
	v_cmp_gt_u32_e32 vcc, 2, v0
	v_cmp_ne_u32_e64 s[4:5], 1, v131
	s_waitcnt vmcnt(0)
	ds_write_b32 v128, v130
	s_waitcnt lgkmcnt(0)
	; wave barrier
	s_waitcnt lgkmcnt(0)
	s_and_saveexec_b64 s[8:9], vcc
	s_cbranch_execz .LBB62_632
; %bb.625:
	s_and_b64 vcc, exec, s[4:5]
	s_cbranch_vccnz .LBB62_627
; %bb.626:
	buffer_load_dword v130, v129, s[0:3], 0 offen
	ds_read_b32 v131, v128
	s_waitcnt vmcnt(0) lgkmcnt(0)
	v_mul_f32_e32 v130, v130, v131
	s_cbranch_execz .LBB62_628
	s_branch .LBB62_629
.LBB62_627:
                                        ; implicit-def: $vgpr130
.LBB62_628:
	ds_read_b32 v130, v128
.LBB62_629:
	s_and_saveexec_b64 s[10:11], s[6:7]
	s_cbranch_execz .LBB62_631
; %bb.630:
	buffer_load_dword v131, v129, s[0:3], 0 offen offset:4
	ds_read_b32 v132, v128 offset:4
	s_waitcnt vmcnt(0) lgkmcnt(0)
	v_fmac_f32_e32 v130, v131, v132
.LBB62_631:
	s_or_b64 exec, exec, s[10:11]
	v_mov_b32_e32 v131, 0
	ds_read_b32 v131, v131 offset:8
	s_waitcnt lgkmcnt(0)
	v_mul_f32_e32 v130, v130, v131
	buffer_store_dword v130, off, s[0:3], 0 offset:8
.LBB62_632:
	s_or_b64 exec, exec, s[8:9]
	buffer_load_dword v130, off, s[0:3], 0 offset:12
	v_cmp_gt_u32_e32 vcc, 3, v0
	s_waitcnt vmcnt(0)
	ds_write_b32 v128, v130
	s_waitcnt lgkmcnt(0)
	; wave barrier
	s_waitcnt lgkmcnt(0)
	s_and_saveexec_b64 s[8:9], vcc
	s_cbranch_execz .LBB62_640
; %bb.633:
	s_and_b64 vcc, exec, s[4:5]
	s_cbranch_vccnz .LBB62_635
; %bb.634:
	buffer_load_dword v130, v129, s[0:3], 0 offen
	ds_read_b32 v131, v128
	s_waitcnt vmcnt(0) lgkmcnt(0)
	v_mul_f32_e32 v130, v130, v131
	s_cbranch_execz .LBB62_636
	s_branch .LBB62_637
.LBB62_635:
                                        ; implicit-def: $vgpr130
.LBB62_636:
	ds_read_b32 v130, v128
.LBB62_637:
	v_cmp_ne_u32_e32 vcc, 2, v0
	s_and_saveexec_b64 s[10:11], vcc
	s_cbranch_execz .LBB62_639
; %bb.638:
	buffer_load_dword v131, v129, s[0:3], 0 offen offset:4
	buffer_load_dword v132, off, s[0:3], 0 offset:8
	v_mov_b32_e32 v133, 0
	ds_read_b32 v134, v128 offset:4
	ds_read_b32 v133, v133 offset:264
	s_waitcnt vmcnt(1) lgkmcnt(1)
	v_fmac_f32_e32 v130, v131, v134
	s_waitcnt vmcnt(0) lgkmcnt(0)
	v_fma_f32 v131, v132, v133, v130
	v_cndmask_b32_e64 v130, v130, v131, s[6:7]
.LBB62_639:
	s_or_b64 exec, exec, s[10:11]
	v_mov_b32_e32 v131, 0
	ds_read_b32 v131, v131 offset:12
	s_waitcnt lgkmcnt(0)
	v_mul_f32_e32 v130, v130, v131
	buffer_store_dword v130, off, s[0:3], 0 offset:12
.LBB62_640:
	s_or_b64 exec, exec, s[8:9]
	buffer_load_dword v130, off, s[0:3], 0 offset:16
	v_cmp_gt_u32_e32 vcc, 4, v0
	s_waitcnt vmcnt(0)
	ds_write_b32 v128, v130
	s_waitcnt lgkmcnt(0)
	; wave barrier
	s_waitcnt lgkmcnt(0)
	s_and_saveexec_b64 s[6:7], vcc
	s_cbranch_execz .LBB62_650
; %bb.641:
	s_and_b64 vcc, exec, s[4:5]
	s_cbranch_vccnz .LBB62_643
; %bb.642:
	buffer_load_dword v130, v129, s[0:3], 0 offen
	ds_read_b32 v131, v128
	s_waitcnt vmcnt(0) lgkmcnt(0)
	v_mul_f32_e32 v130, v130, v131
	s_cbranch_execz .LBB62_644
	s_branch .LBB62_645
.LBB62_643:
                                        ; implicit-def: $vgpr130
.LBB62_644:
	ds_read_b32 v130, v128
.LBB62_645:
	v_cmp_ne_u32_e32 vcc, 3, v0
	s_and_saveexec_b64 s[8:9], vcc
	s_cbranch_execz .LBB62_649
; %bb.646:
	v_mov_b32_e32 v132, 0
	v_add_u32_e32 v131, 0x104, v1
	v_add3_u32 v132, v1, v132, 4
	s_mov_b64 s[10:11], 0
	v_mov_b32_e32 v133, v0
.LBB62_647:                             ; =>This Inner Loop Header: Depth=1
	buffer_load_dword v134, v132, s[0:3], 0 offen
	ds_read_b32 v135, v131
	v_add_u32_e32 v133, 1, v133
	v_cmp_lt_u32_e32 vcc, 2, v133
	v_add_u32_e32 v131, 4, v131
	v_add_u32_e32 v132, 4, v132
	s_or_b64 s[10:11], vcc, s[10:11]
	s_waitcnt vmcnt(0) lgkmcnt(0)
	v_fmac_f32_e32 v130, v134, v135
	s_andn2_b64 exec, exec, s[10:11]
	s_cbranch_execnz .LBB62_647
; %bb.648:
	s_or_b64 exec, exec, s[10:11]
.LBB62_649:
	s_or_b64 exec, exec, s[8:9]
	v_mov_b32_e32 v131, 0
	ds_read_b32 v131, v131 offset:16
	s_waitcnt lgkmcnt(0)
	v_mul_f32_e32 v130, v130, v131
	buffer_store_dword v130, off, s[0:3], 0 offset:16
.LBB62_650:
	s_or_b64 exec, exec, s[6:7]
	buffer_load_dword v130, off, s[0:3], 0 offset:20
	v_cmp_gt_u32_e32 vcc, 5, v0
	s_waitcnt vmcnt(0)
	ds_write_b32 v128, v130
	s_waitcnt lgkmcnt(0)
	; wave barrier
	s_waitcnt lgkmcnt(0)
	s_and_saveexec_b64 s[6:7], vcc
	s_cbranch_execz .LBB62_660
; %bb.651:
	s_and_b64 vcc, exec, s[4:5]
	s_cbranch_vccnz .LBB62_653
; %bb.652:
	buffer_load_dword v130, v129, s[0:3], 0 offen
	ds_read_b32 v131, v128
	s_waitcnt vmcnt(0) lgkmcnt(0)
	v_mul_f32_e32 v130, v130, v131
	s_cbranch_execz .LBB62_654
	s_branch .LBB62_655
.LBB62_653:
                                        ; implicit-def: $vgpr130
.LBB62_654:
	ds_read_b32 v130, v128
.LBB62_655:
	v_cmp_ne_u32_e32 vcc, 4, v0
	s_and_saveexec_b64 s[8:9], vcc
	s_cbranch_execz .LBB62_659
; %bb.656:
	v_mov_b32_e32 v132, 0
	v_add_u32_e32 v131, 0x104, v1
	v_add3_u32 v132, v1, v132, 4
	s_mov_b64 s[10:11], 0
	v_mov_b32_e32 v133, v0
.LBB62_657:                             ; =>This Inner Loop Header: Depth=1
	buffer_load_dword v134, v132, s[0:3], 0 offen
	ds_read_b32 v135, v131
	v_add_u32_e32 v133, 1, v133
	v_cmp_lt_u32_e32 vcc, 3, v133
	v_add_u32_e32 v131, 4, v131
	v_add_u32_e32 v132, 4, v132
	s_or_b64 s[10:11], vcc, s[10:11]
	s_waitcnt vmcnt(0) lgkmcnt(0)
	v_fmac_f32_e32 v130, v134, v135
	s_andn2_b64 exec, exec, s[10:11]
	s_cbranch_execnz .LBB62_657
; %bb.658:
	s_or_b64 exec, exec, s[10:11]
.LBB62_659:
	s_or_b64 exec, exec, s[8:9]
	v_mov_b32_e32 v131, 0
	ds_read_b32 v131, v131 offset:20
	s_waitcnt lgkmcnt(0)
	v_mul_f32_e32 v130, v130, v131
	buffer_store_dword v130, off, s[0:3], 0 offset:20
.LBB62_660:
	s_or_b64 exec, exec, s[6:7]
	buffer_load_dword v130, off, s[0:3], 0 offset:24
	v_cmp_gt_u32_e32 vcc, 6, v0
	s_waitcnt vmcnt(0)
	ds_write_b32 v128, v130
	s_waitcnt lgkmcnt(0)
	; wave barrier
	s_waitcnt lgkmcnt(0)
	s_and_saveexec_b64 s[6:7], vcc
	s_cbranch_execz .LBB62_670
; %bb.661:
	s_and_b64 vcc, exec, s[4:5]
	s_cbranch_vccnz .LBB62_663
; %bb.662:
	buffer_load_dword v130, v129, s[0:3], 0 offen
	ds_read_b32 v131, v128
	s_waitcnt vmcnt(0) lgkmcnt(0)
	v_mul_f32_e32 v130, v130, v131
	s_cbranch_execz .LBB62_664
	s_branch .LBB62_665
.LBB62_663:
                                        ; implicit-def: $vgpr130
.LBB62_664:
	ds_read_b32 v130, v128
.LBB62_665:
	v_cmp_ne_u32_e32 vcc, 5, v0
	s_and_saveexec_b64 s[8:9], vcc
	s_cbranch_execz .LBB62_669
; %bb.666:
	v_mov_b32_e32 v132, 0
	v_add_u32_e32 v131, 0x104, v1
	v_add3_u32 v132, v1, v132, 4
	s_mov_b64 s[10:11], 0
	v_mov_b32_e32 v133, v0
.LBB62_667:                             ; =>This Inner Loop Header: Depth=1
	buffer_load_dword v134, v132, s[0:3], 0 offen
	ds_read_b32 v135, v131
	v_add_u32_e32 v133, 1, v133
	v_cmp_lt_u32_e32 vcc, 4, v133
	v_add_u32_e32 v131, 4, v131
	v_add_u32_e32 v132, 4, v132
	s_or_b64 s[10:11], vcc, s[10:11]
	s_waitcnt vmcnt(0) lgkmcnt(0)
	v_fmac_f32_e32 v130, v134, v135
	s_andn2_b64 exec, exec, s[10:11]
	s_cbranch_execnz .LBB62_667
; %bb.668:
	s_or_b64 exec, exec, s[10:11]
.LBB62_669:
	s_or_b64 exec, exec, s[8:9]
	v_mov_b32_e32 v131, 0
	ds_read_b32 v131, v131 offset:24
	s_waitcnt lgkmcnt(0)
	v_mul_f32_e32 v130, v130, v131
	buffer_store_dword v130, off, s[0:3], 0 offset:24
.LBB62_670:
	s_or_b64 exec, exec, s[6:7]
	buffer_load_dword v130, off, s[0:3], 0 offset:28
	v_cmp_gt_u32_e32 vcc, 7, v0
	s_waitcnt vmcnt(0)
	ds_write_b32 v128, v130
	s_waitcnt lgkmcnt(0)
	; wave barrier
	s_waitcnt lgkmcnt(0)
	s_and_saveexec_b64 s[6:7], vcc
	s_cbranch_execz .LBB62_680
; %bb.671:
	s_and_b64 vcc, exec, s[4:5]
	s_cbranch_vccnz .LBB62_673
; %bb.672:
	buffer_load_dword v130, v129, s[0:3], 0 offen
	ds_read_b32 v131, v128
	s_waitcnt vmcnt(0) lgkmcnt(0)
	v_mul_f32_e32 v130, v130, v131
	s_cbranch_execz .LBB62_674
	s_branch .LBB62_675
.LBB62_673:
                                        ; implicit-def: $vgpr130
.LBB62_674:
	ds_read_b32 v130, v128
.LBB62_675:
	v_cmp_ne_u32_e32 vcc, 6, v0
	s_and_saveexec_b64 s[8:9], vcc
	s_cbranch_execz .LBB62_679
; %bb.676:
	v_mov_b32_e32 v132, 0
	v_add_u32_e32 v131, 0x104, v1
	v_add3_u32 v132, v1, v132, 4
	s_mov_b64 s[10:11], 0
	v_mov_b32_e32 v133, v0
.LBB62_677:                             ; =>This Inner Loop Header: Depth=1
	buffer_load_dword v134, v132, s[0:3], 0 offen
	ds_read_b32 v135, v131
	v_add_u32_e32 v133, 1, v133
	v_cmp_lt_u32_e32 vcc, 5, v133
	v_add_u32_e32 v131, 4, v131
	v_add_u32_e32 v132, 4, v132
	s_or_b64 s[10:11], vcc, s[10:11]
	s_waitcnt vmcnt(0) lgkmcnt(0)
	v_fmac_f32_e32 v130, v134, v135
	s_andn2_b64 exec, exec, s[10:11]
	s_cbranch_execnz .LBB62_677
; %bb.678:
	s_or_b64 exec, exec, s[10:11]
.LBB62_679:
	s_or_b64 exec, exec, s[8:9]
	v_mov_b32_e32 v131, 0
	ds_read_b32 v131, v131 offset:28
	s_waitcnt lgkmcnt(0)
	v_mul_f32_e32 v130, v130, v131
	buffer_store_dword v130, off, s[0:3], 0 offset:28
.LBB62_680:
	s_or_b64 exec, exec, s[6:7]
	buffer_load_dword v130, off, s[0:3], 0 offset:32
	v_cmp_gt_u32_e32 vcc, 8, v0
	s_waitcnt vmcnt(0)
	ds_write_b32 v128, v130
	s_waitcnt lgkmcnt(0)
	; wave barrier
	s_waitcnt lgkmcnt(0)
	s_and_saveexec_b64 s[6:7], vcc
	s_cbranch_execz .LBB62_690
; %bb.681:
	s_and_b64 vcc, exec, s[4:5]
	s_cbranch_vccnz .LBB62_683
; %bb.682:
	buffer_load_dword v130, v129, s[0:3], 0 offen
	ds_read_b32 v131, v128
	s_waitcnt vmcnt(0) lgkmcnt(0)
	v_mul_f32_e32 v130, v130, v131
	s_cbranch_execz .LBB62_684
	s_branch .LBB62_685
.LBB62_683:
                                        ; implicit-def: $vgpr130
.LBB62_684:
	ds_read_b32 v130, v128
.LBB62_685:
	v_cmp_ne_u32_e32 vcc, 7, v0
	s_and_saveexec_b64 s[8:9], vcc
	s_cbranch_execz .LBB62_689
; %bb.686:
	v_mov_b32_e32 v132, 0
	v_add_u32_e32 v131, 0x104, v1
	v_add3_u32 v132, v1, v132, 4
	s_mov_b64 s[10:11], 0
	v_mov_b32_e32 v133, v0
.LBB62_687:                             ; =>This Inner Loop Header: Depth=1
	buffer_load_dword v134, v132, s[0:3], 0 offen
	ds_read_b32 v135, v131
	v_add_u32_e32 v133, 1, v133
	v_cmp_lt_u32_e32 vcc, 6, v133
	v_add_u32_e32 v131, 4, v131
	v_add_u32_e32 v132, 4, v132
	s_or_b64 s[10:11], vcc, s[10:11]
	s_waitcnt vmcnt(0) lgkmcnt(0)
	v_fmac_f32_e32 v130, v134, v135
	s_andn2_b64 exec, exec, s[10:11]
	s_cbranch_execnz .LBB62_687
; %bb.688:
	s_or_b64 exec, exec, s[10:11]
.LBB62_689:
	s_or_b64 exec, exec, s[8:9]
	v_mov_b32_e32 v131, 0
	ds_read_b32 v131, v131 offset:32
	s_waitcnt lgkmcnt(0)
	v_mul_f32_e32 v130, v130, v131
	buffer_store_dword v130, off, s[0:3], 0 offset:32
.LBB62_690:
	s_or_b64 exec, exec, s[6:7]
	buffer_load_dword v130, off, s[0:3], 0 offset:36
	v_cmp_gt_u32_e32 vcc, 9, v0
	s_waitcnt vmcnt(0)
	ds_write_b32 v128, v130
	s_waitcnt lgkmcnt(0)
	; wave barrier
	s_waitcnt lgkmcnt(0)
	s_and_saveexec_b64 s[6:7], vcc
	s_cbranch_execz .LBB62_700
; %bb.691:
	s_and_b64 vcc, exec, s[4:5]
	s_cbranch_vccnz .LBB62_693
; %bb.692:
	buffer_load_dword v130, v129, s[0:3], 0 offen
	ds_read_b32 v131, v128
	s_waitcnt vmcnt(0) lgkmcnt(0)
	v_mul_f32_e32 v130, v130, v131
	s_cbranch_execz .LBB62_694
	s_branch .LBB62_695
.LBB62_693:
                                        ; implicit-def: $vgpr130
.LBB62_694:
	ds_read_b32 v130, v128
.LBB62_695:
	v_cmp_ne_u32_e32 vcc, 8, v0
	s_and_saveexec_b64 s[8:9], vcc
	s_cbranch_execz .LBB62_699
; %bb.696:
	v_mov_b32_e32 v132, 0
	v_add_u32_e32 v131, 0x104, v1
	v_add3_u32 v132, v1, v132, 4
	s_mov_b64 s[10:11], 0
	v_mov_b32_e32 v133, v0
.LBB62_697:                             ; =>This Inner Loop Header: Depth=1
	buffer_load_dword v134, v132, s[0:3], 0 offen
	ds_read_b32 v135, v131
	v_add_u32_e32 v133, 1, v133
	v_cmp_lt_u32_e32 vcc, 7, v133
	v_add_u32_e32 v131, 4, v131
	v_add_u32_e32 v132, 4, v132
	s_or_b64 s[10:11], vcc, s[10:11]
	s_waitcnt vmcnt(0) lgkmcnt(0)
	v_fmac_f32_e32 v130, v134, v135
	s_andn2_b64 exec, exec, s[10:11]
	s_cbranch_execnz .LBB62_697
; %bb.698:
	s_or_b64 exec, exec, s[10:11]
.LBB62_699:
	s_or_b64 exec, exec, s[8:9]
	v_mov_b32_e32 v131, 0
	ds_read_b32 v131, v131 offset:36
	s_waitcnt lgkmcnt(0)
	v_mul_f32_e32 v130, v130, v131
	buffer_store_dword v130, off, s[0:3], 0 offset:36
.LBB62_700:
	s_or_b64 exec, exec, s[6:7]
	buffer_load_dword v130, off, s[0:3], 0 offset:40
	v_cmp_gt_u32_e32 vcc, 10, v0
	s_waitcnt vmcnt(0)
	ds_write_b32 v128, v130
	s_waitcnt lgkmcnt(0)
	; wave barrier
	s_waitcnt lgkmcnt(0)
	s_and_saveexec_b64 s[6:7], vcc
	s_cbranch_execz .LBB62_710
; %bb.701:
	s_and_b64 vcc, exec, s[4:5]
	s_cbranch_vccnz .LBB62_703
; %bb.702:
	buffer_load_dword v130, v129, s[0:3], 0 offen
	ds_read_b32 v131, v128
	s_waitcnt vmcnt(0) lgkmcnt(0)
	v_mul_f32_e32 v130, v130, v131
	s_cbranch_execz .LBB62_704
	s_branch .LBB62_705
.LBB62_703:
                                        ; implicit-def: $vgpr130
.LBB62_704:
	ds_read_b32 v130, v128
.LBB62_705:
	v_cmp_ne_u32_e32 vcc, 9, v0
	s_and_saveexec_b64 s[8:9], vcc
	s_cbranch_execz .LBB62_709
; %bb.706:
	v_mov_b32_e32 v132, 0
	v_add_u32_e32 v131, 0x104, v1
	v_add3_u32 v132, v1, v132, 4
	s_mov_b64 s[10:11], 0
	v_mov_b32_e32 v133, v0
.LBB62_707:                             ; =>This Inner Loop Header: Depth=1
	buffer_load_dword v134, v132, s[0:3], 0 offen
	ds_read_b32 v135, v131
	v_add_u32_e32 v133, 1, v133
	v_cmp_lt_u32_e32 vcc, 8, v133
	v_add_u32_e32 v131, 4, v131
	v_add_u32_e32 v132, 4, v132
	s_or_b64 s[10:11], vcc, s[10:11]
	s_waitcnt vmcnt(0) lgkmcnt(0)
	v_fmac_f32_e32 v130, v134, v135
	s_andn2_b64 exec, exec, s[10:11]
	s_cbranch_execnz .LBB62_707
; %bb.708:
	s_or_b64 exec, exec, s[10:11]
.LBB62_709:
	s_or_b64 exec, exec, s[8:9]
	v_mov_b32_e32 v131, 0
	ds_read_b32 v131, v131 offset:40
	s_waitcnt lgkmcnt(0)
	v_mul_f32_e32 v130, v130, v131
	buffer_store_dword v130, off, s[0:3], 0 offset:40
.LBB62_710:
	s_or_b64 exec, exec, s[6:7]
	buffer_load_dword v130, off, s[0:3], 0 offset:44
	v_cmp_gt_u32_e32 vcc, 11, v0
	s_waitcnt vmcnt(0)
	ds_write_b32 v128, v130
	s_waitcnt lgkmcnt(0)
	; wave barrier
	s_waitcnt lgkmcnt(0)
	s_and_saveexec_b64 s[6:7], vcc
	s_cbranch_execz .LBB62_720
; %bb.711:
	s_and_b64 vcc, exec, s[4:5]
	s_cbranch_vccnz .LBB62_713
; %bb.712:
	buffer_load_dword v130, v129, s[0:3], 0 offen
	ds_read_b32 v131, v128
	s_waitcnt vmcnt(0) lgkmcnt(0)
	v_mul_f32_e32 v130, v130, v131
	s_cbranch_execz .LBB62_714
	s_branch .LBB62_715
.LBB62_713:
                                        ; implicit-def: $vgpr130
.LBB62_714:
	ds_read_b32 v130, v128
.LBB62_715:
	v_cmp_ne_u32_e32 vcc, 10, v0
	s_and_saveexec_b64 s[8:9], vcc
	s_cbranch_execz .LBB62_719
; %bb.716:
	v_mov_b32_e32 v132, 0
	v_add_u32_e32 v131, 0x104, v1
	v_add3_u32 v132, v1, v132, 4
	s_mov_b64 s[10:11], 0
	v_mov_b32_e32 v133, v0
.LBB62_717:                             ; =>This Inner Loop Header: Depth=1
	buffer_load_dword v134, v132, s[0:3], 0 offen
	ds_read_b32 v135, v131
	v_add_u32_e32 v133, 1, v133
	v_cmp_lt_u32_e32 vcc, 9, v133
	v_add_u32_e32 v131, 4, v131
	v_add_u32_e32 v132, 4, v132
	s_or_b64 s[10:11], vcc, s[10:11]
	s_waitcnt vmcnt(0) lgkmcnt(0)
	v_fmac_f32_e32 v130, v134, v135
	s_andn2_b64 exec, exec, s[10:11]
	s_cbranch_execnz .LBB62_717
; %bb.718:
	s_or_b64 exec, exec, s[10:11]
.LBB62_719:
	s_or_b64 exec, exec, s[8:9]
	v_mov_b32_e32 v131, 0
	ds_read_b32 v131, v131 offset:44
	s_waitcnt lgkmcnt(0)
	v_mul_f32_e32 v130, v130, v131
	buffer_store_dword v130, off, s[0:3], 0 offset:44
.LBB62_720:
	s_or_b64 exec, exec, s[6:7]
	buffer_load_dword v130, off, s[0:3], 0 offset:48
	v_cmp_gt_u32_e32 vcc, 12, v0
	s_waitcnt vmcnt(0)
	ds_write_b32 v128, v130
	s_waitcnt lgkmcnt(0)
	; wave barrier
	s_waitcnt lgkmcnt(0)
	s_and_saveexec_b64 s[6:7], vcc
	s_cbranch_execz .LBB62_730
; %bb.721:
	s_and_b64 vcc, exec, s[4:5]
	s_cbranch_vccnz .LBB62_723
; %bb.722:
	buffer_load_dword v130, v129, s[0:3], 0 offen
	ds_read_b32 v131, v128
	s_waitcnt vmcnt(0) lgkmcnt(0)
	v_mul_f32_e32 v130, v130, v131
	s_cbranch_execz .LBB62_724
	s_branch .LBB62_725
.LBB62_723:
                                        ; implicit-def: $vgpr130
.LBB62_724:
	ds_read_b32 v130, v128
.LBB62_725:
	v_cmp_ne_u32_e32 vcc, 11, v0
	s_and_saveexec_b64 s[8:9], vcc
	s_cbranch_execz .LBB62_729
; %bb.726:
	v_mov_b32_e32 v132, 0
	v_add_u32_e32 v131, 0x104, v1
	v_add3_u32 v132, v1, v132, 4
	s_mov_b64 s[10:11], 0
	v_mov_b32_e32 v133, v0
.LBB62_727:                             ; =>This Inner Loop Header: Depth=1
	buffer_load_dword v134, v132, s[0:3], 0 offen
	ds_read_b32 v135, v131
	v_add_u32_e32 v133, 1, v133
	v_cmp_lt_u32_e32 vcc, 10, v133
	v_add_u32_e32 v131, 4, v131
	v_add_u32_e32 v132, 4, v132
	s_or_b64 s[10:11], vcc, s[10:11]
	s_waitcnt vmcnt(0) lgkmcnt(0)
	v_fmac_f32_e32 v130, v134, v135
	s_andn2_b64 exec, exec, s[10:11]
	s_cbranch_execnz .LBB62_727
; %bb.728:
	s_or_b64 exec, exec, s[10:11]
.LBB62_729:
	s_or_b64 exec, exec, s[8:9]
	v_mov_b32_e32 v131, 0
	ds_read_b32 v131, v131 offset:48
	s_waitcnt lgkmcnt(0)
	v_mul_f32_e32 v130, v130, v131
	buffer_store_dword v130, off, s[0:3], 0 offset:48
.LBB62_730:
	s_or_b64 exec, exec, s[6:7]
	buffer_load_dword v130, off, s[0:3], 0 offset:52
	v_cmp_gt_u32_e32 vcc, 13, v0
	s_waitcnt vmcnt(0)
	ds_write_b32 v128, v130
	s_waitcnt lgkmcnt(0)
	; wave barrier
	s_waitcnt lgkmcnt(0)
	s_and_saveexec_b64 s[6:7], vcc
	s_cbranch_execz .LBB62_740
; %bb.731:
	s_and_b64 vcc, exec, s[4:5]
	s_cbranch_vccnz .LBB62_733
; %bb.732:
	buffer_load_dword v130, v129, s[0:3], 0 offen
	ds_read_b32 v131, v128
	s_waitcnt vmcnt(0) lgkmcnt(0)
	v_mul_f32_e32 v130, v130, v131
	s_cbranch_execz .LBB62_734
	s_branch .LBB62_735
.LBB62_733:
                                        ; implicit-def: $vgpr130
.LBB62_734:
	ds_read_b32 v130, v128
.LBB62_735:
	v_cmp_ne_u32_e32 vcc, 12, v0
	s_and_saveexec_b64 s[8:9], vcc
	s_cbranch_execz .LBB62_739
; %bb.736:
	v_mov_b32_e32 v132, 0
	v_add_u32_e32 v131, 0x104, v1
	v_add3_u32 v132, v1, v132, 4
	s_mov_b64 s[10:11], 0
	v_mov_b32_e32 v133, v0
.LBB62_737:                             ; =>This Inner Loop Header: Depth=1
	buffer_load_dword v134, v132, s[0:3], 0 offen
	ds_read_b32 v135, v131
	v_add_u32_e32 v133, 1, v133
	v_cmp_lt_u32_e32 vcc, 11, v133
	v_add_u32_e32 v131, 4, v131
	v_add_u32_e32 v132, 4, v132
	s_or_b64 s[10:11], vcc, s[10:11]
	s_waitcnt vmcnt(0) lgkmcnt(0)
	v_fmac_f32_e32 v130, v134, v135
	s_andn2_b64 exec, exec, s[10:11]
	s_cbranch_execnz .LBB62_737
; %bb.738:
	s_or_b64 exec, exec, s[10:11]
.LBB62_739:
	s_or_b64 exec, exec, s[8:9]
	v_mov_b32_e32 v131, 0
	ds_read_b32 v131, v131 offset:52
	s_waitcnt lgkmcnt(0)
	v_mul_f32_e32 v130, v130, v131
	buffer_store_dword v130, off, s[0:3], 0 offset:52
.LBB62_740:
	s_or_b64 exec, exec, s[6:7]
	buffer_load_dword v130, off, s[0:3], 0 offset:56
	v_cmp_gt_u32_e32 vcc, 14, v0
	s_waitcnt vmcnt(0)
	ds_write_b32 v128, v130
	s_waitcnt lgkmcnt(0)
	; wave barrier
	s_waitcnt lgkmcnt(0)
	s_and_saveexec_b64 s[6:7], vcc
	s_cbranch_execz .LBB62_750
; %bb.741:
	s_and_b64 vcc, exec, s[4:5]
	s_cbranch_vccnz .LBB62_743
; %bb.742:
	buffer_load_dword v130, v129, s[0:3], 0 offen
	ds_read_b32 v131, v128
	s_waitcnt vmcnt(0) lgkmcnt(0)
	v_mul_f32_e32 v130, v130, v131
	s_cbranch_execz .LBB62_744
	s_branch .LBB62_745
.LBB62_743:
                                        ; implicit-def: $vgpr130
.LBB62_744:
	ds_read_b32 v130, v128
.LBB62_745:
	v_cmp_ne_u32_e32 vcc, 13, v0
	s_and_saveexec_b64 s[8:9], vcc
	s_cbranch_execz .LBB62_749
; %bb.746:
	v_mov_b32_e32 v132, 0
	v_add_u32_e32 v131, 0x104, v1
	v_add3_u32 v132, v1, v132, 4
	s_mov_b64 s[10:11], 0
	v_mov_b32_e32 v133, v0
.LBB62_747:                             ; =>This Inner Loop Header: Depth=1
	buffer_load_dword v134, v132, s[0:3], 0 offen
	ds_read_b32 v135, v131
	v_add_u32_e32 v133, 1, v133
	v_cmp_lt_u32_e32 vcc, 12, v133
	v_add_u32_e32 v131, 4, v131
	v_add_u32_e32 v132, 4, v132
	s_or_b64 s[10:11], vcc, s[10:11]
	s_waitcnt vmcnt(0) lgkmcnt(0)
	v_fmac_f32_e32 v130, v134, v135
	s_andn2_b64 exec, exec, s[10:11]
	s_cbranch_execnz .LBB62_747
; %bb.748:
	s_or_b64 exec, exec, s[10:11]
.LBB62_749:
	s_or_b64 exec, exec, s[8:9]
	v_mov_b32_e32 v131, 0
	ds_read_b32 v131, v131 offset:56
	s_waitcnt lgkmcnt(0)
	v_mul_f32_e32 v130, v130, v131
	buffer_store_dword v130, off, s[0:3], 0 offset:56
.LBB62_750:
	s_or_b64 exec, exec, s[6:7]
	buffer_load_dword v130, off, s[0:3], 0 offset:60
	v_cmp_gt_u32_e32 vcc, 15, v0
	s_waitcnt vmcnt(0)
	ds_write_b32 v128, v130
	s_waitcnt lgkmcnt(0)
	; wave barrier
	s_waitcnt lgkmcnt(0)
	s_and_saveexec_b64 s[6:7], vcc
	s_cbranch_execz .LBB62_760
; %bb.751:
	s_and_b64 vcc, exec, s[4:5]
	s_cbranch_vccnz .LBB62_753
; %bb.752:
	buffer_load_dword v130, v129, s[0:3], 0 offen
	ds_read_b32 v131, v128
	s_waitcnt vmcnt(0) lgkmcnt(0)
	v_mul_f32_e32 v130, v130, v131
	s_cbranch_execz .LBB62_754
	s_branch .LBB62_755
.LBB62_753:
                                        ; implicit-def: $vgpr130
.LBB62_754:
	ds_read_b32 v130, v128
.LBB62_755:
	v_cmp_ne_u32_e32 vcc, 14, v0
	s_and_saveexec_b64 s[8:9], vcc
	s_cbranch_execz .LBB62_759
; %bb.756:
	v_mov_b32_e32 v132, 0
	v_add_u32_e32 v131, 0x104, v1
	v_add3_u32 v132, v1, v132, 4
	s_mov_b64 s[10:11], 0
	v_mov_b32_e32 v133, v0
.LBB62_757:                             ; =>This Inner Loop Header: Depth=1
	buffer_load_dword v134, v132, s[0:3], 0 offen
	ds_read_b32 v135, v131
	v_add_u32_e32 v133, 1, v133
	v_cmp_lt_u32_e32 vcc, 13, v133
	v_add_u32_e32 v131, 4, v131
	v_add_u32_e32 v132, 4, v132
	s_or_b64 s[10:11], vcc, s[10:11]
	s_waitcnt vmcnt(0) lgkmcnt(0)
	v_fmac_f32_e32 v130, v134, v135
	s_andn2_b64 exec, exec, s[10:11]
	s_cbranch_execnz .LBB62_757
; %bb.758:
	s_or_b64 exec, exec, s[10:11]
.LBB62_759:
	s_or_b64 exec, exec, s[8:9]
	v_mov_b32_e32 v131, 0
	ds_read_b32 v131, v131 offset:60
	s_waitcnt lgkmcnt(0)
	v_mul_f32_e32 v130, v130, v131
	buffer_store_dword v130, off, s[0:3], 0 offset:60
.LBB62_760:
	s_or_b64 exec, exec, s[6:7]
	buffer_load_dword v130, off, s[0:3], 0 offset:64
	v_cmp_gt_u32_e32 vcc, 16, v0
	s_waitcnt vmcnt(0)
	ds_write_b32 v128, v130
	s_waitcnt lgkmcnt(0)
	; wave barrier
	s_waitcnt lgkmcnt(0)
	s_and_saveexec_b64 s[6:7], vcc
	s_cbranch_execz .LBB62_770
; %bb.761:
	s_and_b64 vcc, exec, s[4:5]
	s_cbranch_vccnz .LBB62_763
; %bb.762:
	buffer_load_dword v130, v129, s[0:3], 0 offen
	ds_read_b32 v131, v128
	s_waitcnt vmcnt(0) lgkmcnt(0)
	v_mul_f32_e32 v130, v130, v131
	s_cbranch_execz .LBB62_764
	s_branch .LBB62_765
.LBB62_763:
                                        ; implicit-def: $vgpr130
.LBB62_764:
	ds_read_b32 v130, v128
.LBB62_765:
	v_cmp_ne_u32_e32 vcc, 15, v0
	s_and_saveexec_b64 s[8:9], vcc
	s_cbranch_execz .LBB62_769
; %bb.766:
	v_mov_b32_e32 v132, 0
	v_add_u32_e32 v131, 0x104, v1
	v_add3_u32 v132, v1, v132, 4
	s_mov_b64 s[10:11], 0
	v_mov_b32_e32 v133, v0
.LBB62_767:                             ; =>This Inner Loop Header: Depth=1
	buffer_load_dword v134, v132, s[0:3], 0 offen
	ds_read_b32 v135, v131
	v_add_u32_e32 v133, 1, v133
	v_cmp_lt_u32_e32 vcc, 14, v133
	v_add_u32_e32 v131, 4, v131
	v_add_u32_e32 v132, 4, v132
	s_or_b64 s[10:11], vcc, s[10:11]
	s_waitcnt vmcnt(0) lgkmcnt(0)
	v_fmac_f32_e32 v130, v134, v135
	s_andn2_b64 exec, exec, s[10:11]
	s_cbranch_execnz .LBB62_767
; %bb.768:
	s_or_b64 exec, exec, s[10:11]
.LBB62_769:
	s_or_b64 exec, exec, s[8:9]
	v_mov_b32_e32 v131, 0
	ds_read_b32 v131, v131 offset:64
	s_waitcnt lgkmcnt(0)
	v_mul_f32_e32 v130, v130, v131
	buffer_store_dword v130, off, s[0:3], 0 offset:64
.LBB62_770:
	s_or_b64 exec, exec, s[6:7]
	buffer_load_dword v130, off, s[0:3], 0 offset:68
	v_cmp_gt_u32_e32 vcc, 17, v0
	s_waitcnt vmcnt(0)
	ds_write_b32 v128, v130
	s_waitcnt lgkmcnt(0)
	; wave barrier
	s_waitcnt lgkmcnt(0)
	s_and_saveexec_b64 s[6:7], vcc
	s_cbranch_execz .LBB62_780
; %bb.771:
	s_and_b64 vcc, exec, s[4:5]
	s_cbranch_vccnz .LBB62_773
; %bb.772:
	buffer_load_dword v130, v129, s[0:3], 0 offen
	ds_read_b32 v131, v128
	s_waitcnt vmcnt(0) lgkmcnt(0)
	v_mul_f32_e32 v130, v130, v131
	s_cbranch_execz .LBB62_774
	s_branch .LBB62_775
.LBB62_773:
                                        ; implicit-def: $vgpr130
.LBB62_774:
	ds_read_b32 v130, v128
.LBB62_775:
	v_cmp_ne_u32_e32 vcc, 16, v0
	s_and_saveexec_b64 s[8:9], vcc
	s_cbranch_execz .LBB62_779
; %bb.776:
	v_mov_b32_e32 v132, 0
	v_add_u32_e32 v131, 0x104, v1
	v_add3_u32 v132, v1, v132, 4
	s_mov_b64 s[10:11], 0
	v_mov_b32_e32 v133, v0
.LBB62_777:                             ; =>This Inner Loop Header: Depth=1
	buffer_load_dword v134, v132, s[0:3], 0 offen
	ds_read_b32 v135, v131
	v_add_u32_e32 v133, 1, v133
	v_cmp_lt_u32_e32 vcc, 15, v133
	v_add_u32_e32 v131, 4, v131
	v_add_u32_e32 v132, 4, v132
	s_or_b64 s[10:11], vcc, s[10:11]
	s_waitcnt vmcnt(0) lgkmcnt(0)
	v_fmac_f32_e32 v130, v134, v135
	s_andn2_b64 exec, exec, s[10:11]
	s_cbranch_execnz .LBB62_777
; %bb.778:
	s_or_b64 exec, exec, s[10:11]
.LBB62_779:
	s_or_b64 exec, exec, s[8:9]
	v_mov_b32_e32 v131, 0
	ds_read_b32 v131, v131 offset:68
	s_waitcnt lgkmcnt(0)
	v_mul_f32_e32 v130, v130, v131
	buffer_store_dword v130, off, s[0:3], 0 offset:68
.LBB62_780:
	s_or_b64 exec, exec, s[6:7]
	buffer_load_dword v130, off, s[0:3], 0 offset:72
	v_cmp_gt_u32_e32 vcc, 18, v0
	s_waitcnt vmcnt(0)
	ds_write_b32 v128, v130
	s_waitcnt lgkmcnt(0)
	; wave barrier
	s_waitcnt lgkmcnt(0)
	s_and_saveexec_b64 s[6:7], vcc
	s_cbranch_execz .LBB62_790
; %bb.781:
	s_and_b64 vcc, exec, s[4:5]
	s_cbranch_vccnz .LBB62_783
; %bb.782:
	buffer_load_dword v130, v129, s[0:3], 0 offen
	ds_read_b32 v131, v128
	s_waitcnt vmcnt(0) lgkmcnt(0)
	v_mul_f32_e32 v130, v130, v131
	s_cbranch_execz .LBB62_784
	s_branch .LBB62_785
.LBB62_783:
                                        ; implicit-def: $vgpr130
.LBB62_784:
	ds_read_b32 v130, v128
.LBB62_785:
	v_cmp_ne_u32_e32 vcc, 17, v0
	s_and_saveexec_b64 s[8:9], vcc
	s_cbranch_execz .LBB62_789
; %bb.786:
	v_mov_b32_e32 v132, 0
	v_add_u32_e32 v131, 0x104, v1
	v_add3_u32 v132, v1, v132, 4
	s_mov_b64 s[10:11], 0
	v_mov_b32_e32 v133, v0
.LBB62_787:                             ; =>This Inner Loop Header: Depth=1
	buffer_load_dword v134, v132, s[0:3], 0 offen
	ds_read_b32 v135, v131
	v_add_u32_e32 v133, 1, v133
	v_cmp_lt_u32_e32 vcc, 16, v133
	v_add_u32_e32 v131, 4, v131
	v_add_u32_e32 v132, 4, v132
	s_or_b64 s[10:11], vcc, s[10:11]
	s_waitcnt vmcnt(0) lgkmcnt(0)
	v_fmac_f32_e32 v130, v134, v135
	s_andn2_b64 exec, exec, s[10:11]
	s_cbranch_execnz .LBB62_787
; %bb.788:
	s_or_b64 exec, exec, s[10:11]
.LBB62_789:
	s_or_b64 exec, exec, s[8:9]
	v_mov_b32_e32 v131, 0
	ds_read_b32 v131, v131 offset:72
	s_waitcnt lgkmcnt(0)
	v_mul_f32_e32 v130, v130, v131
	buffer_store_dword v130, off, s[0:3], 0 offset:72
.LBB62_790:
	s_or_b64 exec, exec, s[6:7]
	buffer_load_dword v130, off, s[0:3], 0 offset:76
	v_cmp_gt_u32_e32 vcc, 19, v0
	s_waitcnt vmcnt(0)
	ds_write_b32 v128, v130
	s_waitcnt lgkmcnt(0)
	; wave barrier
	s_waitcnt lgkmcnt(0)
	s_and_saveexec_b64 s[6:7], vcc
	s_cbranch_execz .LBB62_800
; %bb.791:
	s_and_b64 vcc, exec, s[4:5]
	s_cbranch_vccnz .LBB62_793
; %bb.792:
	buffer_load_dword v130, v129, s[0:3], 0 offen
	ds_read_b32 v131, v128
	s_waitcnt vmcnt(0) lgkmcnt(0)
	v_mul_f32_e32 v130, v130, v131
	s_cbranch_execz .LBB62_794
	s_branch .LBB62_795
.LBB62_793:
                                        ; implicit-def: $vgpr130
.LBB62_794:
	ds_read_b32 v130, v128
.LBB62_795:
	v_cmp_ne_u32_e32 vcc, 18, v0
	s_and_saveexec_b64 s[8:9], vcc
	s_cbranch_execz .LBB62_799
; %bb.796:
	v_mov_b32_e32 v132, 0
	v_add_u32_e32 v131, 0x104, v1
	v_add3_u32 v132, v1, v132, 4
	s_mov_b64 s[10:11], 0
	v_mov_b32_e32 v133, v0
.LBB62_797:                             ; =>This Inner Loop Header: Depth=1
	buffer_load_dword v134, v132, s[0:3], 0 offen
	ds_read_b32 v135, v131
	v_add_u32_e32 v133, 1, v133
	v_cmp_lt_u32_e32 vcc, 17, v133
	v_add_u32_e32 v131, 4, v131
	v_add_u32_e32 v132, 4, v132
	s_or_b64 s[10:11], vcc, s[10:11]
	s_waitcnt vmcnt(0) lgkmcnt(0)
	v_fmac_f32_e32 v130, v134, v135
	s_andn2_b64 exec, exec, s[10:11]
	s_cbranch_execnz .LBB62_797
; %bb.798:
	s_or_b64 exec, exec, s[10:11]
.LBB62_799:
	s_or_b64 exec, exec, s[8:9]
	v_mov_b32_e32 v131, 0
	ds_read_b32 v131, v131 offset:76
	s_waitcnt lgkmcnt(0)
	v_mul_f32_e32 v130, v130, v131
	buffer_store_dword v130, off, s[0:3], 0 offset:76
.LBB62_800:
	s_or_b64 exec, exec, s[6:7]
	buffer_load_dword v130, off, s[0:3], 0 offset:80
	v_cmp_gt_u32_e32 vcc, 20, v0
	s_waitcnt vmcnt(0)
	ds_write_b32 v128, v130
	s_waitcnt lgkmcnt(0)
	; wave barrier
	s_waitcnt lgkmcnt(0)
	s_and_saveexec_b64 s[6:7], vcc
	s_cbranch_execz .LBB62_810
; %bb.801:
	s_and_b64 vcc, exec, s[4:5]
	s_cbranch_vccnz .LBB62_803
; %bb.802:
	buffer_load_dword v130, v129, s[0:3], 0 offen
	ds_read_b32 v131, v128
	s_waitcnt vmcnt(0) lgkmcnt(0)
	v_mul_f32_e32 v130, v130, v131
	s_cbranch_execz .LBB62_804
	s_branch .LBB62_805
.LBB62_803:
                                        ; implicit-def: $vgpr130
.LBB62_804:
	ds_read_b32 v130, v128
.LBB62_805:
	v_cmp_ne_u32_e32 vcc, 19, v0
	s_and_saveexec_b64 s[8:9], vcc
	s_cbranch_execz .LBB62_809
; %bb.806:
	v_mov_b32_e32 v132, 0
	v_add_u32_e32 v131, 0x104, v1
	v_add3_u32 v132, v1, v132, 4
	s_mov_b64 s[10:11], 0
	v_mov_b32_e32 v133, v0
.LBB62_807:                             ; =>This Inner Loop Header: Depth=1
	buffer_load_dword v134, v132, s[0:3], 0 offen
	ds_read_b32 v135, v131
	v_add_u32_e32 v133, 1, v133
	v_cmp_lt_u32_e32 vcc, 18, v133
	v_add_u32_e32 v131, 4, v131
	v_add_u32_e32 v132, 4, v132
	s_or_b64 s[10:11], vcc, s[10:11]
	s_waitcnt vmcnt(0) lgkmcnt(0)
	v_fmac_f32_e32 v130, v134, v135
	s_andn2_b64 exec, exec, s[10:11]
	s_cbranch_execnz .LBB62_807
; %bb.808:
	s_or_b64 exec, exec, s[10:11]
.LBB62_809:
	s_or_b64 exec, exec, s[8:9]
	v_mov_b32_e32 v131, 0
	ds_read_b32 v131, v131 offset:80
	s_waitcnt lgkmcnt(0)
	v_mul_f32_e32 v130, v130, v131
	buffer_store_dword v130, off, s[0:3], 0 offset:80
.LBB62_810:
	s_or_b64 exec, exec, s[6:7]
	buffer_load_dword v130, off, s[0:3], 0 offset:84
	v_cmp_gt_u32_e32 vcc, 21, v0
	s_waitcnt vmcnt(0)
	ds_write_b32 v128, v130
	s_waitcnt lgkmcnt(0)
	; wave barrier
	s_waitcnt lgkmcnt(0)
	s_and_saveexec_b64 s[6:7], vcc
	s_cbranch_execz .LBB62_820
; %bb.811:
	s_and_b64 vcc, exec, s[4:5]
	s_cbranch_vccnz .LBB62_813
; %bb.812:
	buffer_load_dword v130, v129, s[0:3], 0 offen
	ds_read_b32 v131, v128
	s_waitcnt vmcnt(0) lgkmcnt(0)
	v_mul_f32_e32 v130, v130, v131
	s_cbranch_execz .LBB62_814
	s_branch .LBB62_815
.LBB62_813:
                                        ; implicit-def: $vgpr130
.LBB62_814:
	ds_read_b32 v130, v128
.LBB62_815:
	v_cmp_ne_u32_e32 vcc, 20, v0
	s_and_saveexec_b64 s[8:9], vcc
	s_cbranch_execz .LBB62_819
; %bb.816:
	v_mov_b32_e32 v132, 0
	v_add_u32_e32 v131, 0x104, v1
	v_add3_u32 v132, v1, v132, 4
	s_mov_b64 s[10:11], 0
	v_mov_b32_e32 v133, v0
.LBB62_817:                             ; =>This Inner Loop Header: Depth=1
	buffer_load_dword v134, v132, s[0:3], 0 offen
	ds_read_b32 v135, v131
	v_add_u32_e32 v133, 1, v133
	v_cmp_lt_u32_e32 vcc, 19, v133
	v_add_u32_e32 v131, 4, v131
	v_add_u32_e32 v132, 4, v132
	s_or_b64 s[10:11], vcc, s[10:11]
	s_waitcnt vmcnt(0) lgkmcnt(0)
	v_fmac_f32_e32 v130, v134, v135
	s_andn2_b64 exec, exec, s[10:11]
	s_cbranch_execnz .LBB62_817
; %bb.818:
	s_or_b64 exec, exec, s[10:11]
.LBB62_819:
	s_or_b64 exec, exec, s[8:9]
	v_mov_b32_e32 v131, 0
	ds_read_b32 v131, v131 offset:84
	s_waitcnt lgkmcnt(0)
	v_mul_f32_e32 v130, v130, v131
	buffer_store_dword v130, off, s[0:3], 0 offset:84
.LBB62_820:
	s_or_b64 exec, exec, s[6:7]
	buffer_load_dword v130, off, s[0:3], 0 offset:88
	v_cmp_gt_u32_e32 vcc, 22, v0
	s_waitcnt vmcnt(0)
	ds_write_b32 v128, v130
	s_waitcnt lgkmcnt(0)
	; wave barrier
	s_waitcnt lgkmcnt(0)
	s_and_saveexec_b64 s[6:7], vcc
	s_cbranch_execz .LBB62_830
; %bb.821:
	s_and_b64 vcc, exec, s[4:5]
	s_cbranch_vccnz .LBB62_823
; %bb.822:
	buffer_load_dword v130, v129, s[0:3], 0 offen
	ds_read_b32 v131, v128
	s_waitcnt vmcnt(0) lgkmcnt(0)
	v_mul_f32_e32 v130, v130, v131
	s_cbranch_execz .LBB62_824
	s_branch .LBB62_825
.LBB62_823:
                                        ; implicit-def: $vgpr130
.LBB62_824:
	ds_read_b32 v130, v128
.LBB62_825:
	v_cmp_ne_u32_e32 vcc, 21, v0
	s_and_saveexec_b64 s[8:9], vcc
	s_cbranch_execz .LBB62_829
; %bb.826:
	v_mov_b32_e32 v132, 0
	v_add_u32_e32 v131, 0x104, v1
	v_add3_u32 v132, v1, v132, 4
	s_mov_b64 s[10:11], 0
	v_mov_b32_e32 v133, v0
.LBB62_827:                             ; =>This Inner Loop Header: Depth=1
	buffer_load_dword v134, v132, s[0:3], 0 offen
	ds_read_b32 v135, v131
	v_add_u32_e32 v133, 1, v133
	v_cmp_lt_u32_e32 vcc, 20, v133
	v_add_u32_e32 v131, 4, v131
	v_add_u32_e32 v132, 4, v132
	s_or_b64 s[10:11], vcc, s[10:11]
	s_waitcnt vmcnt(0) lgkmcnt(0)
	v_fmac_f32_e32 v130, v134, v135
	s_andn2_b64 exec, exec, s[10:11]
	s_cbranch_execnz .LBB62_827
; %bb.828:
	s_or_b64 exec, exec, s[10:11]
.LBB62_829:
	s_or_b64 exec, exec, s[8:9]
	v_mov_b32_e32 v131, 0
	ds_read_b32 v131, v131 offset:88
	s_waitcnt lgkmcnt(0)
	v_mul_f32_e32 v130, v130, v131
	buffer_store_dword v130, off, s[0:3], 0 offset:88
.LBB62_830:
	s_or_b64 exec, exec, s[6:7]
	buffer_load_dword v130, off, s[0:3], 0 offset:92
	v_cmp_gt_u32_e32 vcc, 23, v0
	s_waitcnt vmcnt(0)
	ds_write_b32 v128, v130
	s_waitcnt lgkmcnt(0)
	; wave barrier
	s_waitcnt lgkmcnt(0)
	s_and_saveexec_b64 s[6:7], vcc
	s_cbranch_execz .LBB62_840
; %bb.831:
	s_and_b64 vcc, exec, s[4:5]
	s_cbranch_vccnz .LBB62_833
; %bb.832:
	buffer_load_dword v130, v129, s[0:3], 0 offen
	ds_read_b32 v131, v128
	s_waitcnt vmcnt(0) lgkmcnt(0)
	v_mul_f32_e32 v130, v130, v131
	s_cbranch_execz .LBB62_834
	s_branch .LBB62_835
.LBB62_833:
                                        ; implicit-def: $vgpr130
.LBB62_834:
	ds_read_b32 v130, v128
.LBB62_835:
	v_cmp_ne_u32_e32 vcc, 22, v0
	s_and_saveexec_b64 s[8:9], vcc
	s_cbranch_execz .LBB62_839
; %bb.836:
	v_mov_b32_e32 v132, 0
	v_add_u32_e32 v131, 0x104, v1
	v_add3_u32 v132, v1, v132, 4
	s_mov_b64 s[10:11], 0
	v_mov_b32_e32 v133, v0
.LBB62_837:                             ; =>This Inner Loop Header: Depth=1
	buffer_load_dword v134, v132, s[0:3], 0 offen
	ds_read_b32 v135, v131
	v_add_u32_e32 v133, 1, v133
	v_cmp_lt_u32_e32 vcc, 21, v133
	v_add_u32_e32 v131, 4, v131
	v_add_u32_e32 v132, 4, v132
	s_or_b64 s[10:11], vcc, s[10:11]
	s_waitcnt vmcnt(0) lgkmcnt(0)
	v_fmac_f32_e32 v130, v134, v135
	s_andn2_b64 exec, exec, s[10:11]
	s_cbranch_execnz .LBB62_837
; %bb.838:
	s_or_b64 exec, exec, s[10:11]
.LBB62_839:
	s_or_b64 exec, exec, s[8:9]
	v_mov_b32_e32 v131, 0
	ds_read_b32 v131, v131 offset:92
	s_waitcnt lgkmcnt(0)
	v_mul_f32_e32 v130, v130, v131
	buffer_store_dword v130, off, s[0:3], 0 offset:92
.LBB62_840:
	s_or_b64 exec, exec, s[6:7]
	buffer_load_dword v130, off, s[0:3], 0 offset:96
	v_cmp_gt_u32_e32 vcc, 24, v0
	s_waitcnt vmcnt(0)
	ds_write_b32 v128, v130
	s_waitcnt lgkmcnt(0)
	; wave barrier
	s_waitcnt lgkmcnt(0)
	s_and_saveexec_b64 s[6:7], vcc
	s_cbranch_execz .LBB62_850
; %bb.841:
	s_and_b64 vcc, exec, s[4:5]
	s_cbranch_vccnz .LBB62_843
; %bb.842:
	buffer_load_dword v130, v129, s[0:3], 0 offen
	ds_read_b32 v131, v128
	s_waitcnt vmcnt(0) lgkmcnt(0)
	v_mul_f32_e32 v130, v130, v131
	s_cbranch_execz .LBB62_844
	s_branch .LBB62_845
.LBB62_843:
                                        ; implicit-def: $vgpr130
.LBB62_844:
	ds_read_b32 v130, v128
.LBB62_845:
	v_cmp_ne_u32_e32 vcc, 23, v0
	s_and_saveexec_b64 s[8:9], vcc
	s_cbranch_execz .LBB62_849
; %bb.846:
	v_mov_b32_e32 v132, 0
	v_add_u32_e32 v131, 0x104, v1
	v_add3_u32 v132, v1, v132, 4
	s_mov_b64 s[10:11], 0
	v_mov_b32_e32 v133, v0
.LBB62_847:                             ; =>This Inner Loop Header: Depth=1
	buffer_load_dword v134, v132, s[0:3], 0 offen
	ds_read_b32 v135, v131
	v_add_u32_e32 v133, 1, v133
	v_cmp_lt_u32_e32 vcc, 22, v133
	v_add_u32_e32 v131, 4, v131
	v_add_u32_e32 v132, 4, v132
	s_or_b64 s[10:11], vcc, s[10:11]
	s_waitcnt vmcnt(0) lgkmcnt(0)
	v_fmac_f32_e32 v130, v134, v135
	s_andn2_b64 exec, exec, s[10:11]
	s_cbranch_execnz .LBB62_847
; %bb.848:
	s_or_b64 exec, exec, s[10:11]
.LBB62_849:
	s_or_b64 exec, exec, s[8:9]
	v_mov_b32_e32 v131, 0
	ds_read_b32 v131, v131 offset:96
	s_waitcnt lgkmcnt(0)
	v_mul_f32_e32 v130, v130, v131
	buffer_store_dword v130, off, s[0:3], 0 offset:96
.LBB62_850:
	s_or_b64 exec, exec, s[6:7]
	buffer_load_dword v130, off, s[0:3], 0 offset:100
	v_cmp_gt_u32_e32 vcc, 25, v0
	s_waitcnt vmcnt(0)
	ds_write_b32 v128, v130
	s_waitcnt lgkmcnt(0)
	; wave barrier
	s_waitcnt lgkmcnt(0)
	s_and_saveexec_b64 s[6:7], vcc
	s_cbranch_execz .LBB62_860
; %bb.851:
	s_and_b64 vcc, exec, s[4:5]
	s_cbranch_vccnz .LBB62_853
; %bb.852:
	buffer_load_dword v130, v129, s[0:3], 0 offen
	ds_read_b32 v131, v128
	s_waitcnt vmcnt(0) lgkmcnt(0)
	v_mul_f32_e32 v130, v130, v131
	s_cbranch_execz .LBB62_854
	s_branch .LBB62_855
.LBB62_853:
                                        ; implicit-def: $vgpr130
.LBB62_854:
	ds_read_b32 v130, v128
.LBB62_855:
	v_cmp_ne_u32_e32 vcc, 24, v0
	s_and_saveexec_b64 s[8:9], vcc
	s_cbranch_execz .LBB62_859
; %bb.856:
	v_mov_b32_e32 v132, 0
	v_add_u32_e32 v131, 0x104, v1
	v_add3_u32 v132, v1, v132, 4
	s_mov_b64 s[10:11], 0
	v_mov_b32_e32 v133, v0
.LBB62_857:                             ; =>This Inner Loop Header: Depth=1
	buffer_load_dword v134, v132, s[0:3], 0 offen
	ds_read_b32 v135, v131
	v_add_u32_e32 v133, 1, v133
	v_cmp_lt_u32_e32 vcc, 23, v133
	v_add_u32_e32 v131, 4, v131
	v_add_u32_e32 v132, 4, v132
	s_or_b64 s[10:11], vcc, s[10:11]
	s_waitcnt vmcnt(0) lgkmcnt(0)
	v_fmac_f32_e32 v130, v134, v135
	s_andn2_b64 exec, exec, s[10:11]
	s_cbranch_execnz .LBB62_857
; %bb.858:
	s_or_b64 exec, exec, s[10:11]
.LBB62_859:
	s_or_b64 exec, exec, s[8:9]
	v_mov_b32_e32 v131, 0
	ds_read_b32 v131, v131 offset:100
	s_waitcnt lgkmcnt(0)
	v_mul_f32_e32 v130, v130, v131
	buffer_store_dword v130, off, s[0:3], 0 offset:100
.LBB62_860:
	s_or_b64 exec, exec, s[6:7]
	buffer_load_dword v130, off, s[0:3], 0 offset:104
	v_cmp_gt_u32_e32 vcc, 26, v0
	s_waitcnt vmcnt(0)
	ds_write_b32 v128, v130
	s_waitcnt lgkmcnt(0)
	; wave barrier
	s_waitcnt lgkmcnt(0)
	s_and_saveexec_b64 s[6:7], vcc
	s_cbranch_execz .LBB62_870
; %bb.861:
	s_and_b64 vcc, exec, s[4:5]
	s_cbranch_vccnz .LBB62_863
; %bb.862:
	buffer_load_dword v130, v129, s[0:3], 0 offen
	ds_read_b32 v131, v128
	s_waitcnt vmcnt(0) lgkmcnt(0)
	v_mul_f32_e32 v130, v130, v131
	s_cbranch_execz .LBB62_864
	s_branch .LBB62_865
.LBB62_863:
                                        ; implicit-def: $vgpr130
.LBB62_864:
	ds_read_b32 v130, v128
.LBB62_865:
	v_cmp_ne_u32_e32 vcc, 25, v0
	s_and_saveexec_b64 s[8:9], vcc
	s_cbranch_execz .LBB62_869
; %bb.866:
	v_mov_b32_e32 v132, 0
	v_add_u32_e32 v131, 0x104, v1
	v_add3_u32 v132, v1, v132, 4
	s_mov_b64 s[10:11], 0
	v_mov_b32_e32 v133, v0
.LBB62_867:                             ; =>This Inner Loop Header: Depth=1
	buffer_load_dword v134, v132, s[0:3], 0 offen
	ds_read_b32 v135, v131
	v_add_u32_e32 v133, 1, v133
	v_cmp_lt_u32_e32 vcc, 24, v133
	v_add_u32_e32 v131, 4, v131
	v_add_u32_e32 v132, 4, v132
	s_or_b64 s[10:11], vcc, s[10:11]
	s_waitcnt vmcnt(0) lgkmcnt(0)
	v_fmac_f32_e32 v130, v134, v135
	s_andn2_b64 exec, exec, s[10:11]
	s_cbranch_execnz .LBB62_867
; %bb.868:
	s_or_b64 exec, exec, s[10:11]
.LBB62_869:
	s_or_b64 exec, exec, s[8:9]
	v_mov_b32_e32 v131, 0
	ds_read_b32 v131, v131 offset:104
	s_waitcnt lgkmcnt(0)
	v_mul_f32_e32 v130, v130, v131
	buffer_store_dword v130, off, s[0:3], 0 offset:104
.LBB62_870:
	s_or_b64 exec, exec, s[6:7]
	buffer_load_dword v130, off, s[0:3], 0 offset:108
	v_cmp_gt_u32_e32 vcc, 27, v0
	s_waitcnt vmcnt(0)
	ds_write_b32 v128, v130
	s_waitcnt lgkmcnt(0)
	; wave barrier
	s_waitcnt lgkmcnt(0)
	s_and_saveexec_b64 s[6:7], vcc
	s_cbranch_execz .LBB62_880
; %bb.871:
	s_and_b64 vcc, exec, s[4:5]
	s_cbranch_vccnz .LBB62_873
; %bb.872:
	buffer_load_dword v130, v129, s[0:3], 0 offen
	ds_read_b32 v131, v128
	s_waitcnt vmcnt(0) lgkmcnt(0)
	v_mul_f32_e32 v130, v130, v131
	s_cbranch_execz .LBB62_874
	s_branch .LBB62_875
.LBB62_873:
                                        ; implicit-def: $vgpr130
.LBB62_874:
	ds_read_b32 v130, v128
.LBB62_875:
	v_cmp_ne_u32_e32 vcc, 26, v0
	s_and_saveexec_b64 s[8:9], vcc
	s_cbranch_execz .LBB62_879
; %bb.876:
	v_mov_b32_e32 v132, 0
	v_add_u32_e32 v131, 0x104, v1
	v_add3_u32 v132, v1, v132, 4
	s_mov_b64 s[10:11], 0
	v_mov_b32_e32 v133, v0
.LBB62_877:                             ; =>This Inner Loop Header: Depth=1
	buffer_load_dword v134, v132, s[0:3], 0 offen
	ds_read_b32 v135, v131
	v_add_u32_e32 v133, 1, v133
	v_cmp_lt_u32_e32 vcc, 25, v133
	v_add_u32_e32 v131, 4, v131
	v_add_u32_e32 v132, 4, v132
	s_or_b64 s[10:11], vcc, s[10:11]
	s_waitcnt vmcnt(0) lgkmcnt(0)
	v_fmac_f32_e32 v130, v134, v135
	s_andn2_b64 exec, exec, s[10:11]
	s_cbranch_execnz .LBB62_877
; %bb.878:
	s_or_b64 exec, exec, s[10:11]
.LBB62_879:
	s_or_b64 exec, exec, s[8:9]
	v_mov_b32_e32 v131, 0
	ds_read_b32 v131, v131 offset:108
	s_waitcnt lgkmcnt(0)
	v_mul_f32_e32 v130, v130, v131
	buffer_store_dword v130, off, s[0:3], 0 offset:108
.LBB62_880:
	s_or_b64 exec, exec, s[6:7]
	buffer_load_dword v130, off, s[0:3], 0 offset:112
	v_cmp_gt_u32_e32 vcc, 28, v0
	s_waitcnt vmcnt(0)
	ds_write_b32 v128, v130
	s_waitcnt lgkmcnt(0)
	; wave barrier
	s_waitcnt lgkmcnt(0)
	s_and_saveexec_b64 s[6:7], vcc
	s_cbranch_execz .LBB62_890
; %bb.881:
	s_and_b64 vcc, exec, s[4:5]
	s_cbranch_vccnz .LBB62_883
; %bb.882:
	buffer_load_dword v130, v129, s[0:3], 0 offen
	ds_read_b32 v131, v128
	s_waitcnt vmcnt(0) lgkmcnt(0)
	v_mul_f32_e32 v130, v130, v131
	s_cbranch_execz .LBB62_884
	s_branch .LBB62_885
.LBB62_883:
                                        ; implicit-def: $vgpr130
.LBB62_884:
	ds_read_b32 v130, v128
.LBB62_885:
	v_cmp_ne_u32_e32 vcc, 27, v0
	s_and_saveexec_b64 s[8:9], vcc
	s_cbranch_execz .LBB62_889
; %bb.886:
	v_mov_b32_e32 v132, 0
	v_add_u32_e32 v131, 0x104, v1
	v_add3_u32 v132, v1, v132, 4
	s_mov_b64 s[10:11], 0
	v_mov_b32_e32 v133, v0
.LBB62_887:                             ; =>This Inner Loop Header: Depth=1
	buffer_load_dword v134, v132, s[0:3], 0 offen
	ds_read_b32 v135, v131
	v_add_u32_e32 v133, 1, v133
	v_cmp_lt_u32_e32 vcc, 26, v133
	v_add_u32_e32 v131, 4, v131
	v_add_u32_e32 v132, 4, v132
	s_or_b64 s[10:11], vcc, s[10:11]
	s_waitcnt vmcnt(0) lgkmcnt(0)
	v_fmac_f32_e32 v130, v134, v135
	s_andn2_b64 exec, exec, s[10:11]
	s_cbranch_execnz .LBB62_887
; %bb.888:
	s_or_b64 exec, exec, s[10:11]
.LBB62_889:
	s_or_b64 exec, exec, s[8:9]
	v_mov_b32_e32 v131, 0
	ds_read_b32 v131, v131 offset:112
	s_waitcnt lgkmcnt(0)
	v_mul_f32_e32 v130, v130, v131
	buffer_store_dword v130, off, s[0:3], 0 offset:112
.LBB62_890:
	s_or_b64 exec, exec, s[6:7]
	buffer_load_dword v130, off, s[0:3], 0 offset:116
	v_cmp_gt_u32_e32 vcc, 29, v0
	s_waitcnt vmcnt(0)
	ds_write_b32 v128, v130
	s_waitcnt lgkmcnt(0)
	; wave barrier
	s_waitcnt lgkmcnt(0)
	s_and_saveexec_b64 s[6:7], vcc
	s_cbranch_execz .LBB62_900
; %bb.891:
	s_and_b64 vcc, exec, s[4:5]
	s_cbranch_vccnz .LBB62_893
; %bb.892:
	buffer_load_dword v130, v129, s[0:3], 0 offen
	ds_read_b32 v131, v128
	s_waitcnt vmcnt(0) lgkmcnt(0)
	v_mul_f32_e32 v130, v130, v131
	s_cbranch_execz .LBB62_894
	s_branch .LBB62_895
.LBB62_893:
                                        ; implicit-def: $vgpr130
.LBB62_894:
	ds_read_b32 v130, v128
.LBB62_895:
	v_cmp_ne_u32_e32 vcc, 28, v0
	s_and_saveexec_b64 s[8:9], vcc
	s_cbranch_execz .LBB62_899
; %bb.896:
	v_mov_b32_e32 v132, 0
	v_add_u32_e32 v131, 0x104, v1
	v_add3_u32 v132, v1, v132, 4
	s_mov_b64 s[10:11], 0
	v_mov_b32_e32 v133, v0
.LBB62_897:                             ; =>This Inner Loop Header: Depth=1
	buffer_load_dword v134, v132, s[0:3], 0 offen
	ds_read_b32 v135, v131
	v_add_u32_e32 v133, 1, v133
	v_cmp_lt_u32_e32 vcc, 27, v133
	v_add_u32_e32 v131, 4, v131
	v_add_u32_e32 v132, 4, v132
	s_or_b64 s[10:11], vcc, s[10:11]
	s_waitcnt vmcnt(0) lgkmcnt(0)
	v_fmac_f32_e32 v130, v134, v135
	s_andn2_b64 exec, exec, s[10:11]
	s_cbranch_execnz .LBB62_897
; %bb.898:
	s_or_b64 exec, exec, s[10:11]
.LBB62_899:
	s_or_b64 exec, exec, s[8:9]
	v_mov_b32_e32 v131, 0
	ds_read_b32 v131, v131 offset:116
	s_waitcnt lgkmcnt(0)
	v_mul_f32_e32 v130, v130, v131
	buffer_store_dword v130, off, s[0:3], 0 offset:116
.LBB62_900:
	s_or_b64 exec, exec, s[6:7]
	buffer_load_dword v130, off, s[0:3], 0 offset:120
	v_cmp_gt_u32_e32 vcc, 30, v0
	s_waitcnt vmcnt(0)
	ds_write_b32 v128, v130
	s_waitcnt lgkmcnt(0)
	; wave barrier
	s_waitcnt lgkmcnt(0)
	s_and_saveexec_b64 s[6:7], vcc
	s_cbranch_execz .LBB62_910
; %bb.901:
	s_and_b64 vcc, exec, s[4:5]
	s_cbranch_vccnz .LBB62_903
; %bb.902:
	buffer_load_dword v130, v129, s[0:3], 0 offen
	ds_read_b32 v131, v128
	s_waitcnt vmcnt(0) lgkmcnt(0)
	v_mul_f32_e32 v130, v130, v131
	s_cbranch_execz .LBB62_904
	s_branch .LBB62_905
.LBB62_903:
                                        ; implicit-def: $vgpr130
.LBB62_904:
	ds_read_b32 v130, v128
.LBB62_905:
	v_cmp_ne_u32_e32 vcc, 29, v0
	s_and_saveexec_b64 s[8:9], vcc
	s_cbranch_execz .LBB62_909
; %bb.906:
	v_mov_b32_e32 v132, 0
	v_add_u32_e32 v131, 0x104, v1
	v_add3_u32 v132, v1, v132, 4
	s_mov_b64 s[10:11], 0
	v_mov_b32_e32 v133, v0
.LBB62_907:                             ; =>This Inner Loop Header: Depth=1
	buffer_load_dword v134, v132, s[0:3], 0 offen
	ds_read_b32 v135, v131
	v_add_u32_e32 v133, 1, v133
	v_cmp_lt_u32_e32 vcc, 28, v133
	v_add_u32_e32 v131, 4, v131
	v_add_u32_e32 v132, 4, v132
	s_or_b64 s[10:11], vcc, s[10:11]
	s_waitcnt vmcnt(0) lgkmcnt(0)
	v_fmac_f32_e32 v130, v134, v135
	s_andn2_b64 exec, exec, s[10:11]
	s_cbranch_execnz .LBB62_907
; %bb.908:
	s_or_b64 exec, exec, s[10:11]
.LBB62_909:
	s_or_b64 exec, exec, s[8:9]
	v_mov_b32_e32 v131, 0
	ds_read_b32 v131, v131 offset:120
	s_waitcnt lgkmcnt(0)
	v_mul_f32_e32 v130, v130, v131
	buffer_store_dword v130, off, s[0:3], 0 offset:120
.LBB62_910:
	s_or_b64 exec, exec, s[6:7]
	buffer_load_dword v130, off, s[0:3], 0 offset:124
	v_cmp_gt_u32_e32 vcc, 31, v0
	s_waitcnt vmcnt(0)
	ds_write_b32 v128, v130
	s_waitcnt lgkmcnt(0)
	; wave barrier
	s_waitcnt lgkmcnt(0)
	s_and_saveexec_b64 s[6:7], vcc
	s_cbranch_execz .LBB62_920
; %bb.911:
	s_and_b64 vcc, exec, s[4:5]
	s_cbranch_vccnz .LBB62_913
; %bb.912:
	buffer_load_dword v130, v129, s[0:3], 0 offen
	ds_read_b32 v131, v128
	s_waitcnt vmcnt(0) lgkmcnt(0)
	v_mul_f32_e32 v130, v130, v131
	s_cbranch_execz .LBB62_914
	s_branch .LBB62_915
.LBB62_913:
                                        ; implicit-def: $vgpr130
.LBB62_914:
	ds_read_b32 v130, v128
.LBB62_915:
	v_cmp_ne_u32_e32 vcc, 30, v0
	s_and_saveexec_b64 s[8:9], vcc
	s_cbranch_execz .LBB62_919
; %bb.916:
	v_mov_b32_e32 v132, 0
	v_add_u32_e32 v131, 0x104, v1
	v_add3_u32 v132, v1, v132, 4
	s_mov_b64 s[10:11], 0
	v_mov_b32_e32 v133, v0
.LBB62_917:                             ; =>This Inner Loop Header: Depth=1
	buffer_load_dword v134, v132, s[0:3], 0 offen
	ds_read_b32 v135, v131
	v_add_u32_e32 v133, 1, v133
	v_cmp_lt_u32_e32 vcc, 29, v133
	v_add_u32_e32 v131, 4, v131
	v_add_u32_e32 v132, 4, v132
	s_or_b64 s[10:11], vcc, s[10:11]
	s_waitcnt vmcnt(0) lgkmcnt(0)
	v_fmac_f32_e32 v130, v134, v135
	s_andn2_b64 exec, exec, s[10:11]
	s_cbranch_execnz .LBB62_917
; %bb.918:
	s_or_b64 exec, exec, s[10:11]
.LBB62_919:
	s_or_b64 exec, exec, s[8:9]
	v_mov_b32_e32 v131, 0
	ds_read_b32 v131, v131 offset:124
	s_waitcnt lgkmcnt(0)
	v_mul_f32_e32 v130, v130, v131
	buffer_store_dword v130, off, s[0:3], 0 offset:124
.LBB62_920:
	s_or_b64 exec, exec, s[6:7]
	buffer_load_dword v130, off, s[0:3], 0 offset:128
	v_cmp_gt_u32_e32 vcc, 32, v0
	s_waitcnt vmcnt(0)
	ds_write_b32 v128, v130
	s_waitcnt lgkmcnt(0)
	; wave barrier
	s_waitcnt lgkmcnt(0)
	s_and_saveexec_b64 s[6:7], vcc
	s_cbranch_execz .LBB62_930
; %bb.921:
	s_and_b64 vcc, exec, s[4:5]
	s_cbranch_vccnz .LBB62_923
; %bb.922:
	buffer_load_dword v130, v129, s[0:3], 0 offen
	ds_read_b32 v131, v128
	s_waitcnt vmcnt(0) lgkmcnt(0)
	v_mul_f32_e32 v130, v130, v131
	s_cbranch_execz .LBB62_924
	s_branch .LBB62_925
.LBB62_923:
                                        ; implicit-def: $vgpr130
.LBB62_924:
	ds_read_b32 v130, v128
.LBB62_925:
	v_cmp_ne_u32_e32 vcc, 31, v0
	s_and_saveexec_b64 s[8:9], vcc
	s_cbranch_execz .LBB62_929
; %bb.926:
	v_mov_b32_e32 v132, 0
	v_add_u32_e32 v131, 0x104, v1
	v_add3_u32 v132, v1, v132, 4
	s_mov_b64 s[10:11], 0
	v_mov_b32_e32 v133, v0
.LBB62_927:                             ; =>This Inner Loop Header: Depth=1
	buffer_load_dword v134, v132, s[0:3], 0 offen
	ds_read_b32 v135, v131
	v_add_u32_e32 v133, 1, v133
	v_cmp_lt_u32_e32 vcc, 30, v133
	v_add_u32_e32 v131, 4, v131
	v_add_u32_e32 v132, 4, v132
	s_or_b64 s[10:11], vcc, s[10:11]
	s_waitcnt vmcnt(0) lgkmcnt(0)
	v_fmac_f32_e32 v130, v134, v135
	s_andn2_b64 exec, exec, s[10:11]
	s_cbranch_execnz .LBB62_927
; %bb.928:
	s_or_b64 exec, exec, s[10:11]
.LBB62_929:
	s_or_b64 exec, exec, s[8:9]
	v_mov_b32_e32 v131, 0
	ds_read_b32 v131, v131 offset:128
	s_waitcnt lgkmcnt(0)
	v_mul_f32_e32 v130, v130, v131
	buffer_store_dword v130, off, s[0:3], 0 offset:128
.LBB62_930:
	s_or_b64 exec, exec, s[6:7]
	buffer_load_dword v130, off, s[0:3], 0 offset:132
	v_cmp_gt_u32_e32 vcc, 33, v0
	s_waitcnt vmcnt(0)
	ds_write_b32 v128, v130
	s_waitcnt lgkmcnt(0)
	; wave barrier
	s_waitcnt lgkmcnt(0)
	s_and_saveexec_b64 s[6:7], vcc
	s_cbranch_execz .LBB62_940
; %bb.931:
	s_and_b64 vcc, exec, s[4:5]
	s_cbranch_vccnz .LBB62_933
; %bb.932:
	buffer_load_dword v130, v129, s[0:3], 0 offen
	ds_read_b32 v131, v128
	s_waitcnt vmcnt(0) lgkmcnt(0)
	v_mul_f32_e32 v130, v130, v131
	s_cbranch_execz .LBB62_934
	s_branch .LBB62_935
.LBB62_933:
                                        ; implicit-def: $vgpr130
.LBB62_934:
	ds_read_b32 v130, v128
.LBB62_935:
	v_cmp_ne_u32_e32 vcc, 32, v0
	s_and_saveexec_b64 s[8:9], vcc
	s_cbranch_execz .LBB62_939
; %bb.936:
	v_mov_b32_e32 v132, 0
	v_add_u32_e32 v131, 0x104, v1
	v_add3_u32 v132, v1, v132, 4
	s_mov_b64 s[10:11], 0
	v_mov_b32_e32 v133, v0
.LBB62_937:                             ; =>This Inner Loop Header: Depth=1
	buffer_load_dword v134, v132, s[0:3], 0 offen
	ds_read_b32 v135, v131
	v_add_u32_e32 v133, 1, v133
	v_cmp_lt_u32_e32 vcc, 31, v133
	v_add_u32_e32 v131, 4, v131
	v_add_u32_e32 v132, 4, v132
	s_or_b64 s[10:11], vcc, s[10:11]
	s_waitcnt vmcnt(0) lgkmcnt(0)
	v_fmac_f32_e32 v130, v134, v135
	s_andn2_b64 exec, exec, s[10:11]
	s_cbranch_execnz .LBB62_937
; %bb.938:
	s_or_b64 exec, exec, s[10:11]
.LBB62_939:
	s_or_b64 exec, exec, s[8:9]
	v_mov_b32_e32 v131, 0
	ds_read_b32 v131, v131 offset:132
	s_waitcnt lgkmcnt(0)
	v_mul_f32_e32 v130, v130, v131
	buffer_store_dword v130, off, s[0:3], 0 offset:132
.LBB62_940:
	s_or_b64 exec, exec, s[6:7]
	buffer_load_dword v130, off, s[0:3], 0 offset:136
	v_cmp_gt_u32_e32 vcc, 34, v0
	s_waitcnt vmcnt(0)
	ds_write_b32 v128, v130
	s_waitcnt lgkmcnt(0)
	; wave barrier
	s_waitcnt lgkmcnt(0)
	s_and_saveexec_b64 s[6:7], vcc
	s_cbranch_execz .LBB62_950
; %bb.941:
	s_and_b64 vcc, exec, s[4:5]
	s_cbranch_vccnz .LBB62_943
; %bb.942:
	buffer_load_dword v130, v129, s[0:3], 0 offen
	ds_read_b32 v131, v128
	s_waitcnt vmcnt(0) lgkmcnt(0)
	v_mul_f32_e32 v130, v130, v131
	s_cbranch_execz .LBB62_944
	s_branch .LBB62_945
.LBB62_943:
                                        ; implicit-def: $vgpr130
.LBB62_944:
	ds_read_b32 v130, v128
.LBB62_945:
	v_cmp_ne_u32_e32 vcc, 33, v0
	s_and_saveexec_b64 s[8:9], vcc
	s_cbranch_execz .LBB62_949
; %bb.946:
	v_mov_b32_e32 v132, 0
	v_add_u32_e32 v131, 0x104, v1
	v_add3_u32 v132, v1, v132, 4
	s_mov_b64 s[10:11], 0
	v_mov_b32_e32 v133, v0
.LBB62_947:                             ; =>This Inner Loop Header: Depth=1
	buffer_load_dword v134, v132, s[0:3], 0 offen
	ds_read_b32 v135, v131
	v_add_u32_e32 v133, 1, v133
	v_cmp_lt_u32_e32 vcc, 32, v133
	v_add_u32_e32 v131, 4, v131
	v_add_u32_e32 v132, 4, v132
	s_or_b64 s[10:11], vcc, s[10:11]
	s_waitcnt vmcnt(0) lgkmcnt(0)
	v_fmac_f32_e32 v130, v134, v135
	s_andn2_b64 exec, exec, s[10:11]
	s_cbranch_execnz .LBB62_947
; %bb.948:
	s_or_b64 exec, exec, s[10:11]
.LBB62_949:
	s_or_b64 exec, exec, s[8:9]
	v_mov_b32_e32 v131, 0
	ds_read_b32 v131, v131 offset:136
	s_waitcnt lgkmcnt(0)
	v_mul_f32_e32 v130, v130, v131
	buffer_store_dword v130, off, s[0:3], 0 offset:136
.LBB62_950:
	s_or_b64 exec, exec, s[6:7]
	buffer_load_dword v130, off, s[0:3], 0 offset:140
	v_cmp_gt_u32_e32 vcc, 35, v0
	s_waitcnt vmcnt(0)
	ds_write_b32 v128, v130
	s_waitcnt lgkmcnt(0)
	; wave barrier
	s_waitcnt lgkmcnt(0)
	s_and_saveexec_b64 s[6:7], vcc
	s_cbranch_execz .LBB62_960
; %bb.951:
	s_and_b64 vcc, exec, s[4:5]
	s_cbranch_vccnz .LBB62_953
; %bb.952:
	buffer_load_dword v130, v129, s[0:3], 0 offen
	ds_read_b32 v131, v128
	s_waitcnt vmcnt(0) lgkmcnt(0)
	v_mul_f32_e32 v130, v130, v131
	s_cbranch_execz .LBB62_954
	s_branch .LBB62_955
.LBB62_953:
                                        ; implicit-def: $vgpr130
.LBB62_954:
	ds_read_b32 v130, v128
.LBB62_955:
	v_cmp_ne_u32_e32 vcc, 34, v0
	s_and_saveexec_b64 s[8:9], vcc
	s_cbranch_execz .LBB62_959
; %bb.956:
	v_mov_b32_e32 v132, 0
	v_add_u32_e32 v131, 0x104, v1
	v_add3_u32 v132, v1, v132, 4
	s_mov_b64 s[10:11], 0
	v_mov_b32_e32 v133, v0
.LBB62_957:                             ; =>This Inner Loop Header: Depth=1
	buffer_load_dword v134, v132, s[0:3], 0 offen
	ds_read_b32 v135, v131
	v_add_u32_e32 v133, 1, v133
	v_cmp_lt_u32_e32 vcc, 33, v133
	v_add_u32_e32 v131, 4, v131
	v_add_u32_e32 v132, 4, v132
	s_or_b64 s[10:11], vcc, s[10:11]
	s_waitcnt vmcnt(0) lgkmcnt(0)
	v_fmac_f32_e32 v130, v134, v135
	s_andn2_b64 exec, exec, s[10:11]
	s_cbranch_execnz .LBB62_957
; %bb.958:
	s_or_b64 exec, exec, s[10:11]
.LBB62_959:
	s_or_b64 exec, exec, s[8:9]
	v_mov_b32_e32 v131, 0
	ds_read_b32 v131, v131 offset:140
	s_waitcnt lgkmcnt(0)
	v_mul_f32_e32 v130, v130, v131
	buffer_store_dword v130, off, s[0:3], 0 offset:140
.LBB62_960:
	s_or_b64 exec, exec, s[6:7]
	buffer_load_dword v130, off, s[0:3], 0 offset:144
	v_cmp_gt_u32_e32 vcc, 36, v0
	s_waitcnt vmcnt(0)
	ds_write_b32 v128, v130
	s_waitcnt lgkmcnt(0)
	; wave barrier
	s_waitcnt lgkmcnt(0)
	s_and_saveexec_b64 s[6:7], vcc
	s_cbranch_execz .LBB62_970
; %bb.961:
	s_and_b64 vcc, exec, s[4:5]
	s_cbranch_vccnz .LBB62_963
; %bb.962:
	buffer_load_dword v130, v129, s[0:3], 0 offen
	ds_read_b32 v131, v128
	s_waitcnt vmcnt(0) lgkmcnt(0)
	v_mul_f32_e32 v130, v130, v131
	s_cbranch_execz .LBB62_964
	s_branch .LBB62_965
.LBB62_963:
                                        ; implicit-def: $vgpr130
.LBB62_964:
	ds_read_b32 v130, v128
.LBB62_965:
	v_cmp_ne_u32_e32 vcc, 35, v0
	s_and_saveexec_b64 s[8:9], vcc
	s_cbranch_execz .LBB62_969
; %bb.966:
	v_mov_b32_e32 v132, 0
	v_add_u32_e32 v131, 0x104, v1
	v_add3_u32 v132, v1, v132, 4
	s_mov_b64 s[10:11], 0
	v_mov_b32_e32 v133, v0
.LBB62_967:                             ; =>This Inner Loop Header: Depth=1
	buffer_load_dword v134, v132, s[0:3], 0 offen
	ds_read_b32 v135, v131
	v_add_u32_e32 v133, 1, v133
	v_cmp_lt_u32_e32 vcc, 34, v133
	v_add_u32_e32 v131, 4, v131
	v_add_u32_e32 v132, 4, v132
	s_or_b64 s[10:11], vcc, s[10:11]
	s_waitcnt vmcnt(0) lgkmcnt(0)
	v_fmac_f32_e32 v130, v134, v135
	s_andn2_b64 exec, exec, s[10:11]
	s_cbranch_execnz .LBB62_967
; %bb.968:
	s_or_b64 exec, exec, s[10:11]
.LBB62_969:
	s_or_b64 exec, exec, s[8:9]
	v_mov_b32_e32 v131, 0
	ds_read_b32 v131, v131 offset:144
	s_waitcnt lgkmcnt(0)
	v_mul_f32_e32 v130, v130, v131
	buffer_store_dword v130, off, s[0:3], 0 offset:144
.LBB62_970:
	s_or_b64 exec, exec, s[6:7]
	buffer_load_dword v130, off, s[0:3], 0 offset:148
	v_cmp_gt_u32_e32 vcc, 37, v0
	s_waitcnt vmcnt(0)
	ds_write_b32 v128, v130
	s_waitcnt lgkmcnt(0)
	; wave barrier
	s_waitcnt lgkmcnt(0)
	s_and_saveexec_b64 s[6:7], vcc
	s_cbranch_execz .LBB62_980
; %bb.971:
	s_and_b64 vcc, exec, s[4:5]
	s_cbranch_vccnz .LBB62_973
; %bb.972:
	buffer_load_dword v130, v129, s[0:3], 0 offen
	ds_read_b32 v131, v128
	s_waitcnt vmcnt(0) lgkmcnt(0)
	v_mul_f32_e32 v130, v130, v131
	s_cbranch_execz .LBB62_974
	s_branch .LBB62_975
.LBB62_973:
                                        ; implicit-def: $vgpr130
.LBB62_974:
	ds_read_b32 v130, v128
.LBB62_975:
	v_cmp_ne_u32_e32 vcc, 36, v0
	s_and_saveexec_b64 s[8:9], vcc
	s_cbranch_execz .LBB62_979
; %bb.976:
	v_mov_b32_e32 v132, 0
	v_add_u32_e32 v131, 0x104, v1
	v_add3_u32 v132, v1, v132, 4
	s_mov_b64 s[10:11], 0
	v_mov_b32_e32 v133, v0
.LBB62_977:                             ; =>This Inner Loop Header: Depth=1
	buffer_load_dword v134, v132, s[0:3], 0 offen
	ds_read_b32 v135, v131
	v_add_u32_e32 v133, 1, v133
	v_cmp_lt_u32_e32 vcc, 35, v133
	v_add_u32_e32 v131, 4, v131
	v_add_u32_e32 v132, 4, v132
	s_or_b64 s[10:11], vcc, s[10:11]
	s_waitcnt vmcnt(0) lgkmcnt(0)
	v_fmac_f32_e32 v130, v134, v135
	s_andn2_b64 exec, exec, s[10:11]
	s_cbranch_execnz .LBB62_977
; %bb.978:
	s_or_b64 exec, exec, s[10:11]
.LBB62_979:
	s_or_b64 exec, exec, s[8:9]
	v_mov_b32_e32 v131, 0
	ds_read_b32 v131, v131 offset:148
	s_waitcnt lgkmcnt(0)
	v_mul_f32_e32 v130, v130, v131
	buffer_store_dword v130, off, s[0:3], 0 offset:148
.LBB62_980:
	s_or_b64 exec, exec, s[6:7]
	buffer_load_dword v130, off, s[0:3], 0 offset:152
	v_cmp_gt_u32_e32 vcc, 38, v0
	s_waitcnt vmcnt(0)
	ds_write_b32 v128, v130
	s_waitcnt lgkmcnt(0)
	; wave barrier
	s_waitcnt lgkmcnt(0)
	s_and_saveexec_b64 s[6:7], vcc
	s_cbranch_execz .LBB62_990
; %bb.981:
	s_and_b64 vcc, exec, s[4:5]
	s_cbranch_vccnz .LBB62_983
; %bb.982:
	buffer_load_dword v130, v129, s[0:3], 0 offen
	ds_read_b32 v131, v128
	s_waitcnt vmcnt(0) lgkmcnt(0)
	v_mul_f32_e32 v130, v130, v131
	s_cbranch_execz .LBB62_984
	s_branch .LBB62_985
.LBB62_983:
                                        ; implicit-def: $vgpr130
.LBB62_984:
	ds_read_b32 v130, v128
.LBB62_985:
	v_cmp_ne_u32_e32 vcc, 37, v0
	s_and_saveexec_b64 s[8:9], vcc
	s_cbranch_execz .LBB62_989
; %bb.986:
	v_mov_b32_e32 v132, 0
	v_add_u32_e32 v131, 0x104, v1
	v_add3_u32 v132, v1, v132, 4
	s_mov_b64 s[10:11], 0
	v_mov_b32_e32 v133, v0
.LBB62_987:                             ; =>This Inner Loop Header: Depth=1
	buffer_load_dword v134, v132, s[0:3], 0 offen
	ds_read_b32 v135, v131
	v_add_u32_e32 v133, 1, v133
	v_cmp_lt_u32_e32 vcc, 36, v133
	v_add_u32_e32 v131, 4, v131
	v_add_u32_e32 v132, 4, v132
	s_or_b64 s[10:11], vcc, s[10:11]
	s_waitcnt vmcnt(0) lgkmcnt(0)
	v_fmac_f32_e32 v130, v134, v135
	s_andn2_b64 exec, exec, s[10:11]
	s_cbranch_execnz .LBB62_987
; %bb.988:
	s_or_b64 exec, exec, s[10:11]
.LBB62_989:
	s_or_b64 exec, exec, s[8:9]
	v_mov_b32_e32 v131, 0
	ds_read_b32 v131, v131 offset:152
	s_waitcnt lgkmcnt(0)
	v_mul_f32_e32 v130, v130, v131
	buffer_store_dword v130, off, s[0:3], 0 offset:152
.LBB62_990:
	s_or_b64 exec, exec, s[6:7]
	buffer_load_dword v130, off, s[0:3], 0 offset:156
	v_cmp_gt_u32_e32 vcc, 39, v0
	s_waitcnt vmcnt(0)
	ds_write_b32 v128, v130
	s_waitcnt lgkmcnt(0)
	; wave barrier
	s_waitcnt lgkmcnt(0)
	s_and_saveexec_b64 s[6:7], vcc
	s_cbranch_execz .LBB62_1000
; %bb.991:
	s_and_b64 vcc, exec, s[4:5]
	s_cbranch_vccnz .LBB62_993
; %bb.992:
	buffer_load_dword v130, v129, s[0:3], 0 offen
	ds_read_b32 v131, v128
	s_waitcnt vmcnt(0) lgkmcnt(0)
	v_mul_f32_e32 v130, v130, v131
	s_cbranch_execz .LBB62_994
	s_branch .LBB62_995
.LBB62_993:
                                        ; implicit-def: $vgpr130
.LBB62_994:
	ds_read_b32 v130, v128
.LBB62_995:
	v_cmp_ne_u32_e32 vcc, 38, v0
	s_and_saveexec_b64 s[8:9], vcc
	s_cbranch_execz .LBB62_999
; %bb.996:
	v_mov_b32_e32 v132, 0
	v_add_u32_e32 v131, 0x104, v1
	v_add3_u32 v132, v1, v132, 4
	s_mov_b64 s[10:11], 0
	v_mov_b32_e32 v133, v0
.LBB62_997:                             ; =>This Inner Loop Header: Depth=1
	buffer_load_dword v134, v132, s[0:3], 0 offen
	ds_read_b32 v135, v131
	v_add_u32_e32 v133, 1, v133
	v_cmp_lt_u32_e32 vcc, 37, v133
	v_add_u32_e32 v131, 4, v131
	v_add_u32_e32 v132, 4, v132
	s_or_b64 s[10:11], vcc, s[10:11]
	s_waitcnt vmcnt(0) lgkmcnt(0)
	v_fmac_f32_e32 v130, v134, v135
	s_andn2_b64 exec, exec, s[10:11]
	s_cbranch_execnz .LBB62_997
; %bb.998:
	s_or_b64 exec, exec, s[10:11]
.LBB62_999:
	s_or_b64 exec, exec, s[8:9]
	v_mov_b32_e32 v131, 0
	ds_read_b32 v131, v131 offset:156
	s_waitcnt lgkmcnt(0)
	v_mul_f32_e32 v130, v130, v131
	buffer_store_dword v130, off, s[0:3], 0 offset:156
.LBB62_1000:
	s_or_b64 exec, exec, s[6:7]
	buffer_load_dword v130, off, s[0:3], 0 offset:160
	v_cmp_gt_u32_e32 vcc, 40, v0
	s_waitcnt vmcnt(0)
	ds_write_b32 v128, v130
	s_waitcnt lgkmcnt(0)
	; wave barrier
	s_waitcnt lgkmcnt(0)
	s_and_saveexec_b64 s[6:7], vcc
	s_cbranch_execz .LBB62_1010
; %bb.1001:
	s_and_b64 vcc, exec, s[4:5]
	s_cbranch_vccnz .LBB62_1003
; %bb.1002:
	buffer_load_dword v130, v129, s[0:3], 0 offen
	ds_read_b32 v131, v128
	s_waitcnt vmcnt(0) lgkmcnt(0)
	v_mul_f32_e32 v130, v130, v131
	s_cbranch_execz .LBB62_1004
	s_branch .LBB62_1005
.LBB62_1003:
                                        ; implicit-def: $vgpr130
.LBB62_1004:
	ds_read_b32 v130, v128
.LBB62_1005:
	v_cmp_ne_u32_e32 vcc, 39, v0
	s_and_saveexec_b64 s[8:9], vcc
	s_cbranch_execz .LBB62_1009
; %bb.1006:
	v_mov_b32_e32 v132, 0
	v_add_u32_e32 v131, 0x104, v1
	v_add3_u32 v132, v1, v132, 4
	s_mov_b64 s[10:11], 0
	v_mov_b32_e32 v133, v0
.LBB62_1007:                            ; =>This Inner Loop Header: Depth=1
	buffer_load_dword v134, v132, s[0:3], 0 offen
	ds_read_b32 v135, v131
	v_add_u32_e32 v133, 1, v133
	v_cmp_lt_u32_e32 vcc, 38, v133
	v_add_u32_e32 v131, 4, v131
	v_add_u32_e32 v132, 4, v132
	s_or_b64 s[10:11], vcc, s[10:11]
	s_waitcnt vmcnt(0) lgkmcnt(0)
	v_fmac_f32_e32 v130, v134, v135
	s_andn2_b64 exec, exec, s[10:11]
	s_cbranch_execnz .LBB62_1007
; %bb.1008:
	s_or_b64 exec, exec, s[10:11]
.LBB62_1009:
	s_or_b64 exec, exec, s[8:9]
	v_mov_b32_e32 v131, 0
	ds_read_b32 v131, v131 offset:160
	s_waitcnt lgkmcnt(0)
	v_mul_f32_e32 v130, v130, v131
	buffer_store_dword v130, off, s[0:3], 0 offset:160
.LBB62_1010:
	s_or_b64 exec, exec, s[6:7]
	buffer_load_dword v130, off, s[0:3], 0 offset:164
	v_cmp_gt_u32_e32 vcc, 41, v0
	s_waitcnt vmcnt(0)
	ds_write_b32 v128, v130
	s_waitcnt lgkmcnt(0)
	; wave barrier
	s_waitcnt lgkmcnt(0)
	s_and_saveexec_b64 s[6:7], vcc
	s_cbranch_execz .LBB62_1020
; %bb.1011:
	s_and_b64 vcc, exec, s[4:5]
	s_cbranch_vccnz .LBB62_1013
; %bb.1012:
	buffer_load_dword v130, v129, s[0:3], 0 offen
	ds_read_b32 v131, v128
	s_waitcnt vmcnt(0) lgkmcnt(0)
	v_mul_f32_e32 v130, v130, v131
	s_cbranch_execz .LBB62_1014
	s_branch .LBB62_1015
.LBB62_1013:
                                        ; implicit-def: $vgpr130
.LBB62_1014:
	ds_read_b32 v130, v128
.LBB62_1015:
	v_cmp_ne_u32_e32 vcc, 40, v0
	s_and_saveexec_b64 s[8:9], vcc
	s_cbranch_execz .LBB62_1019
; %bb.1016:
	v_mov_b32_e32 v132, 0
	v_add_u32_e32 v131, 0x104, v1
	v_add3_u32 v132, v1, v132, 4
	s_mov_b64 s[10:11], 0
	v_mov_b32_e32 v133, v0
.LBB62_1017:                            ; =>This Inner Loop Header: Depth=1
	buffer_load_dword v134, v132, s[0:3], 0 offen
	ds_read_b32 v135, v131
	v_add_u32_e32 v133, 1, v133
	v_cmp_lt_u32_e32 vcc, 39, v133
	v_add_u32_e32 v131, 4, v131
	v_add_u32_e32 v132, 4, v132
	s_or_b64 s[10:11], vcc, s[10:11]
	s_waitcnt vmcnt(0) lgkmcnt(0)
	v_fmac_f32_e32 v130, v134, v135
	s_andn2_b64 exec, exec, s[10:11]
	s_cbranch_execnz .LBB62_1017
; %bb.1018:
	s_or_b64 exec, exec, s[10:11]
.LBB62_1019:
	s_or_b64 exec, exec, s[8:9]
	v_mov_b32_e32 v131, 0
	ds_read_b32 v131, v131 offset:164
	s_waitcnt lgkmcnt(0)
	v_mul_f32_e32 v130, v130, v131
	buffer_store_dword v130, off, s[0:3], 0 offset:164
.LBB62_1020:
	;; [unrolled: 56-line block ×21, first 2 shown]
	s_or_b64 exec, exec, s[6:7]
	buffer_load_dword v130, off, s[0:3], 0 offset:244
	v_cmp_gt_u32_e64 s[6:7], 61, v0
	s_waitcnt vmcnt(0)
	ds_write_b32 v128, v130
	s_waitcnt lgkmcnt(0)
	; wave barrier
	s_waitcnt lgkmcnt(0)
	s_and_saveexec_b64 s[8:9], s[6:7]
	s_cbranch_execz .LBB62_1220
; %bb.1211:
	s_and_b64 vcc, exec, s[4:5]
	s_cbranch_vccnz .LBB62_1213
; %bb.1212:
	buffer_load_dword v130, v129, s[0:3], 0 offen
	ds_read_b32 v131, v128
	s_waitcnt vmcnt(0) lgkmcnt(0)
	v_mul_f32_e32 v130, v130, v131
	s_cbranch_execz .LBB62_1214
	s_branch .LBB62_1215
.LBB62_1213:
                                        ; implicit-def: $vgpr130
.LBB62_1214:
	ds_read_b32 v130, v128
.LBB62_1215:
	v_cmp_ne_u32_e32 vcc, 60, v0
	s_and_saveexec_b64 s[10:11], vcc
	s_cbranch_execz .LBB62_1219
; %bb.1216:
	v_mov_b32_e32 v132, 0
	v_add_u32_e32 v131, 0x104, v1
	v_add3_u32 v132, v1, v132, 4
	s_mov_b64 s[12:13], 0
	v_mov_b32_e32 v133, v0
.LBB62_1217:                            ; =>This Inner Loop Header: Depth=1
	buffer_load_dword v134, v132, s[0:3], 0 offen
	ds_read_b32 v135, v131
	v_add_u32_e32 v133, 1, v133
	v_cmp_lt_u32_e32 vcc, 59, v133
	v_add_u32_e32 v131, 4, v131
	v_add_u32_e32 v132, 4, v132
	s_or_b64 s[12:13], vcc, s[12:13]
	s_waitcnt vmcnt(0) lgkmcnt(0)
	v_fmac_f32_e32 v130, v134, v135
	s_andn2_b64 exec, exec, s[12:13]
	s_cbranch_execnz .LBB62_1217
; %bb.1218:
	s_or_b64 exec, exec, s[12:13]
.LBB62_1219:
	s_or_b64 exec, exec, s[10:11]
	v_mov_b32_e32 v131, 0
	ds_read_b32 v131, v131 offset:244
	s_waitcnt lgkmcnt(0)
	v_mul_f32_e32 v130, v130, v131
	buffer_store_dword v130, off, s[0:3], 0 offset:244
.LBB62_1220:
	s_or_b64 exec, exec, s[8:9]
	buffer_load_dword v130, off, s[0:3], 0 offset:248
	v_cmp_ne_u32_e32 vcc, 62, v0
	s_waitcnt vmcnt(0)
	ds_write_b32 v128, v130
	s_waitcnt lgkmcnt(0)
	; wave barrier
	s_waitcnt lgkmcnt(0)
	s_and_saveexec_b64 s[8:9], vcc
	s_cbranch_execz .LBB62_1230
; %bb.1221:
	s_and_b64 vcc, exec, s[4:5]
	s_cbranch_vccnz .LBB62_1223
; %bb.1222:
	buffer_load_dword v129, v129, s[0:3], 0 offen
	ds_read_b32 v130, v128
	s_waitcnt vmcnt(0) lgkmcnt(0)
	v_mul_f32_e32 v129, v129, v130
	s_cbranch_execz .LBB62_1224
	s_branch .LBB62_1225
.LBB62_1223:
                                        ; implicit-def: $vgpr129
.LBB62_1224:
	ds_read_b32 v129, v128
.LBB62_1225:
	s_and_saveexec_b64 s[4:5], s[6:7]
	s_cbranch_execz .LBB62_1229
; %bb.1226:
	v_mov_b32_e32 v130, 0
	v_add_u32_e32 v128, 0x104, v1
	v_add3_u32 v1, v1, v130, 4
	s_mov_b64 s[6:7], 0
.LBB62_1227:                            ; =>This Inner Loop Header: Depth=1
	buffer_load_dword v130, v1, s[0:3], 0 offen
	ds_read_b32 v131, v128
	v_add_u32_e32 v0, 1, v0
	v_cmp_lt_u32_e32 vcc, 60, v0
	v_add_u32_e32 v128, 4, v128
	v_add_u32_e32 v1, 4, v1
	s_or_b64 s[6:7], vcc, s[6:7]
	s_waitcnt vmcnt(0) lgkmcnt(0)
	v_fmac_f32_e32 v129, v130, v131
	s_andn2_b64 exec, exec, s[6:7]
	s_cbranch_execnz .LBB62_1227
; %bb.1228:
	s_or_b64 exec, exec, s[6:7]
.LBB62_1229:
	s_or_b64 exec, exec, s[4:5]
	v_mov_b32_e32 v0, 0
	ds_read_b32 v0, v0 offset:248
	s_waitcnt lgkmcnt(0)
	v_mul_f32_e32 v0, v129, v0
	buffer_store_dword v0, off, s[0:3], 0 offset:248
.LBB62_1230:
	s_or_b64 exec, exec, s[8:9]
.LBB62_1231:
	buffer_load_dword v0, off, s[0:3], 0
	buffer_load_dword v1, off, s[0:3], 0 offset:4
	buffer_load_dword v128, off, s[0:3], 0 offset:8
	;; [unrolled: 1-line block ×31, first 2 shown]
	s_waitcnt vmcnt(31)
	global_store_dword v[120:121], v0, off
	buffer_load_dword v0, off, s[0:3], 0 offset:128
	s_nop 0
	buffer_load_dword v120, off, s[0:3], 0 offset:132
	buffer_load_dword v121, off, s[0:3], 0 offset:136
	;; [unrolled: 1-line block ×7, first 2 shown]
	s_waitcnt vmcnt(39)
	global_store_dword v[116:117], v1, off
	s_waitcnt vmcnt(39)
	global_store_dword v[2:3], v128, off
	;; [unrolled: 2-line block ×3, first 2 shown]
	buffer_load_dword v1, off, s[0:3], 0 offset:160
	buffer_load_dword v2, off, s[0:3], 0 offset:164
	;; [unrolled: 1-line block ×3, first 2 shown]
	s_nop 0
	buffer_load_dword v6, off, s[0:3], 0 offset:172
	buffer_load_dword v7, off, s[0:3], 0 offset:176
	;; [unrolled: 1-line block ×5, first 2 shown]
	s_waitcnt vmcnt(47)
	global_store_dword v[4:5], v130, off
	s_waitcnt vmcnt(47)
	global_store_dword v[10:11], v131, off
	buffer_load_dword v4, off, s[0:3], 0 offset:192
	buffer_load_dword v5, off, s[0:3], 0 offset:196
	s_nop 0
	buffer_load_dword v10, off, s[0:3], 0 offset:200
	buffer_load_dword v11, off, s[0:3], 0 offset:204
	;; [unrolled: 1-line block ×6, first 2 shown]
	s_waitcnt vmcnt(55)
	global_store_dword v[8:9], v132, off
	s_waitcnt vmcnt(55)
	global_store_dword v[12:13], v133, off
	;; [unrolled: 2-line block ×3, first 2 shown]
	buffer_load_dword v8, off, s[0:3], 0 offset:224
	buffer_load_dword v9, off, s[0:3], 0 offset:228
	buffer_load_dword v12, off, s[0:3], 0 offset:232
	buffer_load_dword v13, off, s[0:3], 0 offset:236
	s_nop 0
	buffer_load_dword v16, off, s[0:3], 0 offset:240
	buffer_load_dword v17, off, s[0:3], 0 offset:244
	;; [unrolled: 1-line block ×3, first 2 shown]
	s_waitcnt vmcnt(62)
	global_store_dword v[14:15], v135, off
	s_waitcnt vmcnt(62)
	global_store_dword v[18:19], v136, off
	;; [unrolled: 2-line block ×54, first 2 shown]
.LBB62_1232:
	s_endpgm
	.section	.rodata,"a",@progbits
	.p2align	6, 0x0
	.amdhsa_kernel _ZN9rocsolver6v33100L18trti2_kernel_smallILi63EfPfEEv13rocblas_fill_17rocblas_diagonal_T1_iil
		.amdhsa_group_segment_fixed_size 508
		.amdhsa_private_segment_fixed_size 256
		.amdhsa_kernarg_size 32
		.amdhsa_user_sgpr_count 8
		.amdhsa_user_sgpr_private_segment_buffer 1
		.amdhsa_user_sgpr_dispatch_ptr 0
		.amdhsa_user_sgpr_queue_ptr 0
		.amdhsa_user_sgpr_kernarg_segment_ptr 1
		.amdhsa_user_sgpr_dispatch_id 0
		.amdhsa_user_sgpr_flat_scratch_init 1
		.amdhsa_user_sgpr_kernarg_preload_length 0
		.amdhsa_user_sgpr_kernarg_preload_offset 0
		.amdhsa_user_sgpr_private_segment_size 0
		.amdhsa_uses_dynamic_stack 0
		.amdhsa_system_sgpr_private_segment_wavefront_offset 1
		.amdhsa_system_sgpr_workgroup_id_x 1
		.amdhsa_system_sgpr_workgroup_id_y 0
		.amdhsa_system_sgpr_workgroup_id_z 0
		.amdhsa_system_sgpr_workgroup_info 0
		.amdhsa_system_vgpr_workitem_id 0
		.amdhsa_next_free_vgpr 164
		.amdhsa_next_free_sgpr 20
		.amdhsa_accum_offset 164
		.amdhsa_reserve_vcc 1
		.amdhsa_reserve_flat_scratch 0
		.amdhsa_float_round_mode_32 0
		.amdhsa_float_round_mode_16_64 0
		.amdhsa_float_denorm_mode_32 3
		.amdhsa_float_denorm_mode_16_64 3
		.amdhsa_dx10_clamp 1
		.amdhsa_ieee_mode 1
		.amdhsa_fp16_overflow 0
		.amdhsa_tg_split 0
		.amdhsa_exception_fp_ieee_invalid_op 0
		.amdhsa_exception_fp_denorm_src 0
		.amdhsa_exception_fp_ieee_div_zero 0
		.amdhsa_exception_fp_ieee_overflow 0
		.amdhsa_exception_fp_ieee_underflow 0
		.amdhsa_exception_fp_ieee_inexact 0
		.amdhsa_exception_int_div_zero 0
	.end_amdhsa_kernel
	.section	.text._ZN9rocsolver6v33100L18trti2_kernel_smallILi63EfPfEEv13rocblas_fill_17rocblas_diagonal_T1_iil,"axG",@progbits,_ZN9rocsolver6v33100L18trti2_kernel_smallILi63EfPfEEv13rocblas_fill_17rocblas_diagonal_T1_iil,comdat
.Lfunc_end62:
	.size	_ZN9rocsolver6v33100L18trti2_kernel_smallILi63EfPfEEv13rocblas_fill_17rocblas_diagonal_T1_iil, .Lfunc_end62-_ZN9rocsolver6v33100L18trti2_kernel_smallILi63EfPfEEv13rocblas_fill_17rocblas_diagonal_T1_iil
                                        ; -- End function
	.section	.AMDGPU.csdata,"",@progbits
; Kernel info:
; codeLenInByte = 30972
; NumSgprs: 24
; NumVgprs: 164
; NumAgprs: 0
; TotalNumVgprs: 164
; ScratchSize: 256
; MemoryBound: 0
; FloatMode: 240
; IeeeMode: 1
; LDSByteSize: 508 bytes/workgroup (compile time only)
; SGPRBlocks: 2
; VGPRBlocks: 20
; NumSGPRsForWavesPerEU: 24
; NumVGPRsForWavesPerEU: 164
; AccumOffset: 164
; Occupancy: 3
; WaveLimiterHint : 0
; COMPUTE_PGM_RSRC2:SCRATCH_EN: 1
; COMPUTE_PGM_RSRC2:USER_SGPR: 8
; COMPUTE_PGM_RSRC2:TRAP_HANDLER: 0
; COMPUTE_PGM_RSRC2:TGID_X_EN: 1
; COMPUTE_PGM_RSRC2:TGID_Y_EN: 0
; COMPUTE_PGM_RSRC2:TGID_Z_EN: 0
; COMPUTE_PGM_RSRC2:TIDIG_COMP_CNT: 0
; COMPUTE_PGM_RSRC3_GFX90A:ACCUM_OFFSET: 40
; COMPUTE_PGM_RSRC3_GFX90A:TG_SPLIT: 0
	.section	.text._ZN9rocsolver6v33100L18trti2_kernel_smallILi64EfPfEEv13rocblas_fill_17rocblas_diagonal_T1_iil,"axG",@progbits,_ZN9rocsolver6v33100L18trti2_kernel_smallILi64EfPfEEv13rocblas_fill_17rocblas_diagonal_T1_iil,comdat
	.globl	_ZN9rocsolver6v33100L18trti2_kernel_smallILi64EfPfEEv13rocblas_fill_17rocblas_diagonal_T1_iil ; -- Begin function _ZN9rocsolver6v33100L18trti2_kernel_smallILi64EfPfEEv13rocblas_fill_17rocblas_diagonal_T1_iil
	.p2align	8
	.type	_ZN9rocsolver6v33100L18trti2_kernel_smallILi64EfPfEEv13rocblas_fill_17rocblas_diagonal_T1_iil,@function
_ZN9rocsolver6v33100L18trti2_kernel_smallILi64EfPfEEv13rocblas_fill_17rocblas_diagonal_T1_iil: ; @_ZN9rocsolver6v33100L18trti2_kernel_smallILi64EfPfEEv13rocblas_fill_17rocblas_diagonal_T1_iil
; %bb.0:
	s_add_u32 s0, s0, s9
	s_addc_u32 s1, s1, 0
	v_cmp_gt_u32_e32 vcc, 64, v0
	s_and_saveexec_b64 s[6:7], vcc
	s_cbranch_execz .LBB63_1252
; %bb.1:
	s_load_dwordx8 s[12:19], s[4:5], 0x0
	s_ashr_i32 s6, s8, 31
	s_waitcnt lgkmcnt(0)
	s_mul_i32 s7, s8, s19
	s_mul_hi_u32 s9, s8, s18
	s_add_i32 s7, s9, s7
	s_mul_i32 s6, s6, s18
	s_add_i32 s7, s7, s6
	s_mul_i32 s6, s8, s18
	s_ashr_i32 s5, s16, 31
	s_lshl_b64 s[6:7], s[6:7], 2
	s_mov_b32 s4, s16
	s_add_u32 s6, s14, s6
	s_addc_u32 s7, s15, s7
	s_lshl_b64 s[4:5], s[4:5], 2
	s_add_u32 s4, s6, s4
	s_addc_u32 s5, s7, s5
	s_add_i32 s6, s17, s17
	v_add_u32_e32 v4, s6, v0
	v_ashrrev_i32_e32 v5, 31, v4
	v_lshlrev_b64 v[2:3], 2, v[4:5]
	v_add_u32_e32 v4, s17, v4
	v_mov_b32_e32 v1, s5
	v_add_co_u32_e32 v2, vcc, s4, v2
	v_ashrrev_i32_e32 v5, 31, v4
	v_addc_co_u32_e32 v3, vcc, v1, v3, vcc
	v_lshlrev_b64 v[6:7], 2, v[4:5]
	v_add_u32_e32 v8, s17, v4
	v_add_co_u32_e32 v6, vcc, s4, v6
	v_ashrrev_i32_e32 v9, 31, v8
	v_addc_co_u32_e32 v7, vcc, v1, v7, vcc
	v_lshlrev_b64 v[4:5], 2, v[8:9]
	v_add_u32_e32 v10, s17, v8
	;; [unrolled: 5-line block ×56, first 2 shown]
	v_add_co_u32_e32 v114, vcc, s4, v114
	v_ashrrev_i32_e32 v119, 31, v118
	v_addc_co_u32_e32 v115, vcc, v1, v115, vcc
	v_lshlrev_b64 v[116:117], 2, v[118:119]
	v_add_co_u32_e32 v116, vcc, s4, v116
	v_add_u32_e32 v120, s17, v118
	v_addc_co_u32_e32 v117, vcc, v1, v117, vcc
	v_ashrrev_i32_e32 v121, 31, v120
	v_lshlrev_b32_e32 v1, 2, v0
	v_lshlrev_b64 v[118:119], 2, v[120:121]
	v_mov_b32_e32 v121, s5
	v_add_co_u32_e32 v124, vcc, s4, v1
	s_ashr_i32 s7, s17, 31
	s_mov_b32 s6, s17
	v_addc_co_u32_e32 v125, vcc, 0, v121, vcc
	s_lshl_b64 s[6:7], s[6:7], 2
	v_mov_b32_e32 v121, s7
	v_add_co_u32_e32 v128, vcc, s6, v124
	v_addc_co_u32_e32 v129, vcc, v125, v121, vcc
	v_mov_b32_e32 v122, s5
	v_add_co_u32_e32 v118, vcc, s4, v118
	v_addc_co_u32_e32 v119, vcc, v122, v119, vcc
	v_add_u32_e32 v122, s17, v120
	v_ashrrev_i32_e32 v123, 31, v122
	v_lshlrev_b64 v[120:121], 2, v[122:123]
	v_mov_b32_e32 v126, s5
	v_add_co_u32_e32 v120, vcc, s4, v120
	v_addc_co_u32_e32 v121, vcc, v126, v121, vcc
	v_add_u32_e32 v126, s17, v122
	v_ashrrev_i32_e32 v127, 31, v126
	v_lshlrev_b64 v[122:123], 2, v[126:127]
	v_add_u32_e32 v126, s17, v126
	global_load_dword v130, v1, s[4:5]
	global_load_dword v131, v[128:129], off
	global_load_dword v132, v[4:5], off
	;; [unrolled: 1-line block ×24, first 2 shown]
	v_mov_b32_e32 v157, s5
	v_add_co_u32_e32 v122, vcc, s4, v122
	v_ashrrev_i32_e32 v127, 31, v126
	v_addc_co_u32_e32 v123, vcc, v157, v123, vcc
	v_lshlrev_b64 v[126:127], 2, v[126:127]
	v_add_co_u32_e32 v126, vcc, s4, v126
	global_load_dword v155, v[48:49], off
	global_load_dword v156, v[52:53], off
	v_addc_co_u32_e32 v127, vcc, v157, v127, vcc
	global_load_dword v157, v[62:63], off
	global_load_dword v158, v[58:59], off
	global_load_dword v159, v[54:55], off
	global_load_dword v160, v[50:51], off
	global_load_dword v161, v[56:57], off
	global_load_dword v162, v[60:61], off
	global_load_dword v163, v[126:127], off
	s_waitcnt vmcnt(33)
	buffer_store_dword v130, off, s[0:3], 0
	s_waitcnt vmcnt(33)
	buffer_store_dword v131, off, s[0:3], 0 offset:4
	s_waitcnt vmcnt(28)
	buffer_store_dword v137, off, s[0:3], 0 offset:12
	;; [unrolled: 2-line block ×3, first 2 shown]
	buffer_store_dword v132, off, s[0:3], 0 offset:16
	buffer_store_dword v133, off, s[0:3], 0 offset:20
	;; [unrolled: 1-line block ×5, first 2 shown]
	s_waitcnt vmcnt(33)
	buffer_store_dword v139, off, s[0:3], 0 offset:36
	s_waitcnt vmcnt(28)
	buffer_store_dword v145, off, s[0:3], 0 offset:44
	;; [unrolled: 2-line block ×3, first 2 shown]
	buffer_store_dword v140, off, s[0:3], 0 offset:48
	buffer_store_dword v141, off, s[0:3], 0 offset:52
	buffer_store_dword v142, off, s[0:3], 0 offset:56
	buffer_store_dword v143, off, s[0:3], 0 offset:60
	buffer_store_dword v144, off, s[0:3], 0 offset:64
	s_waitcnt vmcnt(33)
	buffer_store_dword v147, off, s[0:3], 0 offset:68
	s_waitcnt vmcnt(33)
	buffer_store_dword v148, off, s[0:3], 0 offset:72
	;; [unrolled: 2-line block ×5, first 2 shown]
	buffer_store_dword v151, off, s[0:3], 0 offset:92
	buffer_store_dword v152, off, s[0:3], 0 offset:88
	s_waitcnt vmcnt(32)
	buffer_store_dword v155, off, s[0:3], 0 offset:100
	buffer_store_dword v150, off, s[0:3], 0 offset:96
	s_waitcnt vmcnt(33)
	buffer_store_dword v156, off, s[0:3], 0 offset:108
	global_load_dword v130, v[64:65], off
	global_load_dword v131, v[78:79], off
	;; [unrolled: 1-line block ×24, first 2 shown]
	s_waitcnt vmcnt(54)
	buffer_store_dword v160, off, s[0:3], 0 offset:104
	s_waitcnt vmcnt(54)
	buffer_store_dword v161, off, s[0:3], 0 offset:116
	buffer_store_dword v159, off, s[0:3], 0 offset:112
	global_load_dword v154, v[112:113], off
	global_load_dword v155, v[122:123], off
	;; [unrolled: 1-line block ×3, first 2 shown]
	s_nop 0
	global_load_dword v159, v[116:117], off
	global_load_dword v160, v[114:115], off
	;; [unrolled: 1-line block ×3, first 2 shown]
	s_cmpk_lg_i32 s13, 0x84
	s_waitcnt vmcnt(61)
	buffer_store_dword v162, off, s[0:3], 0 offset:124
	buffer_store_dword v158, off, s[0:3], 0 offset:120
	s_waitcnt vmcnt(34)
	buffer_store_dword v130, off, s[0:3], 0 offset:132
	buffer_store_dword v157, off, s[0:3], 0 offset:128
	s_waitcnt vmcnt(30)
	buffer_store_dword v136, off, s[0:3], 0 offset:140
	s_waitcnt vmcnt(30)
	buffer_store_dword v137, off, s[0:3], 0 offset:136
	buffer_store_dword v134, off, s[0:3], 0 offset:148
	buffer_store_dword v135, off, s[0:3], 0 offset:144
	buffer_store_dword v132, off, s[0:3], 0 offset:156
	buffer_store_dword v133, off, s[0:3], 0 offset:152
	s_waitcnt vmcnt(34)
	buffer_store_dword v138, off, s[0:3], 0 offset:164
	buffer_store_dword v131, off, s[0:3], 0 offset:160
	s_waitcnt vmcnt(30)
	buffer_store_dword v144, off, s[0:3], 0 offset:172
	s_waitcnt vmcnt(30)
	buffer_store_dword v145, off, s[0:3], 0 offset:168
	buffer_store_dword v142, off, s[0:3], 0 offset:180
	buffer_store_dword v143, off, s[0:3], 0 offset:176
	;; [unrolled: 11-line block ×3, first 2 shown]
	buffer_store_dword v148, off, s[0:3], 0 offset:220
	buffer_store_dword v149, off, s[0:3], 0 offset:216
	s_waitcnt vmcnt(31)
	buffer_store_dword v154, off, s[0:3], 0 offset:228
	buffer_store_dword v147, off, s[0:3], 0 offset:224
	s_waitcnt vmcnt(30)
	buffer_store_dword v159, off, s[0:3], 0 offset:236
	s_waitcnt vmcnt(30)
	;; [unrolled: 2-line block ×3, first 2 shown]
	buffer_store_dword v161, off, s[0:3], 0 offset:244
	buffer_store_dword v156, off, s[0:3], 0 offset:240
	;; [unrolled: 1-line block ×4, first 2 shown]
	s_cselect_b64 s[8:9], -1, 0
	s_cmpk_eq_i32 s13, 0x84
	v_mov_b32_e32 v161, 0
	v_mov_b32_e32 v130, -1.0
	s_cbranch_scc1 .LBB63_3
; %bb.2:
	v_lshl_add_u32 v130, v0, 2, v161
	buffer_load_dword v131, v130, s[0:3], 0 offen
	s_waitcnt vmcnt(0)
	v_div_scale_f32 v132, s[4:5], v131, v131, 1.0
	v_rcp_f32_e32 v133, v132
	v_div_scale_f32 v134, vcc, 1.0, v131, 1.0
	v_fma_f32 v135, -v132, v133, 1.0
	v_fmac_f32_e32 v133, v135, v133
	v_mul_f32_e32 v135, v134, v133
	v_fma_f32 v136, -v132, v135, v134
	v_fmac_f32_e32 v135, v136, v133
	v_fma_f32 v132, -v132, v135, v134
	v_div_fmas_f32 v132, v132, v133, v135
	v_div_fixup_f32 v131, v132, v131, 1.0
	buffer_store_dword v131, v130, s[0:3], 0 offen
	v_xor_b32_e32 v130, 0x80000000, v131
.LBB63_3:
	ds_write_b32 v1, v130
	s_cmpk_eq_i32 s12, 0x79
	v_or_b32_e32 v130, 0x100, v1
	v_add_u32_e32 v131, 0, v1
	s_mov_b64 s[4:5], -1
	s_cbranch_scc1 .LBB63_627
; %bb.4:
	buffer_load_dword v132, off, s[0:3], 0 offset:248
	v_cmp_eq_u32_e64 s[4:5], 63, v0
	s_waitcnt vmcnt(0)
	ds_write_b32 v130, v132
	s_waitcnt lgkmcnt(0)
	; wave barrier
	s_waitcnt lgkmcnt(0)
	s_and_saveexec_b64 s[6:7], s[4:5]
	s_cbranch_execz .LBB63_10
; %bb.5:
	s_and_b64 vcc, exec, s[8:9]
	s_cbranch_vccz .LBB63_7
; %bb.6:
	buffer_load_dword v132, v131, s[0:3], 0 offen
	ds_read_b32 v133, v130
	s_waitcnt vmcnt(0) lgkmcnt(0)
	v_mul_f32_e32 v132, v132, v133
	s_cbranch_execz .LBB63_8
	s_branch .LBB63_9
.LBB63_7:
                                        ; implicit-def: $vgpr132
.LBB63_8:
	ds_read_b32 v132, v130
.LBB63_9:
	v_mov_b32_e32 v133, 0
	ds_read_b32 v133, v133 offset:248
	s_waitcnt lgkmcnt(0)
	v_mul_f32_e32 v132, v132, v133
	buffer_store_dword v132, off, s[0:3], 0 offset:248
.LBB63_10:
	s_or_b64 exec, exec, s[6:7]
	buffer_load_dword v162, off, s[0:3], 0 offset:244
	v_or_b32_e32 v132, 8, v161
	v_add_u32_e32 v133, 16, v161
	v_add_u32_e32 v134, 24, v161
	;; [unrolled: 1-line block ×29, first 2 shown]
	v_cmp_lt_u32_e64 s[6:7], 61, v0
	s_waitcnt vmcnt(0)
	ds_write_b32 v130, v162
	s_waitcnt lgkmcnt(0)
	; wave barrier
	s_waitcnt lgkmcnt(0)
	s_and_saveexec_b64 s[10:11], s[6:7]
	s_cbranch_execz .LBB63_16
; %bb.11:
	s_andn2_b64 vcc, exec, s[8:9]
	s_cbranch_vccnz .LBB63_13
; %bb.12:
	buffer_load_dword v162, v131, s[0:3], 0 offen
	ds_read_b32 v163, v130
	s_waitcnt vmcnt(0) lgkmcnt(0)
	v_mul_f32_e32 v162, v162, v163
	s_cbranch_execz .LBB63_14
	s_branch .LBB63_15
.LBB63_13:
                                        ; implicit-def: $vgpr162
.LBB63_14:
	ds_read_b32 v162, v130
.LBB63_15:
	buffer_load_dword v163, off, s[0:3], 0 offset:248
	v_mov_b32_e32 v164, 0
	ds_read2_b32 v[164:165], v164 offset0:61 offset1:126
	s_waitcnt vmcnt(0) lgkmcnt(0)
	v_fma_f32 v163, v163, v165, v162
	v_cndmask_b32_e64 v162, v162, v163, s[4:5]
	v_mul_f32_e32 v162, v162, v164
	buffer_store_dword v162, off, s[0:3], 0 offset:244
.LBB63_16:
	s_or_b64 exec, exec, s[10:11]
	buffer_load_dword v162, off, s[0:3], 0 offset:240
	v_cmp_lt_u32_e64 s[4:5], 60, v0
	s_waitcnt vmcnt(0)
	ds_write_b32 v130, v162
	s_waitcnt lgkmcnt(0)
	; wave barrier
	s_waitcnt lgkmcnt(0)
	s_and_saveexec_b64 s[10:11], s[4:5]
	s_cbranch_execz .LBB63_26
; %bb.17:
	s_andn2_b64 vcc, exec, s[8:9]
	s_cbranch_vccnz .LBB63_19
; %bb.18:
	buffer_load_dword v162, v131, s[0:3], 0 offen
	ds_read_b32 v163, v130
	s_waitcnt vmcnt(0) lgkmcnt(0)
	v_mul_f32_e32 v162, v162, v163
	s_cbranch_execz .LBB63_20
	s_branch .LBB63_21
.LBB63_19:
                                        ; implicit-def: $vgpr162
.LBB63_20:
	ds_read_b32 v162, v130
.LBB63_21:
	s_and_saveexec_b64 s[12:13], s[6:7]
	s_cbranch_execz .LBB63_25
; %bb.22:
	v_mov_b32_e32 v163, 0
	v_add_u32_e32 v163, 0xf4, v163
	v_subrev_u32_e32 v164, 61, v0
	s_movk_i32 s14, 0x1f4
	s_mov_b64 s[6:7], 0
.LBB63_23:                              ; =>This Inner Loop Header: Depth=1
	buffer_load_dword v165, v163, s[0:3], 0 offen
	v_mov_b32_e32 v166, s14
	ds_read_b32 v166, v166
	v_add_u32_e32 v164, -1, v164
	s_add_i32 s14, s14, 4
	v_cmp_eq_u32_e32 vcc, 0, v164
	v_add_u32_e32 v163, 4, v163
	s_or_b64 s[6:7], vcc, s[6:7]
	s_waitcnt vmcnt(0) lgkmcnt(0)
	v_fmac_f32_e32 v162, v165, v166
	s_andn2_b64 exec, exec, s[6:7]
	s_cbranch_execnz .LBB63_23
; %bb.24:
	s_or_b64 exec, exec, s[6:7]
.LBB63_25:
	s_or_b64 exec, exec, s[12:13]
	v_mov_b32_e32 v163, 0
	ds_read_b32 v163, v163 offset:240
	s_waitcnt lgkmcnt(0)
	v_mul_f32_e32 v162, v162, v163
	buffer_store_dword v162, off, s[0:3], 0 offset:240
.LBB63_26:
	s_or_b64 exec, exec, s[10:11]
	buffer_load_dword v162, off, s[0:3], 0 offset:236
	v_cmp_lt_u32_e64 s[6:7], 59, v0
	s_waitcnt vmcnt(0)
	ds_write_b32 v130, v162
	s_waitcnt lgkmcnt(0)
	; wave barrier
	s_waitcnt lgkmcnt(0)
	s_and_saveexec_b64 s[10:11], s[6:7]
	s_cbranch_execz .LBB63_36
; %bb.27:
	s_andn2_b64 vcc, exec, s[8:9]
	s_cbranch_vccnz .LBB63_29
; %bb.28:
	buffer_load_dword v162, v131, s[0:3], 0 offen
	ds_read_b32 v163, v130
	s_waitcnt vmcnt(0) lgkmcnt(0)
	v_mul_f32_e32 v162, v162, v163
	s_cbranch_execz .LBB63_30
	s_branch .LBB63_31
.LBB63_29:
                                        ; implicit-def: $vgpr162
.LBB63_30:
	ds_read_b32 v162, v130
.LBB63_31:
	s_and_saveexec_b64 s[12:13], s[4:5]
	s_cbranch_execz .LBB63_35
; %bb.32:
	v_subrev_u32_e32 v163, 60, v0
	s_movk_i32 s14, 0x1f0
	s_mov_b64 s[4:5], 0
.LBB63_33:                              ; =>This Inner Loop Header: Depth=1
	buffer_load_dword v164, v161, s[0:3], 0 offen
	v_mov_b32_e32 v165, s14
	ds_read_b32 v165, v165
	v_add_u32_e32 v163, -1, v163
	s_add_i32 s14, s14, 4
	v_cmp_eq_u32_e32 vcc, 0, v163
	v_add_u32_e32 v161, 4, v161
	s_or_b64 s[4:5], vcc, s[4:5]
	s_waitcnt vmcnt(0) lgkmcnt(0)
	v_fmac_f32_e32 v162, v164, v165
	s_andn2_b64 exec, exec, s[4:5]
	s_cbranch_execnz .LBB63_33
; %bb.34:
	s_or_b64 exec, exec, s[4:5]
.LBB63_35:
	s_or_b64 exec, exec, s[12:13]
	v_mov_b32_e32 v161, 0
	ds_read_b32 v161, v161 offset:236
	s_waitcnt lgkmcnt(0)
	v_mul_f32_e32 v161, v162, v161
	buffer_store_dword v161, off, s[0:3], 0 offset:236
.LBB63_36:
	s_or_b64 exec, exec, s[10:11]
	buffer_load_dword v161, off, s[0:3], 0 offset:232
	v_cmp_lt_u32_e64 s[4:5], 58, v0
	s_waitcnt vmcnt(0)
	ds_write_b32 v130, v161
	s_waitcnt lgkmcnt(0)
	; wave barrier
	s_waitcnt lgkmcnt(0)
	s_and_saveexec_b64 s[10:11], s[4:5]
	s_cbranch_execz .LBB63_46
; %bb.37:
	s_andn2_b64 vcc, exec, s[8:9]
	s_cbranch_vccnz .LBB63_39
; %bb.38:
	buffer_load_dword v161, v131, s[0:3], 0 offen
	ds_read_b32 v162, v130
	s_waitcnt vmcnt(0) lgkmcnt(0)
	v_mul_f32_e32 v161, v161, v162
	s_cbranch_execz .LBB63_40
	s_branch .LBB63_41
.LBB63_39:
                                        ; implicit-def: $vgpr161
.LBB63_40:
	ds_read_b32 v161, v130
.LBB63_41:
	s_and_saveexec_b64 s[12:13], s[6:7]
	s_cbranch_execz .LBB63_45
; %bb.42:
	v_mov_b32_e32 v162, 0
	v_add_u32_e32 v162, 0xec, v162
	v_subrev_u32_e32 v163, 59, v0
	s_movk_i32 s14, 0x1ec
	s_mov_b64 s[6:7], 0
.LBB63_43:                              ; =>This Inner Loop Header: Depth=1
	buffer_load_dword v164, v162, s[0:3], 0 offen
	v_mov_b32_e32 v165, s14
	ds_read_b32 v165, v165
	v_add_u32_e32 v163, -1, v163
	s_add_i32 s14, s14, 4
	v_cmp_eq_u32_e32 vcc, 0, v163
	v_add_u32_e32 v162, 4, v162
	s_or_b64 s[6:7], vcc, s[6:7]
	s_waitcnt vmcnt(0) lgkmcnt(0)
	v_fmac_f32_e32 v161, v164, v165
	s_andn2_b64 exec, exec, s[6:7]
	s_cbranch_execnz .LBB63_43
; %bb.44:
	s_or_b64 exec, exec, s[6:7]
.LBB63_45:
	s_or_b64 exec, exec, s[12:13]
	v_mov_b32_e32 v162, 0
	ds_read_b32 v162, v162 offset:232
	s_waitcnt lgkmcnt(0)
	v_mul_f32_e32 v161, v161, v162
	buffer_store_dword v161, off, s[0:3], 0 offset:232
.LBB63_46:
	s_or_b64 exec, exec, s[10:11]
	buffer_load_dword v161, off, s[0:3], 0 offset:228
	v_cmp_lt_u32_e64 s[6:7], 57, v0
	s_waitcnt vmcnt(0)
	ds_write_b32 v130, v161
	s_waitcnt lgkmcnt(0)
	; wave barrier
	s_waitcnt lgkmcnt(0)
	s_and_saveexec_b64 s[10:11], s[6:7]
	s_cbranch_execz .LBB63_56
; %bb.47:
	s_andn2_b64 vcc, exec, s[8:9]
	s_cbranch_vccnz .LBB63_49
; %bb.48:
	buffer_load_dword v161, v131, s[0:3], 0 offen
	ds_read_b32 v162, v130
	s_waitcnt vmcnt(0) lgkmcnt(0)
	v_mul_f32_e32 v161, v161, v162
	s_cbranch_execz .LBB63_50
	s_branch .LBB63_51
.LBB63_49:
                                        ; implicit-def: $vgpr161
.LBB63_50:
	ds_read_b32 v161, v130
.LBB63_51:
	s_and_saveexec_b64 s[12:13], s[4:5]
	s_cbranch_execz .LBB63_55
; %bb.52:
	v_subrev_u32_e32 v162, 58, v0
	s_movk_i32 s14, 0x1e8
	s_mov_b64 s[4:5], 0
.LBB63_53:                              ; =>This Inner Loop Header: Depth=1
	buffer_load_dword v163, v160, s[0:3], 0 offen
	v_mov_b32_e32 v164, s14
	ds_read_b32 v164, v164
	v_add_u32_e32 v162, -1, v162
	s_add_i32 s14, s14, 4
	v_cmp_eq_u32_e32 vcc, 0, v162
	v_add_u32_e32 v160, 4, v160
	s_or_b64 s[4:5], vcc, s[4:5]
	s_waitcnt vmcnt(0) lgkmcnt(0)
	v_fmac_f32_e32 v161, v163, v164
	s_andn2_b64 exec, exec, s[4:5]
	s_cbranch_execnz .LBB63_53
; %bb.54:
	s_or_b64 exec, exec, s[4:5]
.LBB63_55:
	s_or_b64 exec, exec, s[12:13]
	v_mov_b32_e32 v160, 0
	ds_read_b32 v160, v160 offset:228
	s_waitcnt lgkmcnt(0)
	v_mul_f32_e32 v160, v161, v160
	buffer_store_dword v160, off, s[0:3], 0 offset:228
.LBB63_56:
	s_or_b64 exec, exec, s[10:11]
	buffer_load_dword v160, off, s[0:3], 0 offset:224
	v_cmp_lt_u32_e64 s[4:5], 56, v0
	s_waitcnt vmcnt(0)
	ds_write_b32 v130, v160
	s_waitcnt lgkmcnt(0)
	; wave barrier
	s_waitcnt lgkmcnt(0)
	s_and_saveexec_b64 s[10:11], s[4:5]
	s_cbranch_execz .LBB63_66
; %bb.57:
	s_andn2_b64 vcc, exec, s[8:9]
	s_cbranch_vccnz .LBB63_59
; %bb.58:
	buffer_load_dword v160, v131, s[0:3], 0 offen
	ds_read_b32 v161, v130
	s_waitcnt vmcnt(0) lgkmcnt(0)
	v_mul_f32_e32 v160, v160, v161
	s_cbranch_execz .LBB63_60
	s_branch .LBB63_61
.LBB63_59:
                                        ; implicit-def: $vgpr160
.LBB63_60:
	ds_read_b32 v160, v130
.LBB63_61:
	s_and_saveexec_b64 s[12:13], s[6:7]
	s_cbranch_execz .LBB63_65
; %bb.62:
	v_mov_b32_e32 v161, 0
	v_add_u32_e32 v161, 0xe4, v161
	v_subrev_u32_e32 v162, 57, v0
	s_movk_i32 s14, 0x1e4
	s_mov_b64 s[6:7], 0
.LBB63_63:                              ; =>This Inner Loop Header: Depth=1
	buffer_load_dword v163, v161, s[0:3], 0 offen
	v_mov_b32_e32 v164, s14
	ds_read_b32 v164, v164
	v_add_u32_e32 v162, -1, v162
	s_add_i32 s14, s14, 4
	v_cmp_eq_u32_e32 vcc, 0, v162
	v_add_u32_e32 v161, 4, v161
	s_or_b64 s[6:7], vcc, s[6:7]
	s_waitcnt vmcnt(0) lgkmcnt(0)
	v_fmac_f32_e32 v160, v163, v164
	s_andn2_b64 exec, exec, s[6:7]
	s_cbranch_execnz .LBB63_63
; %bb.64:
	s_or_b64 exec, exec, s[6:7]
.LBB63_65:
	s_or_b64 exec, exec, s[12:13]
	v_mov_b32_e32 v161, 0
	ds_read_b32 v161, v161 offset:224
	s_waitcnt lgkmcnt(0)
	v_mul_f32_e32 v160, v160, v161
	buffer_store_dword v160, off, s[0:3], 0 offset:224
.LBB63_66:
	s_or_b64 exec, exec, s[10:11]
	buffer_load_dword v160, off, s[0:3], 0 offset:220
	v_cmp_lt_u32_e64 s[6:7], 55, v0
	s_waitcnt vmcnt(0)
	ds_write_b32 v130, v160
	s_waitcnt lgkmcnt(0)
	; wave barrier
	s_waitcnt lgkmcnt(0)
	s_and_saveexec_b64 s[10:11], s[6:7]
	s_cbranch_execz .LBB63_76
; %bb.67:
	s_andn2_b64 vcc, exec, s[8:9]
	s_cbranch_vccnz .LBB63_69
; %bb.68:
	buffer_load_dword v160, v131, s[0:3], 0 offen
	ds_read_b32 v161, v130
	s_waitcnt vmcnt(0) lgkmcnt(0)
	v_mul_f32_e32 v160, v160, v161
	s_cbranch_execz .LBB63_70
	s_branch .LBB63_71
.LBB63_69:
                                        ; implicit-def: $vgpr160
.LBB63_70:
	ds_read_b32 v160, v130
.LBB63_71:
	s_and_saveexec_b64 s[12:13], s[4:5]
	s_cbranch_execz .LBB63_75
; %bb.72:
	v_subrev_u32_e32 v161, 56, v0
	s_movk_i32 s14, 0x1e0
	s_mov_b64 s[4:5], 0
.LBB63_73:                              ; =>This Inner Loop Header: Depth=1
	buffer_load_dword v162, v159, s[0:3], 0 offen
	v_mov_b32_e32 v163, s14
	ds_read_b32 v163, v163
	v_add_u32_e32 v161, -1, v161
	s_add_i32 s14, s14, 4
	v_cmp_eq_u32_e32 vcc, 0, v161
	v_add_u32_e32 v159, 4, v159
	s_or_b64 s[4:5], vcc, s[4:5]
	s_waitcnt vmcnt(0) lgkmcnt(0)
	v_fmac_f32_e32 v160, v162, v163
	s_andn2_b64 exec, exec, s[4:5]
	s_cbranch_execnz .LBB63_73
; %bb.74:
	s_or_b64 exec, exec, s[4:5]
.LBB63_75:
	s_or_b64 exec, exec, s[12:13]
	v_mov_b32_e32 v159, 0
	ds_read_b32 v159, v159 offset:220
	s_waitcnt lgkmcnt(0)
	v_mul_f32_e32 v159, v160, v159
	buffer_store_dword v159, off, s[0:3], 0 offset:220
.LBB63_76:
	s_or_b64 exec, exec, s[10:11]
	buffer_load_dword v159, off, s[0:3], 0 offset:216
	v_cmp_lt_u32_e64 s[4:5], 54, v0
	s_waitcnt vmcnt(0)
	ds_write_b32 v130, v159
	s_waitcnt lgkmcnt(0)
	; wave barrier
	s_waitcnt lgkmcnt(0)
	s_and_saveexec_b64 s[10:11], s[4:5]
	s_cbranch_execz .LBB63_86
; %bb.77:
	s_andn2_b64 vcc, exec, s[8:9]
	s_cbranch_vccnz .LBB63_79
; %bb.78:
	buffer_load_dword v159, v131, s[0:3], 0 offen
	ds_read_b32 v160, v130
	s_waitcnt vmcnt(0) lgkmcnt(0)
	v_mul_f32_e32 v159, v159, v160
	s_cbranch_execz .LBB63_80
	s_branch .LBB63_81
.LBB63_79:
                                        ; implicit-def: $vgpr159
.LBB63_80:
	ds_read_b32 v159, v130
.LBB63_81:
	s_and_saveexec_b64 s[12:13], s[6:7]
	s_cbranch_execz .LBB63_85
; %bb.82:
	v_mov_b32_e32 v160, 0
	v_add_u32_e32 v160, 0xdc, v160
	v_subrev_u32_e32 v161, 55, v0
	s_movk_i32 s14, 0x1dc
	s_mov_b64 s[6:7], 0
.LBB63_83:                              ; =>This Inner Loop Header: Depth=1
	buffer_load_dword v162, v160, s[0:3], 0 offen
	v_mov_b32_e32 v163, s14
	ds_read_b32 v163, v163
	v_add_u32_e32 v161, -1, v161
	s_add_i32 s14, s14, 4
	v_cmp_eq_u32_e32 vcc, 0, v161
	v_add_u32_e32 v160, 4, v160
	s_or_b64 s[6:7], vcc, s[6:7]
	s_waitcnt vmcnt(0) lgkmcnt(0)
	v_fmac_f32_e32 v159, v162, v163
	s_andn2_b64 exec, exec, s[6:7]
	s_cbranch_execnz .LBB63_83
; %bb.84:
	s_or_b64 exec, exec, s[6:7]
.LBB63_85:
	s_or_b64 exec, exec, s[12:13]
	v_mov_b32_e32 v160, 0
	ds_read_b32 v160, v160 offset:216
	s_waitcnt lgkmcnt(0)
	v_mul_f32_e32 v159, v159, v160
	buffer_store_dword v159, off, s[0:3], 0 offset:216
.LBB63_86:
	s_or_b64 exec, exec, s[10:11]
	buffer_load_dword v159, off, s[0:3], 0 offset:212
	v_cmp_lt_u32_e64 s[6:7], 53, v0
	s_waitcnt vmcnt(0)
	ds_write_b32 v130, v159
	s_waitcnt lgkmcnt(0)
	; wave barrier
	s_waitcnt lgkmcnt(0)
	s_and_saveexec_b64 s[10:11], s[6:7]
	s_cbranch_execz .LBB63_96
; %bb.87:
	s_andn2_b64 vcc, exec, s[8:9]
	s_cbranch_vccnz .LBB63_89
; %bb.88:
	buffer_load_dword v159, v131, s[0:3], 0 offen
	ds_read_b32 v160, v130
	s_waitcnt vmcnt(0) lgkmcnt(0)
	v_mul_f32_e32 v159, v159, v160
	s_cbranch_execz .LBB63_90
	s_branch .LBB63_91
.LBB63_89:
                                        ; implicit-def: $vgpr159
.LBB63_90:
	ds_read_b32 v159, v130
.LBB63_91:
	s_and_saveexec_b64 s[12:13], s[4:5]
	s_cbranch_execz .LBB63_95
; %bb.92:
	v_subrev_u32_e32 v160, 54, v0
	s_movk_i32 s14, 0x1d8
	s_mov_b64 s[4:5], 0
.LBB63_93:                              ; =>This Inner Loop Header: Depth=1
	buffer_load_dword v161, v158, s[0:3], 0 offen
	v_mov_b32_e32 v162, s14
	ds_read_b32 v162, v162
	v_add_u32_e32 v160, -1, v160
	s_add_i32 s14, s14, 4
	v_cmp_eq_u32_e32 vcc, 0, v160
	v_add_u32_e32 v158, 4, v158
	s_or_b64 s[4:5], vcc, s[4:5]
	s_waitcnt vmcnt(0) lgkmcnt(0)
	v_fmac_f32_e32 v159, v161, v162
	s_andn2_b64 exec, exec, s[4:5]
	s_cbranch_execnz .LBB63_93
; %bb.94:
	s_or_b64 exec, exec, s[4:5]
.LBB63_95:
	s_or_b64 exec, exec, s[12:13]
	v_mov_b32_e32 v158, 0
	ds_read_b32 v158, v158 offset:212
	s_waitcnt lgkmcnt(0)
	v_mul_f32_e32 v158, v159, v158
	buffer_store_dword v158, off, s[0:3], 0 offset:212
.LBB63_96:
	s_or_b64 exec, exec, s[10:11]
	buffer_load_dword v158, off, s[0:3], 0 offset:208
	v_cmp_lt_u32_e64 s[4:5], 52, v0
	s_waitcnt vmcnt(0)
	ds_write_b32 v130, v158
	s_waitcnt lgkmcnt(0)
	; wave barrier
	s_waitcnt lgkmcnt(0)
	s_and_saveexec_b64 s[10:11], s[4:5]
	s_cbranch_execz .LBB63_106
; %bb.97:
	s_andn2_b64 vcc, exec, s[8:9]
	s_cbranch_vccnz .LBB63_99
; %bb.98:
	buffer_load_dword v158, v131, s[0:3], 0 offen
	ds_read_b32 v159, v130
	s_waitcnt vmcnt(0) lgkmcnt(0)
	v_mul_f32_e32 v158, v158, v159
	s_cbranch_execz .LBB63_100
	s_branch .LBB63_101
.LBB63_99:
                                        ; implicit-def: $vgpr158
.LBB63_100:
	ds_read_b32 v158, v130
.LBB63_101:
	s_and_saveexec_b64 s[12:13], s[6:7]
	s_cbranch_execz .LBB63_105
; %bb.102:
	v_mov_b32_e32 v159, 0
	v_add_u32_e32 v159, 0xd4, v159
	v_subrev_u32_e32 v160, 53, v0
	s_movk_i32 s14, 0x1d4
	s_mov_b64 s[6:7], 0
.LBB63_103:                             ; =>This Inner Loop Header: Depth=1
	buffer_load_dword v161, v159, s[0:3], 0 offen
	v_mov_b32_e32 v162, s14
	ds_read_b32 v162, v162
	v_add_u32_e32 v160, -1, v160
	s_add_i32 s14, s14, 4
	v_cmp_eq_u32_e32 vcc, 0, v160
	v_add_u32_e32 v159, 4, v159
	s_or_b64 s[6:7], vcc, s[6:7]
	s_waitcnt vmcnt(0) lgkmcnt(0)
	v_fmac_f32_e32 v158, v161, v162
	s_andn2_b64 exec, exec, s[6:7]
	s_cbranch_execnz .LBB63_103
; %bb.104:
	s_or_b64 exec, exec, s[6:7]
.LBB63_105:
	s_or_b64 exec, exec, s[12:13]
	v_mov_b32_e32 v159, 0
	ds_read_b32 v159, v159 offset:208
	s_waitcnt lgkmcnt(0)
	v_mul_f32_e32 v158, v158, v159
	buffer_store_dword v158, off, s[0:3], 0 offset:208
.LBB63_106:
	s_or_b64 exec, exec, s[10:11]
	buffer_load_dword v158, off, s[0:3], 0 offset:204
	v_cmp_lt_u32_e64 s[6:7], 51, v0
	s_waitcnt vmcnt(0)
	ds_write_b32 v130, v158
	s_waitcnt lgkmcnt(0)
	; wave barrier
	s_waitcnt lgkmcnt(0)
	s_and_saveexec_b64 s[10:11], s[6:7]
	s_cbranch_execz .LBB63_116
; %bb.107:
	s_andn2_b64 vcc, exec, s[8:9]
	s_cbranch_vccnz .LBB63_109
; %bb.108:
	buffer_load_dword v158, v131, s[0:3], 0 offen
	ds_read_b32 v159, v130
	s_waitcnt vmcnt(0) lgkmcnt(0)
	v_mul_f32_e32 v158, v158, v159
	s_cbranch_execz .LBB63_110
	s_branch .LBB63_111
.LBB63_109:
                                        ; implicit-def: $vgpr158
.LBB63_110:
	ds_read_b32 v158, v130
.LBB63_111:
	s_and_saveexec_b64 s[12:13], s[4:5]
	s_cbranch_execz .LBB63_115
; %bb.112:
	v_subrev_u32_e32 v159, 52, v0
	s_movk_i32 s14, 0x1d0
	s_mov_b64 s[4:5], 0
.LBB63_113:                             ; =>This Inner Loop Header: Depth=1
	buffer_load_dword v160, v157, s[0:3], 0 offen
	v_mov_b32_e32 v161, s14
	ds_read_b32 v161, v161
	v_add_u32_e32 v159, -1, v159
	s_add_i32 s14, s14, 4
	v_cmp_eq_u32_e32 vcc, 0, v159
	v_add_u32_e32 v157, 4, v157
	s_or_b64 s[4:5], vcc, s[4:5]
	s_waitcnt vmcnt(0) lgkmcnt(0)
	v_fmac_f32_e32 v158, v160, v161
	s_andn2_b64 exec, exec, s[4:5]
	s_cbranch_execnz .LBB63_113
; %bb.114:
	s_or_b64 exec, exec, s[4:5]
.LBB63_115:
	s_or_b64 exec, exec, s[12:13]
	v_mov_b32_e32 v157, 0
	ds_read_b32 v157, v157 offset:204
	s_waitcnt lgkmcnt(0)
	v_mul_f32_e32 v157, v158, v157
	buffer_store_dword v157, off, s[0:3], 0 offset:204
.LBB63_116:
	s_or_b64 exec, exec, s[10:11]
	buffer_load_dword v157, off, s[0:3], 0 offset:200
	v_cmp_lt_u32_e64 s[4:5], 50, v0
	s_waitcnt vmcnt(0)
	ds_write_b32 v130, v157
	s_waitcnt lgkmcnt(0)
	; wave barrier
	s_waitcnt lgkmcnt(0)
	s_and_saveexec_b64 s[10:11], s[4:5]
	s_cbranch_execz .LBB63_126
; %bb.117:
	s_andn2_b64 vcc, exec, s[8:9]
	s_cbranch_vccnz .LBB63_119
; %bb.118:
	buffer_load_dword v157, v131, s[0:3], 0 offen
	ds_read_b32 v158, v130
	s_waitcnt vmcnt(0) lgkmcnt(0)
	v_mul_f32_e32 v157, v157, v158
	s_cbranch_execz .LBB63_120
	s_branch .LBB63_121
.LBB63_119:
                                        ; implicit-def: $vgpr157
.LBB63_120:
	ds_read_b32 v157, v130
.LBB63_121:
	s_and_saveexec_b64 s[12:13], s[6:7]
	s_cbranch_execz .LBB63_125
; %bb.122:
	v_mov_b32_e32 v158, 0
	v_add_u32_e32 v158, 0xcc, v158
	v_subrev_u32_e32 v159, 51, v0
	s_movk_i32 s14, 0x1cc
	s_mov_b64 s[6:7], 0
.LBB63_123:                             ; =>This Inner Loop Header: Depth=1
	buffer_load_dword v160, v158, s[0:3], 0 offen
	v_mov_b32_e32 v161, s14
	ds_read_b32 v161, v161
	v_add_u32_e32 v159, -1, v159
	s_add_i32 s14, s14, 4
	v_cmp_eq_u32_e32 vcc, 0, v159
	v_add_u32_e32 v158, 4, v158
	s_or_b64 s[6:7], vcc, s[6:7]
	s_waitcnt vmcnt(0) lgkmcnt(0)
	v_fmac_f32_e32 v157, v160, v161
	s_andn2_b64 exec, exec, s[6:7]
	s_cbranch_execnz .LBB63_123
; %bb.124:
	s_or_b64 exec, exec, s[6:7]
.LBB63_125:
	s_or_b64 exec, exec, s[12:13]
	v_mov_b32_e32 v158, 0
	ds_read_b32 v158, v158 offset:200
	s_waitcnt lgkmcnt(0)
	v_mul_f32_e32 v157, v157, v158
	buffer_store_dword v157, off, s[0:3], 0 offset:200
.LBB63_126:
	s_or_b64 exec, exec, s[10:11]
	buffer_load_dword v157, off, s[0:3], 0 offset:196
	v_cmp_lt_u32_e64 s[6:7], 49, v0
	s_waitcnt vmcnt(0)
	ds_write_b32 v130, v157
	s_waitcnt lgkmcnt(0)
	; wave barrier
	s_waitcnt lgkmcnt(0)
	s_and_saveexec_b64 s[10:11], s[6:7]
	s_cbranch_execz .LBB63_136
; %bb.127:
	s_andn2_b64 vcc, exec, s[8:9]
	s_cbranch_vccnz .LBB63_129
; %bb.128:
	buffer_load_dword v157, v131, s[0:3], 0 offen
	ds_read_b32 v158, v130
	s_waitcnt vmcnt(0) lgkmcnt(0)
	v_mul_f32_e32 v157, v157, v158
	s_cbranch_execz .LBB63_130
	s_branch .LBB63_131
.LBB63_129:
                                        ; implicit-def: $vgpr157
.LBB63_130:
	ds_read_b32 v157, v130
.LBB63_131:
	s_and_saveexec_b64 s[12:13], s[4:5]
	s_cbranch_execz .LBB63_135
; %bb.132:
	v_subrev_u32_e32 v158, 50, v0
	s_movk_i32 s14, 0x1c8
	s_mov_b64 s[4:5], 0
.LBB63_133:                             ; =>This Inner Loop Header: Depth=1
	buffer_load_dword v159, v156, s[0:3], 0 offen
	v_mov_b32_e32 v160, s14
	ds_read_b32 v160, v160
	v_add_u32_e32 v158, -1, v158
	s_add_i32 s14, s14, 4
	v_cmp_eq_u32_e32 vcc, 0, v158
	v_add_u32_e32 v156, 4, v156
	s_or_b64 s[4:5], vcc, s[4:5]
	s_waitcnt vmcnt(0) lgkmcnt(0)
	v_fmac_f32_e32 v157, v159, v160
	s_andn2_b64 exec, exec, s[4:5]
	s_cbranch_execnz .LBB63_133
; %bb.134:
	s_or_b64 exec, exec, s[4:5]
.LBB63_135:
	s_or_b64 exec, exec, s[12:13]
	v_mov_b32_e32 v156, 0
	ds_read_b32 v156, v156 offset:196
	s_waitcnt lgkmcnt(0)
	v_mul_f32_e32 v156, v157, v156
	buffer_store_dword v156, off, s[0:3], 0 offset:196
.LBB63_136:
	s_or_b64 exec, exec, s[10:11]
	buffer_load_dword v156, off, s[0:3], 0 offset:192
	v_cmp_lt_u32_e64 s[4:5], 48, v0
	s_waitcnt vmcnt(0)
	ds_write_b32 v130, v156
	s_waitcnt lgkmcnt(0)
	; wave barrier
	s_waitcnt lgkmcnt(0)
	s_and_saveexec_b64 s[10:11], s[4:5]
	s_cbranch_execz .LBB63_146
; %bb.137:
	s_andn2_b64 vcc, exec, s[8:9]
	s_cbranch_vccnz .LBB63_139
; %bb.138:
	buffer_load_dword v156, v131, s[0:3], 0 offen
	ds_read_b32 v157, v130
	s_waitcnt vmcnt(0) lgkmcnt(0)
	v_mul_f32_e32 v156, v156, v157
	s_cbranch_execz .LBB63_140
	s_branch .LBB63_141
.LBB63_139:
                                        ; implicit-def: $vgpr156
.LBB63_140:
	ds_read_b32 v156, v130
.LBB63_141:
	s_and_saveexec_b64 s[12:13], s[6:7]
	s_cbranch_execz .LBB63_145
; %bb.142:
	v_mov_b32_e32 v157, 0
	v_add_u32_e32 v157, 0xc4, v157
	v_subrev_u32_e32 v158, 49, v0
	s_movk_i32 s14, 0x1c4
	s_mov_b64 s[6:7], 0
.LBB63_143:                             ; =>This Inner Loop Header: Depth=1
	buffer_load_dword v159, v157, s[0:3], 0 offen
	v_mov_b32_e32 v160, s14
	ds_read_b32 v160, v160
	v_add_u32_e32 v158, -1, v158
	s_add_i32 s14, s14, 4
	v_cmp_eq_u32_e32 vcc, 0, v158
	v_add_u32_e32 v157, 4, v157
	s_or_b64 s[6:7], vcc, s[6:7]
	s_waitcnt vmcnt(0) lgkmcnt(0)
	v_fmac_f32_e32 v156, v159, v160
	s_andn2_b64 exec, exec, s[6:7]
	s_cbranch_execnz .LBB63_143
; %bb.144:
	s_or_b64 exec, exec, s[6:7]
.LBB63_145:
	s_or_b64 exec, exec, s[12:13]
	v_mov_b32_e32 v157, 0
	ds_read_b32 v157, v157 offset:192
	s_waitcnt lgkmcnt(0)
	v_mul_f32_e32 v156, v156, v157
	buffer_store_dword v156, off, s[0:3], 0 offset:192
.LBB63_146:
	s_or_b64 exec, exec, s[10:11]
	buffer_load_dword v156, off, s[0:3], 0 offset:188
	v_cmp_lt_u32_e64 s[6:7], 47, v0
	s_waitcnt vmcnt(0)
	ds_write_b32 v130, v156
	s_waitcnt lgkmcnt(0)
	; wave barrier
	s_waitcnt lgkmcnt(0)
	s_and_saveexec_b64 s[10:11], s[6:7]
	s_cbranch_execz .LBB63_156
; %bb.147:
	s_andn2_b64 vcc, exec, s[8:9]
	s_cbranch_vccnz .LBB63_149
; %bb.148:
	buffer_load_dword v156, v131, s[0:3], 0 offen
	ds_read_b32 v157, v130
	s_waitcnt vmcnt(0) lgkmcnt(0)
	v_mul_f32_e32 v156, v156, v157
	s_cbranch_execz .LBB63_150
	s_branch .LBB63_151
.LBB63_149:
                                        ; implicit-def: $vgpr156
.LBB63_150:
	ds_read_b32 v156, v130
.LBB63_151:
	s_and_saveexec_b64 s[12:13], s[4:5]
	s_cbranch_execz .LBB63_155
; %bb.152:
	v_subrev_u32_e32 v157, 48, v0
	s_movk_i32 s14, 0x1c0
	s_mov_b64 s[4:5], 0
.LBB63_153:                             ; =>This Inner Loop Header: Depth=1
	buffer_load_dword v158, v155, s[0:3], 0 offen
	v_mov_b32_e32 v159, s14
	ds_read_b32 v159, v159
	v_add_u32_e32 v157, -1, v157
	s_add_i32 s14, s14, 4
	v_cmp_eq_u32_e32 vcc, 0, v157
	v_add_u32_e32 v155, 4, v155
	s_or_b64 s[4:5], vcc, s[4:5]
	s_waitcnt vmcnt(0) lgkmcnt(0)
	v_fmac_f32_e32 v156, v158, v159
	s_andn2_b64 exec, exec, s[4:5]
	s_cbranch_execnz .LBB63_153
; %bb.154:
	s_or_b64 exec, exec, s[4:5]
.LBB63_155:
	s_or_b64 exec, exec, s[12:13]
	v_mov_b32_e32 v155, 0
	ds_read_b32 v155, v155 offset:188
	s_waitcnt lgkmcnt(0)
	v_mul_f32_e32 v155, v156, v155
	buffer_store_dword v155, off, s[0:3], 0 offset:188
.LBB63_156:
	s_or_b64 exec, exec, s[10:11]
	buffer_load_dword v155, off, s[0:3], 0 offset:184
	v_cmp_lt_u32_e64 s[4:5], 46, v0
	s_waitcnt vmcnt(0)
	ds_write_b32 v130, v155
	s_waitcnt lgkmcnt(0)
	; wave barrier
	s_waitcnt lgkmcnt(0)
	s_and_saveexec_b64 s[10:11], s[4:5]
	s_cbranch_execz .LBB63_166
; %bb.157:
	s_andn2_b64 vcc, exec, s[8:9]
	s_cbranch_vccnz .LBB63_159
; %bb.158:
	buffer_load_dword v155, v131, s[0:3], 0 offen
	ds_read_b32 v156, v130
	s_waitcnt vmcnt(0) lgkmcnt(0)
	v_mul_f32_e32 v155, v155, v156
	s_cbranch_execz .LBB63_160
	s_branch .LBB63_161
.LBB63_159:
                                        ; implicit-def: $vgpr155
.LBB63_160:
	ds_read_b32 v155, v130
.LBB63_161:
	s_and_saveexec_b64 s[12:13], s[6:7]
	s_cbranch_execz .LBB63_165
; %bb.162:
	v_mov_b32_e32 v156, 0
	v_add_u32_e32 v156, 0xbc, v156
	v_subrev_u32_e32 v157, 47, v0
	s_movk_i32 s14, 0x1bc
	s_mov_b64 s[6:7], 0
.LBB63_163:                             ; =>This Inner Loop Header: Depth=1
	buffer_load_dword v158, v156, s[0:3], 0 offen
	v_mov_b32_e32 v159, s14
	ds_read_b32 v159, v159
	v_add_u32_e32 v157, -1, v157
	s_add_i32 s14, s14, 4
	v_cmp_eq_u32_e32 vcc, 0, v157
	v_add_u32_e32 v156, 4, v156
	s_or_b64 s[6:7], vcc, s[6:7]
	s_waitcnt vmcnt(0) lgkmcnt(0)
	v_fmac_f32_e32 v155, v158, v159
	s_andn2_b64 exec, exec, s[6:7]
	s_cbranch_execnz .LBB63_163
; %bb.164:
	s_or_b64 exec, exec, s[6:7]
.LBB63_165:
	s_or_b64 exec, exec, s[12:13]
	v_mov_b32_e32 v156, 0
	ds_read_b32 v156, v156 offset:184
	s_waitcnt lgkmcnt(0)
	v_mul_f32_e32 v155, v155, v156
	buffer_store_dword v155, off, s[0:3], 0 offset:184
.LBB63_166:
	s_or_b64 exec, exec, s[10:11]
	buffer_load_dword v155, off, s[0:3], 0 offset:180
	v_cmp_lt_u32_e64 s[6:7], 45, v0
	s_waitcnt vmcnt(0)
	ds_write_b32 v130, v155
	s_waitcnt lgkmcnt(0)
	; wave barrier
	s_waitcnt lgkmcnt(0)
	s_and_saveexec_b64 s[10:11], s[6:7]
	s_cbranch_execz .LBB63_176
; %bb.167:
	s_andn2_b64 vcc, exec, s[8:9]
	s_cbranch_vccnz .LBB63_169
; %bb.168:
	buffer_load_dword v155, v131, s[0:3], 0 offen
	ds_read_b32 v156, v130
	s_waitcnt vmcnt(0) lgkmcnt(0)
	v_mul_f32_e32 v155, v155, v156
	s_cbranch_execz .LBB63_170
	s_branch .LBB63_171
.LBB63_169:
                                        ; implicit-def: $vgpr155
.LBB63_170:
	ds_read_b32 v155, v130
.LBB63_171:
	s_and_saveexec_b64 s[12:13], s[4:5]
	s_cbranch_execz .LBB63_175
; %bb.172:
	v_subrev_u32_e32 v156, 46, v0
	s_movk_i32 s14, 0x1b8
	s_mov_b64 s[4:5], 0
.LBB63_173:                             ; =>This Inner Loop Header: Depth=1
	buffer_load_dword v157, v154, s[0:3], 0 offen
	v_mov_b32_e32 v158, s14
	ds_read_b32 v158, v158
	v_add_u32_e32 v156, -1, v156
	s_add_i32 s14, s14, 4
	v_cmp_eq_u32_e32 vcc, 0, v156
	v_add_u32_e32 v154, 4, v154
	s_or_b64 s[4:5], vcc, s[4:5]
	s_waitcnt vmcnt(0) lgkmcnt(0)
	v_fmac_f32_e32 v155, v157, v158
	s_andn2_b64 exec, exec, s[4:5]
	s_cbranch_execnz .LBB63_173
; %bb.174:
	s_or_b64 exec, exec, s[4:5]
.LBB63_175:
	s_or_b64 exec, exec, s[12:13]
	v_mov_b32_e32 v154, 0
	ds_read_b32 v154, v154 offset:180
	s_waitcnt lgkmcnt(0)
	v_mul_f32_e32 v154, v155, v154
	buffer_store_dword v154, off, s[0:3], 0 offset:180
.LBB63_176:
	s_or_b64 exec, exec, s[10:11]
	buffer_load_dword v154, off, s[0:3], 0 offset:176
	v_cmp_lt_u32_e64 s[4:5], 44, v0
	s_waitcnt vmcnt(0)
	ds_write_b32 v130, v154
	s_waitcnt lgkmcnt(0)
	; wave barrier
	s_waitcnt lgkmcnt(0)
	s_and_saveexec_b64 s[10:11], s[4:5]
	s_cbranch_execz .LBB63_186
; %bb.177:
	s_andn2_b64 vcc, exec, s[8:9]
	s_cbranch_vccnz .LBB63_179
; %bb.178:
	buffer_load_dword v154, v131, s[0:3], 0 offen
	ds_read_b32 v155, v130
	s_waitcnt vmcnt(0) lgkmcnt(0)
	v_mul_f32_e32 v154, v154, v155
	s_cbranch_execz .LBB63_180
	s_branch .LBB63_181
.LBB63_179:
                                        ; implicit-def: $vgpr154
.LBB63_180:
	ds_read_b32 v154, v130
.LBB63_181:
	s_and_saveexec_b64 s[12:13], s[6:7]
	s_cbranch_execz .LBB63_185
; %bb.182:
	v_mov_b32_e32 v155, 0
	v_add_u32_e32 v155, 0xb4, v155
	v_subrev_u32_e32 v156, 45, v0
	s_movk_i32 s14, 0x1b4
	s_mov_b64 s[6:7], 0
.LBB63_183:                             ; =>This Inner Loop Header: Depth=1
	buffer_load_dword v157, v155, s[0:3], 0 offen
	v_mov_b32_e32 v158, s14
	ds_read_b32 v158, v158
	v_add_u32_e32 v156, -1, v156
	s_add_i32 s14, s14, 4
	v_cmp_eq_u32_e32 vcc, 0, v156
	v_add_u32_e32 v155, 4, v155
	s_or_b64 s[6:7], vcc, s[6:7]
	s_waitcnt vmcnt(0) lgkmcnt(0)
	v_fmac_f32_e32 v154, v157, v158
	s_andn2_b64 exec, exec, s[6:7]
	s_cbranch_execnz .LBB63_183
; %bb.184:
	s_or_b64 exec, exec, s[6:7]
.LBB63_185:
	s_or_b64 exec, exec, s[12:13]
	v_mov_b32_e32 v155, 0
	ds_read_b32 v155, v155 offset:176
	s_waitcnt lgkmcnt(0)
	v_mul_f32_e32 v154, v154, v155
	buffer_store_dword v154, off, s[0:3], 0 offset:176
.LBB63_186:
	s_or_b64 exec, exec, s[10:11]
	buffer_load_dword v154, off, s[0:3], 0 offset:172
	v_cmp_lt_u32_e64 s[6:7], 43, v0
	s_waitcnt vmcnt(0)
	ds_write_b32 v130, v154
	s_waitcnt lgkmcnt(0)
	; wave barrier
	s_waitcnt lgkmcnt(0)
	s_and_saveexec_b64 s[10:11], s[6:7]
	s_cbranch_execz .LBB63_196
; %bb.187:
	s_andn2_b64 vcc, exec, s[8:9]
	s_cbranch_vccnz .LBB63_189
; %bb.188:
	buffer_load_dword v154, v131, s[0:3], 0 offen
	ds_read_b32 v155, v130
	s_waitcnt vmcnt(0) lgkmcnt(0)
	v_mul_f32_e32 v154, v154, v155
	s_cbranch_execz .LBB63_190
	s_branch .LBB63_191
.LBB63_189:
                                        ; implicit-def: $vgpr154
.LBB63_190:
	ds_read_b32 v154, v130
.LBB63_191:
	s_and_saveexec_b64 s[12:13], s[4:5]
	s_cbranch_execz .LBB63_195
; %bb.192:
	v_subrev_u32_e32 v155, 44, v0
	s_movk_i32 s14, 0x1b0
	s_mov_b64 s[4:5], 0
.LBB63_193:                             ; =>This Inner Loop Header: Depth=1
	buffer_load_dword v156, v153, s[0:3], 0 offen
	v_mov_b32_e32 v157, s14
	ds_read_b32 v157, v157
	v_add_u32_e32 v155, -1, v155
	s_add_i32 s14, s14, 4
	v_cmp_eq_u32_e32 vcc, 0, v155
	v_add_u32_e32 v153, 4, v153
	s_or_b64 s[4:5], vcc, s[4:5]
	s_waitcnt vmcnt(0) lgkmcnt(0)
	v_fmac_f32_e32 v154, v156, v157
	s_andn2_b64 exec, exec, s[4:5]
	s_cbranch_execnz .LBB63_193
; %bb.194:
	s_or_b64 exec, exec, s[4:5]
.LBB63_195:
	s_or_b64 exec, exec, s[12:13]
	v_mov_b32_e32 v153, 0
	ds_read_b32 v153, v153 offset:172
	s_waitcnt lgkmcnt(0)
	v_mul_f32_e32 v153, v154, v153
	buffer_store_dword v153, off, s[0:3], 0 offset:172
.LBB63_196:
	s_or_b64 exec, exec, s[10:11]
	buffer_load_dword v153, off, s[0:3], 0 offset:168
	v_cmp_lt_u32_e64 s[4:5], 42, v0
	s_waitcnt vmcnt(0)
	ds_write_b32 v130, v153
	s_waitcnt lgkmcnt(0)
	; wave barrier
	s_waitcnt lgkmcnt(0)
	s_and_saveexec_b64 s[10:11], s[4:5]
	s_cbranch_execz .LBB63_206
; %bb.197:
	s_andn2_b64 vcc, exec, s[8:9]
	s_cbranch_vccnz .LBB63_199
; %bb.198:
	buffer_load_dword v153, v131, s[0:3], 0 offen
	ds_read_b32 v154, v130
	s_waitcnt vmcnt(0) lgkmcnt(0)
	v_mul_f32_e32 v153, v153, v154
	s_cbranch_execz .LBB63_200
	s_branch .LBB63_201
.LBB63_199:
                                        ; implicit-def: $vgpr153
.LBB63_200:
	ds_read_b32 v153, v130
.LBB63_201:
	s_and_saveexec_b64 s[12:13], s[6:7]
	s_cbranch_execz .LBB63_205
; %bb.202:
	v_mov_b32_e32 v154, 0
	v_add_u32_e32 v154, 0xac, v154
	v_subrev_u32_e32 v155, 43, v0
	s_movk_i32 s14, 0x1ac
	s_mov_b64 s[6:7], 0
.LBB63_203:                             ; =>This Inner Loop Header: Depth=1
	buffer_load_dword v156, v154, s[0:3], 0 offen
	v_mov_b32_e32 v157, s14
	ds_read_b32 v157, v157
	v_add_u32_e32 v155, -1, v155
	s_add_i32 s14, s14, 4
	v_cmp_eq_u32_e32 vcc, 0, v155
	v_add_u32_e32 v154, 4, v154
	s_or_b64 s[6:7], vcc, s[6:7]
	s_waitcnt vmcnt(0) lgkmcnt(0)
	v_fmac_f32_e32 v153, v156, v157
	s_andn2_b64 exec, exec, s[6:7]
	s_cbranch_execnz .LBB63_203
; %bb.204:
	s_or_b64 exec, exec, s[6:7]
.LBB63_205:
	s_or_b64 exec, exec, s[12:13]
	v_mov_b32_e32 v154, 0
	ds_read_b32 v154, v154 offset:168
	s_waitcnt lgkmcnt(0)
	v_mul_f32_e32 v153, v153, v154
	buffer_store_dword v153, off, s[0:3], 0 offset:168
.LBB63_206:
	s_or_b64 exec, exec, s[10:11]
	buffer_load_dword v153, off, s[0:3], 0 offset:164
	v_cmp_lt_u32_e64 s[6:7], 41, v0
	s_waitcnt vmcnt(0)
	ds_write_b32 v130, v153
	s_waitcnt lgkmcnt(0)
	; wave barrier
	s_waitcnt lgkmcnt(0)
	s_and_saveexec_b64 s[10:11], s[6:7]
	s_cbranch_execz .LBB63_216
; %bb.207:
	s_andn2_b64 vcc, exec, s[8:9]
	s_cbranch_vccnz .LBB63_209
; %bb.208:
	buffer_load_dword v153, v131, s[0:3], 0 offen
	ds_read_b32 v154, v130
	s_waitcnt vmcnt(0) lgkmcnt(0)
	v_mul_f32_e32 v153, v153, v154
	s_cbranch_execz .LBB63_210
	s_branch .LBB63_211
.LBB63_209:
                                        ; implicit-def: $vgpr153
.LBB63_210:
	ds_read_b32 v153, v130
.LBB63_211:
	s_and_saveexec_b64 s[12:13], s[4:5]
	s_cbranch_execz .LBB63_215
; %bb.212:
	v_subrev_u32_e32 v154, 42, v0
	s_movk_i32 s14, 0x1a8
	s_mov_b64 s[4:5], 0
.LBB63_213:                             ; =>This Inner Loop Header: Depth=1
	buffer_load_dword v155, v152, s[0:3], 0 offen
	v_mov_b32_e32 v156, s14
	ds_read_b32 v156, v156
	v_add_u32_e32 v154, -1, v154
	s_add_i32 s14, s14, 4
	v_cmp_eq_u32_e32 vcc, 0, v154
	v_add_u32_e32 v152, 4, v152
	s_or_b64 s[4:5], vcc, s[4:5]
	s_waitcnt vmcnt(0) lgkmcnt(0)
	v_fmac_f32_e32 v153, v155, v156
	s_andn2_b64 exec, exec, s[4:5]
	s_cbranch_execnz .LBB63_213
; %bb.214:
	s_or_b64 exec, exec, s[4:5]
.LBB63_215:
	s_or_b64 exec, exec, s[12:13]
	v_mov_b32_e32 v152, 0
	ds_read_b32 v152, v152 offset:164
	s_waitcnt lgkmcnt(0)
	v_mul_f32_e32 v152, v153, v152
	buffer_store_dword v152, off, s[0:3], 0 offset:164
.LBB63_216:
	s_or_b64 exec, exec, s[10:11]
	buffer_load_dword v152, off, s[0:3], 0 offset:160
	v_cmp_lt_u32_e64 s[4:5], 40, v0
	s_waitcnt vmcnt(0)
	ds_write_b32 v130, v152
	s_waitcnt lgkmcnt(0)
	; wave barrier
	s_waitcnt lgkmcnt(0)
	s_and_saveexec_b64 s[10:11], s[4:5]
	s_cbranch_execz .LBB63_226
; %bb.217:
	s_andn2_b64 vcc, exec, s[8:9]
	s_cbranch_vccnz .LBB63_219
; %bb.218:
	buffer_load_dword v152, v131, s[0:3], 0 offen
	ds_read_b32 v153, v130
	s_waitcnt vmcnt(0) lgkmcnt(0)
	v_mul_f32_e32 v152, v152, v153
	s_cbranch_execz .LBB63_220
	s_branch .LBB63_221
.LBB63_219:
                                        ; implicit-def: $vgpr152
.LBB63_220:
	ds_read_b32 v152, v130
.LBB63_221:
	s_and_saveexec_b64 s[12:13], s[6:7]
	s_cbranch_execz .LBB63_225
; %bb.222:
	v_mov_b32_e32 v153, 0
	v_add_u32_e32 v153, 0xa4, v153
	v_subrev_u32_e32 v154, 41, v0
	s_movk_i32 s14, 0x1a4
	s_mov_b64 s[6:7], 0
.LBB63_223:                             ; =>This Inner Loop Header: Depth=1
	buffer_load_dword v155, v153, s[0:3], 0 offen
	v_mov_b32_e32 v156, s14
	ds_read_b32 v156, v156
	v_add_u32_e32 v154, -1, v154
	s_add_i32 s14, s14, 4
	v_cmp_eq_u32_e32 vcc, 0, v154
	v_add_u32_e32 v153, 4, v153
	s_or_b64 s[6:7], vcc, s[6:7]
	s_waitcnt vmcnt(0) lgkmcnt(0)
	v_fmac_f32_e32 v152, v155, v156
	s_andn2_b64 exec, exec, s[6:7]
	s_cbranch_execnz .LBB63_223
; %bb.224:
	s_or_b64 exec, exec, s[6:7]
.LBB63_225:
	s_or_b64 exec, exec, s[12:13]
	v_mov_b32_e32 v153, 0
	ds_read_b32 v153, v153 offset:160
	s_waitcnt lgkmcnt(0)
	v_mul_f32_e32 v152, v152, v153
	buffer_store_dword v152, off, s[0:3], 0 offset:160
.LBB63_226:
	s_or_b64 exec, exec, s[10:11]
	buffer_load_dword v152, off, s[0:3], 0 offset:156
	v_cmp_lt_u32_e64 s[6:7], 39, v0
	s_waitcnt vmcnt(0)
	ds_write_b32 v130, v152
	s_waitcnt lgkmcnt(0)
	; wave barrier
	s_waitcnt lgkmcnt(0)
	s_and_saveexec_b64 s[10:11], s[6:7]
	s_cbranch_execz .LBB63_236
; %bb.227:
	s_andn2_b64 vcc, exec, s[8:9]
	s_cbranch_vccnz .LBB63_229
; %bb.228:
	buffer_load_dword v152, v131, s[0:3], 0 offen
	ds_read_b32 v153, v130
	s_waitcnt vmcnt(0) lgkmcnt(0)
	v_mul_f32_e32 v152, v152, v153
	s_cbranch_execz .LBB63_230
	s_branch .LBB63_231
.LBB63_229:
                                        ; implicit-def: $vgpr152
.LBB63_230:
	ds_read_b32 v152, v130
.LBB63_231:
	s_and_saveexec_b64 s[12:13], s[4:5]
	s_cbranch_execz .LBB63_235
; %bb.232:
	v_subrev_u32_e32 v153, 40, v0
	s_movk_i32 s14, 0x1a0
	s_mov_b64 s[4:5], 0
.LBB63_233:                             ; =>This Inner Loop Header: Depth=1
	buffer_load_dword v154, v151, s[0:3], 0 offen
	v_mov_b32_e32 v155, s14
	ds_read_b32 v155, v155
	v_add_u32_e32 v153, -1, v153
	s_add_i32 s14, s14, 4
	v_cmp_eq_u32_e32 vcc, 0, v153
	v_add_u32_e32 v151, 4, v151
	s_or_b64 s[4:5], vcc, s[4:5]
	s_waitcnt vmcnt(0) lgkmcnt(0)
	v_fmac_f32_e32 v152, v154, v155
	s_andn2_b64 exec, exec, s[4:5]
	s_cbranch_execnz .LBB63_233
; %bb.234:
	s_or_b64 exec, exec, s[4:5]
.LBB63_235:
	s_or_b64 exec, exec, s[12:13]
	v_mov_b32_e32 v151, 0
	ds_read_b32 v151, v151 offset:156
	s_waitcnt lgkmcnt(0)
	v_mul_f32_e32 v151, v152, v151
	buffer_store_dword v151, off, s[0:3], 0 offset:156
.LBB63_236:
	s_or_b64 exec, exec, s[10:11]
	buffer_load_dword v151, off, s[0:3], 0 offset:152
	v_cmp_lt_u32_e64 s[4:5], 38, v0
	s_waitcnt vmcnt(0)
	ds_write_b32 v130, v151
	s_waitcnt lgkmcnt(0)
	; wave barrier
	s_waitcnt lgkmcnt(0)
	s_and_saveexec_b64 s[10:11], s[4:5]
	s_cbranch_execz .LBB63_246
; %bb.237:
	s_andn2_b64 vcc, exec, s[8:9]
	s_cbranch_vccnz .LBB63_239
; %bb.238:
	buffer_load_dword v151, v131, s[0:3], 0 offen
	ds_read_b32 v152, v130
	s_waitcnt vmcnt(0) lgkmcnt(0)
	v_mul_f32_e32 v151, v151, v152
	s_cbranch_execz .LBB63_240
	s_branch .LBB63_241
.LBB63_239:
                                        ; implicit-def: $vgpr151
.LBB63_240:
	ds_read_b32 v151, v130
.LBB63_241:
	s_and_saveexec_b64 s[12:13], s[6:7]
	s_cbranch_execz .LBB63_245
; %bb.242:
	v_mov_b32_e32 v152, 0
	v_add_u32_e32 v152, 0x9c, v152
	v_subrev_u32_e32 v153, 39, v0
	s_movk_i32 s14, 0x19c
	s_mov_b64 s[6:7], 0
.LBB63_243:                             ; =>This Inner Loop Header: Depth=1
	buffer_load_dword v154, v152, s[0:3], 0 offen
	v_mov_b32_e32 v155, s14
	ds_read_b32 v155, v155
	v_add_u32_e32 v153, -1, v153
	s_add_i32 s14, s14, 4
	v_cmp_eq_u32_e32 vcc, 0, v153
	v_add_u32_e32 v152, 4, v152
	s_or_b64 s[6:7], vcc, s[6:7]
	s_waitcnt vmcnt(0) lgkmcnt(0)
	v_fmac_f32_e32 v151, v154, v155
	s_andn2_b64 exec, exec, s[6:7]
	s_cbranch_execnz .LBB63_243
; %bb.244:
	s_or_b64 exec, exec, s[6:7]
.LBB63_245:
	s_or_b64 exec, exec, s[12:13]
	v_mov_b32_e32 v152, 0
	ds_read_b32 v152, v152 offset:152
	s_waitcnt lgkmcnt(0)
	v_mul_f32_e32 v151, v151, v152
	buffer_store_dword v151, off, s[0:3], 0 offset:152
.LBB63_246:
	s_or_b64 exec, exec, s[10:11]
	buffer_load_dword v151, off, s[0:3], 0 offset:148
	v_cmp_lt_u32_e64 s[6:7], 37, v0
	s_waitcnt vmcnt(0)
	ds_write_b32 v130, v151
	s_waitcnt lgkmcnt(0)
	; wave barrier
	s_waitcnt lgkmcnt(0)
	s_and_saveexec_b64 s[10:11], s[6:7]
	s_cbranch_execz .LBB63_256
; %bb.247:
	s_andn2_b64 vcc, exec, s[8:9]
	s_cbranch_vccnz .LBB63_249
; %bb.248:
	buffer_load_dword v151, v131, s[0:3], 0 offen
	ds_read_b32 v152, v130
	s_waitcnt vmcnt(0) lgkmcnt(0)
	v_mul_f32_e32 v151, v151, v152
	s_cbranch_execz .LBB63_250
	s_branch .LBB63_251
.LBB63_249:
                                        ; implicit-def: $vgpr151
.LBB63_250:
	ds_read_b32 v151, v130
.LBB63_251:
	s_and_saveexec_b64 s[12:13], s[4:5]
	s_cbranch_execz .LBB63_255
; %bb.252:
	v_subrev_u32_e32 v152, 38, v0
	s_movk_i32 s14, 0x198
	s_mov_b64 s[4:5], 0
.LBB63_253:                             ; =>This Inner Loop Header: Depth=1
	buffer_load_dword v153, v150, s[0:3], 0 offen
	v_mov_b32_e32 v154, s14
	ds_read_b32 v154, v154
	v_add_u32_e32 v152, -1, v152
	s_add_i32 s14, s14, 4
	v_cmp_eq_u32_e32 vcc, 0, v152
	v_add_u32_e32 v150, 4, v150
	s_or_b64 s[4:5], vcc, s[4:5]
	s_waitcnt vmcnt(0) lgkmcnt(0)
	v_fmac_f32_e32 v151, v153, v154
	s_andn2_b64 exec, exec, s[4:5]
	s_cbranch_execnz .LBB63_253
; %bb.254:
	s_or_b64 exec, exec, s[4:5]
.LBB63_255:
	s_or_b64 exec, exec, s[12:13]
	v_mov_b32_e32 v150, 0
	ds_read_b32 v150, v150 offset:148
	s_waitcnt lgkmcnt(0)
	v_mul_f32_e32 v150, v151, v150
	buffer_store_dword v150, off, s[0:3], 0 offset:148
.LBB63_256:
	s_or_b64 exec, exec, s[10:11]
	buffer_load_dword v150, off, s[0:3], 0 offset:144
	v_cmp_lt_u32_e64 s[4:5], 36, v0
	s_waitcnt vmcnt(0)
	ds_write_b32 v130, v150
	s_waitcnt lgkmcnt(0)
	; wave barrier
	s_waitcnt lgkmcnt(0)
	s_and_saveexec_b64 s[10:11], s[4:5]
	s_cbranch_execz .LBB63_266
; %bb.257:
	s_andn2_b64 vcc, exec, s[8:9]
	s_cbranch_vccnz .LBB63_259
; %bb.258:
	buffer_load_dword v150, v131, s[0:3], 0 offen
	ds_read_b32 v151, v130
	s_waitcnt vmcnt(0) lgkmcnt(0)
	v_mul_f32_e32 v150, v150, v151
	s_cbranch_execz .LBB63_260
	s_branch .LBB63_261
.LBB63_259:
                                        ; implicit-def: $vgpr150
.LBB63_260:
	ds_read_b32 v150, v130
.LBB63_261:
	s_and_saveexec_b64 s[12:13], s[6:7]
	s_cbranch_execz .LBB63_265
; %bb.262:
	v_mov_b32_e32 v151, 0
	v_add_u32_e32 v151, 0x94, v151
	v_subrev_u32_e32 v152, 37, v0
	s_movk_i32 s14, 0x194
	s_mov_b64 s[6:7], 0
.LBB63_263:                             ; =>This Inner Loop Header: Depth=1
	buffer_load_dword v153, v151, s[0:3], 0 offen
	v_mov_b32_e32 v154, s14
	ds_read_b32 v154, v154
	v_add_u32_e32 v152, -1, v152
	s_add_i32 s14, s14, 4
	v_cmp_eq_u32_e32 vcc, 0, v152
	v_add_u32_e32 v151, 4, v151
	s_or_b64 s[6:7], vcc, s[6:7]
	s_waitcnt vmcnt(0) lgkmcnt(0)
	v_fmac_f32_e32 v150, v153, v154
	s_andn2_b64 exec, exec, s[6:7]
	s_cbranch_execnz .LBB63_263
; %bb.264:
	s_or_b64 exec, exec, s[6:7]
.LBB63_265:
	s_or_b64 exec, exec, s[12:13]
	v_mov_b32_e32 v151, 0
	ds_read_b32 v151, v151 offset:144
	s_waitcnt lgkmcnt(0)
	v_mul_f32_e32 v150, v150, v151
	buffer_store_dword v150, off, s[0:3], 0 offset:144
.LBB63_266:
	s_or_b64 exec, exec, s[10:11]
	buffer_load_dword v150, off, s[0:3], 0 offset:140
	v_cmp_lt_u32_e64 s[6:7], 35, v0
	s_waitcnt vmcnt(0)
	ds_write_b32 v130, v150
	s_waitcnt lgkmcnt(0)
	; wave barrier
	s_waitcnt lgkmcnt(0)
	s_and_saveexec_b64 s[10:11], s[6:7]
	s_cbranch_execz .LBB63_276
; %bb.267:
	s_andn2_b64 vcc, exec, s[8:9]
	s_cbranch_vccnz .LBB63_269
; %bb.268:
	buffer_load_dword v150, v131, s[0:3], 0 offen
	ds_read_b32 v151, v130
	s_waitcnt vmcnt(0) lgkmcnt(0)
	v_mul_f32_e32 v150, v150, v151
	s_cbranch_execz .LBB63_270
	s_branch .LBB63_271
.LBB63_269:
                                        ; implicit-def: $vgpr150
.LBB63_270:
	ds_read_b32 v150, v130
.LBB63_271:
	s_and_saveexec_b64 s[12:13], s[4:5]
	s_cbranch_execz .LBB63_275
; %bb.272:
	v_subrev_u32_e32 v151, 36, v0
	s_movk_i32 s14, 0x190
	s_mov_b64 s[4:5], 0
.LBB63_273:                             ; =>This Inner Loop Header: Depth=1
	buffer_load_dword v152, v149, s[0:3], 0 offen
	v_mov_b32_e32 v153, s14
	ds_read_b32 v153, v153
	v_add_u32_e32 v151, -1, v151
	s_add_i32 s14, s14, 4
	v_cmp_eq_u32_e32 vcc, 0, v151
	v_add_u32_e32 v149, 4, v149
	s_or_b64 s[4:5], vcc, s[4:5]
	s_waitcnt vmcnt(0) lgkmcnt(0)
	v_fmac_f32_e32 v150, v152, v153
	s_andn2_b64 exec, exec, s[4:5]
	s_cbranch_execnz .LBB63_273
; %bb.274:
	s_or_b64 exec, exec, s[4:5]
.LBB63_275:
	s_or_b64 exec, exec, s[12:13]
	v_mov_b32_e32 v149, 0
	ds_read_b32 v149, v149 offset:140
	s_waitcnt lgkmcnt(0)
	v_mul_f32_e32 v149, v150, v149
	buffer_store_dword v149, off, s[0:3], 0 offset:140
.LBB63_276:
	s_or_b64 exec, exec, s[10:11]
	buffer_load_dword v149, off, s[0:3], 0 offset:136
	v_cmp_lt_u32_e64 s[4:5], 34, v0
	s_waitcnt vmcnt(0)
	ds_write_b32 v130, v149
	s_waitcnt lgkmcnt(0)
	; wave barrier
	s_waitcnt lgkmcnt(0)
	s_and_saveexec_b64 s[10:11], s[4:5]
	s_cbranch_execz .LBB63_286
; %bb.277:
	s_andn2_b64 vcc, exec, s[8:9]
	s_cbranch_vccnz .LBB63_279
; %bb.278:
	buffer_load_dword v149, v131, s[0:3], 0 offen
	ds_read_b32 v150, v130
	s_waitcnt vmcnt(0) lgkmcnt(0)
	v_mul_f32_e32 v149, v149, v150
	s_cbranch_execz .LBB63_280
	s_branch .LBB63_281
.LBB63_279:
                                        ; implicit-def: $vgpr149
.LBB63_280:
	ds_read_b32 v149, v130
.LBB63_281:
	s_and_saveexec_b64 s[12:13], s[6:7]
	s_cbranch_execz .LBB63_285
; %bb.282:
	v_mov_b32_e32 v150, 0
	v_add_u32_e32 v150, 0x8c, v150
	v_subrev_u32_e32 v151, 35, v0
	s_movk_i32 s14, 0x18c
	s_mov_b64 s[6:7], 0
.LBB63_283:                             ; =>This Inner Loop Header: Depth=1
	buffer_load_dword v152, v150, s[0:3], 0 offen
	v_mov_b32_e32 v153, s14
	ds_read_b32 v153, v153
	v_add_u32_e32 v151, -1, v151
	s_add_i32 s14, s14, 4
	v_cmp_eq_u32_e32 vcc, 0, v151
	v_add_u32_e32 v150, 4, v150
	s_or_b64 s[6:7], vcc, s[6:7]
	s_waitcnt vmcnt(0) lgkmcnt(0)
	v_fmac_f32_e32 v149, v152, v153
	s_andn2_b64 exec, exec, s[6:7]
	s_cbranch_execnz .LBB63_283
; %bb.284:
	s_or_b64 exec, exec, s[6:7]
.LBB63_285:
	s_or_b64 exec, exec, s[12:13]
	v_mov_b32_e32 v150, 0
	ds_read_b32 v150, v150 offset:136
	s_waitcnt lgkmcnt(0)
	v_mul_f32_e32 v149, v149, v150
	buffer_store_dword v149, off, s[0:3], 0 offset:136
.LBB63_286:
	s_or_b64 exec, exec, s[10:11]
	buffer_load_dword v149, off, s[0:3], 0 offset:132
	v_cmp_lt_u32_e64 s[6:7], 33, v0
	s_waitcnt vmcnt(0)
	ds_write_b32 v130, v149
	s_waitcnt lgkmcnt(0)
	; wave barrier
	s_waitcnt lgkmcnt(0)
	s_and_saveexec_b64 s[10:11], s[6:7]
	s_cbranch_execz .LBB63_296
; %bb.287:
	s_andn2_b64 vcc, exec, s[8:9]
	s_cbranch_vccnz .LBB63_289
; %bb.288:
	buffer_load_dword v149, v131, s[0:3], 0 offen
	ds_read_b32 v150, v130
	s_waitcnt vmcnt(0) lgkmcnt(0)
	v_mul_f32_e32 v149, v149, v150
	s_cbranch_execz .LBB63_290
	s_branch .LBB63_291
.LBB63_289:
                                        ; implicit-def: $vgpr149
.LBB63_290:
	ds_read_b32 v149, v130
.LBB63_291:
	s_and_saveexec_b64 s[12:13], s[4:5]
	s_cbranch_execz .LBB63_295
; %bb.292:
	v_subrev_u32_e32 v150, 34, v0
	s_movk_i32 s14, 0x188
	s_mov_b64 s[4:5], 0
.LBB63_293:                             ; =>This Inner Loop Header: Depth=1
	buffer_load_dword v151, v148, s[0:3], 0 offen
	v_mov_b32_e32 v152, s14
	ds_read_b32 v152, v152
	v_add_u32_e32 v150, -1, v150
	s_add_i32 s14, s14, 4
	v_cmp_eq_u32_e32 vcc, 0, v150
	v_add_u32_e32 v148, 4, v148
	s_or_b64 s[4:5], vcc, s[4:5]
	s_waitcnt vmcnt(0) lgkmcnt(0)
	v_fmac_f32_e32 v149, v151, v152
	s_andn2_b64 exec, exec, s[4:5]
	s_cbranch_execnz .LBB63_293
; %bb.294:
	s_or_b64 exec, exec, s[4:5]
.LBB63_295:
	s_or_b64 exec, exec, s[12:13]
	v_mov_b32_e32 v148, 0
	ds_read_b32 v148, v148 offset:132
	s_waitcnt lgkmcnt(0)
	v_mul_f32_e32 v148, v149, v148
	buffer_store_dword v148, off, s[0:3], 0 offset:132
.LBB63_296:
	s_or_b64 exec, exec, s[10:11]
	buffer_load_dword v148, off, s[0:3], 0 offset:128
	v_cmp_lt_u32_e64 s[4:5], 32, v0
	s_waitcnt vmcnt(0)
	ds_write_b32 v130, v148
	s_waitcnt lgkmcnt(0)
	; wave barrier
	s_waitcnt lgkmcnt(0)
	s_and_saveexec_b64 s[10:11], s[4:5]
	s_cbranch_execz .LBB63_306
; %bb.297:
	s_andn2_b64 vcc, exec, s[8:9]
	s_cbranch_vccnz .LBB63_299
; %bb.298:
	buffer_load_dword v148, v131, s[0:3], 0 offen
	ds_read_b32 v149, v130
	s_waitcnt vmcnt(0) lgkmcnt(0)
	v_mul_f32_e32 v148, v148, v149
	s_cbranch_execz .LBB63_300
	s_branch .LBB63_301
.LBB63_299:
                                        ; implicit-def: $vgpr148
.LBB63_300:
	ds_read_b32 v148, v130
.LBB63_301:
	s_and_saveexec_b64 s[12:13], s[6:7]
	s_cbranch_execz .LBB63_305
; %bb.302:
	v_mov_b32_e32 v149, 0
	v_add_u32_e32 v149, 0x84, v149
	v_subrev_u32_e32 v150, 33, v0
	s_movk_i32 s14, 0x184
	s_mov_b64 s[6:7], 0
.LBB63_303:                             ; =>This Inner Loop Header: Depth=1
	buffer_load_dword v151, v149, s[0:3], 0 offen
	v_mov_b32_e32 v152, s14
	ds_read_b32 v152, v152
	v_add_u32_e32 v150, -1, v150
	s_add_i32 s14, s14, 4
	v_cmp_eq_u32_e32 vcc, 0, v150
	v_add_u32_e32 v149, 4, v149
	s_or_b64 s[6:7], vcc, s[6:7]
	s_waitcnt vmcnt(0) lgkmcnt(0)
	v_fmac_f32_e32 v148, v151, v152
	s_andn2_b64 exec, exec, s[6:7]
	s_cbranch_execnz .LBB63_303
; %bb.304:
	s_or_b64 exec, exec, s[6:7]
.LBB63_305:
	s_or_b64 exec, exec, s[12:13]
	v_mov_b32_e32 v149, 0
	ds_read_b32 v149, v149 offset:128
	s_waitcnt lgkmcnt(0)
	v_mul_f32_e32 v148, v148, v149
	buffer_store_dword v148, off, s[0:3], 0 offset:128
.LBB63_306:
	s_or_b64 exec, exec, s[10:11]
	buffer_load_dword v148, off, s[0:3], 0 offset:124
	v_cmp_lt_u32_e64 s[6:7], 31, v0
	s_waitcnt vmcnt(0)
	ds_write_b32 v130, v148
	s_waitcnt lgkmcnt(0)
	; wave barrier
	s_waitcnt lgkmcnt(0)
	s_and_saveexec_b64 s[10:11], s[6:7]
	s_cbranch_execz .LBB63_316
; %bb.307:
	s_andn2_b64 vcc, exec, s[8:9]
	s_cbranch_vccnz .LBB63_309
; %bb.308:
	buffer_load_dword v148, v131, s[0:3], 0 offen
	ds_read_b32 v149, v130
	s_waitcnt vmcnt(0) lgkmcnt(0)
	v_mul_f32_e32 v148, v148, v149
	s_cbranch_execz .LBB63_310
	s_branch .LBB63_311
.LBB63_309:
                                        ; implicit-def: $vgpr148
.LBB63_310:
	ds_read_b32 v148, v130
.LBB63_311:
	s_and_saveexec_b64 s[12:13], s[4:5]
	s_cbranch_execz .LBB63_315
; %bb.312:
	v_subrev_u32_e32 v149, 32, v0
	s_movk_i32 s14, 0x180
	s_mov_b64 s[4:5], 0
.LBB63_313:                             ; =>This Inner Loop Header: Depth=1
	buffer_load_dword v150, v147, s[0:3], 0 offen
	v_mov_b32_e32 v151, s14
	ds_read_b32 v151, v151
	v_add_u32_e32 v149, -1, v149
	s_add_i32 s14, s14, 4
	v_cmp_eq_u32_e32 vcc, 0, v149
	v_add_u32_e32 v147, 4, v147
	s_or_b64 s[4:5], vcc, s[4:5]
	s_waitcnt vmcnt(0) lgkmcnt(0)
	v_fmac_f32_e32 v148, v150, v151
	s_andn2_b64 exec, exec, s[4:5]
	s_cbranch_execnz .LBB63_313
; %bb.314:
	s_or_b64 exec, exec, s[4:5]
.LBB63_315:
	s_or_b64 exec, exec, s[12:13]
	v_mov_b32_e32 v147, 0
	ds_read_b32 v147, v147 offset:124
	s_waitcnt lgkmcnt(0)
	v_mul_f32_e32 v147, v148, v147
	buffer_store_dword v147, off, s[0:3], 0 offset:124
.LBB63_316:
	s_or_b64 exec, exec, s[10:11]
	buffer_load_dword v147, off, s[0:3], 0 offset:120
	v_cmp_lt_u32_e64 s[4:5], 30, v0
	s_waitcnt vmcnt(0)
	ds_write_b32 v130, v147
	s_waitcnt lgkmcnt(0)
	; wave barrier
	s_waitcnt lgkmcnt(0)
	s_and_saveexec_b64 s[10:11], s[4:5]
	s_cbranch_execz .LBB63_326
; %bb.317:
	s_andn2_b64 vcc, exec, s[8:9]
	s_cbranch_vccnz .LBB63_319
; %bb.318:
	buffer_load_dword v147, v131, s[0:3], 0 offen
	ds_read_b32 v148, v130
	s_waitcnt vmcnt(0) lgkmcnt(0)
	v_mul_f32_e32 v147, v147, v148
	s_cbranch_execz .LBB63_320
	s_branch .LBB63_321
.LBB63_319:
                                        ; implicit-def: $vgpr147
.LBB63_320:
	ds_read_b32 v147, v130
.LBB63_321:
	s_and_saveexec_b64 s[12:13], s[6:7]
	s_cbranch_execz .LBB63_325
; %bb.322:
	v_mov_b32_e32 v148, 0
	v_add_u32_e32 v148, 0x7c, v148
	v_subrev_u32_e32 v149, 31, v0
	s_movk_i32 s14, 0x17c
	s_mov_b64 s[6:7], 0
.LBB63_323:                             ; =>This Inner Loop Header: Depth=1
	buffer_load_dword v150, v148, s[0:3], 0 offen
	v_mov_b32_e32 v151, s14
	ds_read_b32 v151, v151
	v_add_u32_e32 v149, -1, v149
	s_add_i32 s14, s14, 4
	v_cmp_eq_u32_e32 vcc, 0, v149
	v_add_u32_e32 v148, 4, v148
	s_or_b64 s[6:7], vcc, s[6:7]
	s_waitcnt vmcnt(0) lgkmcnt(0)
	v_fmac_f32_e32 v147, v150, v151
	s_andn2_b64 exec, exec, s[6:7]
	s_cbranch_execnz .LBB63_323
; %bb.324:
	s_or_b64 exec, exec, s[6:7]
.LBB63_325:
	s_or_b64 exec, exec, s[12:13]
	v_mov_b32_e32 v148, 0
	ds_read_b32 v148, v148 offset:120
	s_waitcnt lgkmcnt(0)
	v_mul_f32_e32 v147, v147, v148
	buffer_store_dword v147, off, s[0:3], 0 offset:120
.LBB63_326:
	s_or_b64 exec, exec, s[10:11]
	buffer_load_dword v147, off, s[0:3], 0 offset:116
	v_cmp_lt_u32_e64 s[6:7], 29, v0
	s_waitcnt vmcnt(0)
	ds_write_b32 v130, v147
	s_waitcnt lgkmcnt(0)
	; wave barrier
	s_waitcnt lgkmcnt(0)
	s_and_saveexec_b64 s[10:11], s[6:7]
	s_cbranch_execz .LBB63_336
; %bb.327:
	s_andn2_b64 vcc, exec, s[8:9]
	s_cbranch_vccnz .LBB63_329
; %bb.328:
	buffer_load_dword v147, v131, s[0:3], 0 offen
	ds_read_b32 v148, v130
	s_waitcnt vmcnt(0) lgkmcnt(0)
	v_mul_f32_e32 v147, v147, v148
	s_cbranch_execz .LBB63_330
	s_branch .LBB63_331
.LBB63_329:
                                        ; implicit-def: $vgpr147
.LBB63_330:
	ds_read_b32 v147, v130
.LBB63_331:
	s_and_saveexec_b64 s[12:13], s[4:5]
	s_cbranch_execz .LBB63_335
; %bb.332:
	v_subrev_u32_e32 v148, 30, v0
	s_movk_i32 s14, 0x178
	s_mov_b64 s[4:5], 0
.LBB63_333:                             ; =>This Inner Loop Header: Depth=1
	buffer_load_dword v149, v146, s[0:3], 0 offen
	v_mov_b32_e32 v150, s14
	ds_read_b32 v150, v150
	v_add_u32_e32 v148, -1, v148
	s_add_i32 s14, s14, 4
	v_cmp_eq_u32_e32 vcc, 0, v148
	v_add_u32_e32 v146, 4, v146
	s_or_b64 s[4:5], vcc, s[4:5]
	s_waitcnt vmcnt(0) lgkmcnt(0)
	v_fmac_f32_e32 v147, v149, v150
	s_andn2_b64 exec, exec, s[4:5]
	s_cbranch_execnz .LBB63_333
; %bb.334:
	s_or_b64 exec, exec, s[4:5]
.LBB63_335:
	s_or_b64 exec, exec, s[12:13]
	v_mov_b32_e32 v146, 0
	ds_read_b32 v146, v146 offset:116
	s_waitcnt lgkmcnt(0)
	v_mul_f32_e32 v146, v147, v146
	buffer_store_dword v146, off, s[0:3], 0 offset:116
.LBB63_336:
	s_or_b64 exec, exec, s[10:11]
	buffer_load_dword v146, off, s[0:3], 0 offset:112
	v_cmp_lt_u32_e64 s[4:5], 28, v0
	s_waitcnt vmcnt(0)
	ds_write_b32 v130, v146
	s_waitcnt lgkmcnt(0)
	; wave barrier
	s_waitcnt lgkmcnt(0)
	s_and_saveexec_b64 s[10:11], s[4:5]
	s_cbranch_execz .LBB63_346
; %bb.337:
	s_andn2_b64 vcc, exec, s[8:9]
	s_cbranch_vccnz .LBB63_339
; %bb.338:
	buffer_load_dword v146, v131, s[0:3], 0 offen
	ds_read_b32 v147, v130
	s_waitcnt vmcnt(0) lgkmcnt(0)
	v_mul_f32_e32 v146, v146, v147
	s_cbranch_execz .LBB63_340
	s_branch .LBB63_341
.LBB63_339:
                                        ; implicit-def: $vgpr146
.LBB63_340:
	ds_read_b32 v146, v130
.LBB63_341:
	s_and_saveexec_b64 s[12:13], s[6:7]
	s_cbranch_execz .LBB63_345
; %bb.342:
	v_mov_b32_e32 v147, 0
	v_add_u32_e32 v147, 0x74, v147
	v_subrev_u32_e32 v148, 29, v0
	s_movk_i32 s14, 0x174
	s_mov_b64 s[6:7], 0
.LBB63_343:                             ; =>This Inner Loop Header: Depth=1
	buffer_load_dword v149, v147, s[0:3], 0 offen
	v_mov_b32_e32 v150, s14
	ds_read_b32 v150, v150
	v_add_u32_e32 v148, -1, v148
	s_add_i32 s14, s14, 4
	v_cmp_eq_u32_e32 vcc, 0, v148
	v_add_u32_e32 v147, 4, v147
	s_or_b64 s[6:7], vcc, s[6:7]
	s_waitcnt vmcnt(0) lgkmcnt(0)
	v_fmac_f32_e32 v146, v149, v150
	s_andn2_b64 exec, exec, s[6:7]
	s_cbranch_execnz .LBB63_343
; %bb.344:
	s_or_b64 exec, exec, s[6:7]
.LBB63_345:
	s_or_b64 exec, exec, s[12:13]
	v_mov_b32_e32 v147, 0
	ds_read_b32 v147, v147 offset:112
	s_waitcnt lgkmcnt(0)
	v_mul_f32_e32 v146, v146, v147
	buffer_store_dword v146, off, s[0:3], 0 offset:112
.LBB63_346:
	s_or_b64 exec, exec, s[10:11]
	buffer_load_dword v146, off, s[0:3], 0 offset:108
	v_cmp_lt_u32_e64 s[6:7], 27, v0
	s_waitcnt vmcnt(0)
	ds_write_b32 v130, v146
	s_waitcnt lgkmcnt(0)
	; wave barrier
	s_waitcnt lgkmcnt(0)
	s_and_saveexec_b64 s[10:11], s[6:7]
	s_cbranch_execz .LBB63_356
; %bb.347:
	s_andn2_b64 vcc, exec, s[8:9]
	s_cbranch_vccnz .LBB63_349
; %bb.348:
	buffer_load_dword v146, v131, s[0:3], 0 offen
	ds_read_b32 v147, v130
	s_waitcnt vmcnt(0) lgkmcnt(0)
	v_mul_f32_e32 v146, v146, v147
	s_cbranch_execz .LBB63_350
	s_branch .LBB63_351
.LBB63_349:
                                        ; implicit-def: $vgpr146
.LBB63_350:
	ds_read_b32 v146, v130
.LBB63_351:
	s_and_saveexec_b64 s[12:13], s[4:5]
	s_cbranch_execz .LBB63_355
; %bb.352:
	v_subrev_u32_e32 v147, 28, v0
	s_movk_i32 s14, 0x170
	s_mov_b64 s[4:5], 0
.LBB63_353:                             ; =>This Inner Loop Header: Depth=1
	buffer_load_dword v148, v145, s[0:3], 0 offen
	v_mov_b32_e32 v149, s14
	ds_read_b32 v149, v149
	v_add_u32_e32 v147, -1, v147
	s_add_i32 s14, s14, 4
	v_cmp_eq_u32_e32 vcc, 0, v147
	v_add_u32_e32 v145, 4, v145
	s_or_b64 s[4:5], vcc, s[4:5]
	s_waitcnt vmcnt(0) lgkmcnt(0)
	v_fmac_f32_e32 v146, v148, v149
	s_andn2_b64 exec, exec, s[4:5]
	s_cbranch_execnz .LBB63_353
; %bb.354:
	s_or_b64 exec, exec, s[4:5]
.LBB63_355:
	s_or_b64 exec, exec, s[12:13]
	v_mov_b32_e32 v145, 0
	ds_read_b32 v145, v145 offset:108
	s_waitcnt lgkmcnt(0)
	v_mul_f32_e32 v145, v146, v145
	buffer_store_dword v145, off, s[0:3], 0 offset:108
.LBB63_356:
	s_or_b64 exec, exec, s[10:11]
	buffer_load_dword v145, off, s[0:3], 0 offset:104
	v_cmp_lt_u32_e64 s[4:5], 26, v0
	s_waitcnt vmcnt(0)
	ds_write_b32 v130, v145
	s_waitcnt lgkmcnt(0)
	; wave barrier
	s_waitcnt lgkmcnt(0)
	s_and_saveexec_b64 s[10:11], s[4:5]
	s_cbranch_execz .LBB63_366
; %bb.357:
	s_andn2_b64 vcc, exec, s[8:9]
	s_cbranch_vccnz .LBB63_359
; %bb.358:
	buffer_load_dword v145, v131, s[0:3], 0 offen
	ds_read_b32 v146, v130
	s_waitcnt vmcnt(0) lgkmcnt(0)
	v_mul_f32_e32 v145, v145, v146
	s_cbranch_execz .LBB63_360
	s_branch .LBB63_361
.LBB63_359:
                                        ; implicit-def: $vgpr145
.LBB63_360:
	ds_read_b32 v145, v130
.LBB63_361:
	s_and_saveexec_b64 s[12:13], s[6:7]
	s_cbranch_execz .LBB63_365
; %bb.362:
	v_mov_b32_e32 v146, 0
	v_add_u32_e32 v146, 0x6c, v146
	v_subrev_u32_e32 v147, 27, v0
	s_movk_i32 s14, 0x16c
	s_mov_b64 s[6:7], 0
.LBB63_363:                             ; =>This Inner Loop Header: Depth=1
	buffer_load_dword v148, v146, s[0:3], 0 offen
	v_mov_b32_e32 v149, s14
	ds_read_b32 v149, v149
	v_add_u32_e32 v147, -1, v147
	s_add_i32 s14, s14, 4
	v_cmp_eq_u32_e32 vcc, 0, v147
	v_add_u32_e32 v146, 4, v146
	s_or_b64 s[6:7], vcc, s[6:7]
	s_waitcnt vmcnt(0) lgkmcnt(0)
	v_fmac_f32_e32 v145, v148, v149
	s_andn2_b64 exec, exec, s[6:7]
	s_cbranch_execnz .LBB63_363
; %bb.364:
	s_or_b64 exec, exec, s[6:7]
.LBB63_365:
	s_or_b64 exec, exec, s[12:13]
	v_mov_b32_e32 v146, 0
	ds_read_b32 v146, v146 offset:104
	s_waitcnt lgkmcnt(0)
	v_mul_f32_e32 v145, v145, v146
	buffer_store_dword v145, off, s[0:3], 0 offset:104
.LBB63_366:
	s_or_b64 exec, exec, s[10:11]
	buffer_load_dword v145, off, s[0:3], 0 offset:100
	v_cmp_lt_u32_e64 s[6:7], 25, v0
	s_waitcnt vmcnt(0)
	ds_write_b32 v130, v145
	s_waitcnt lgkmcnt(0)
	; wave barrier
	s_waitcnt lgkmcnt(0)
	s_and_saveexec_b64 s[10:11], s[6:7]
	s_cbranch_execz .LBB63_376
; %bb.367:
	s_andn2_b64 vcc, exec, s[8:9]
	s_cbranch_vccnz .LBB63_369
; %bb.368:
	buffer_load_dword v145, v131, s[0:3], 0 offen
	ds_read_b32 v146, v130
	s_waitcnt vmcnt(0) lgkmcnt(0)
	v_mul_f32_e32 v145, v145, v146
	s_cbranch_execz .LBB63_370
	s_branch .LBB63_371
.LBB63_369:
                                        ; implicit-def: $vgpr145
.LBB63_370:
	ds_read_b32 v145, v130
.LBB63_371:
	s_and_saveexec_b64 s[12:13], s[4:5]
	s_cbranch_execz .LBB63_375
; %bb.372:
	v_subrev_u32_e32 v146, 26, v0
	s_movk_i32 s14, 0x168
	s_mov_b64 s[4:5], 0
.LBB63_373:                             ; =>This Inner Loop Header: Depth=1
	buffer_load_dword v147, v144, s[0:3], 0 offen
	v_mov_b32_e32 v148, s14
	ds_read_b32 v148, v148
	v_add_u32_e32 v146, -1, v146
	s_add_i32 s14, s14, 4
	v_cmp_eq_u32_e32 vcc, 0, v146
	v_add_u32_e32 v144, 4, v144
	s_or_b64 s[4:5], vcc, s[4:5]
	s_waitcnt vmcnt(0) lgkmcnt(0)
	v_fmac_f32_e32 v145, v147, v148
	s_andn2_b64 exec, exec, s[4:5]
	s_cbranch_execnz .LBB63_373
; %bb.374:
	s_or_b64 exec, exec, s[4:5]
.LBB63_375:
	s_or_b64 exec, exec, s[12:13]
	v_mov_b32_e32 v144, 0
	ds_read_b32 v144, v144 offset:100
	s_waitcnt lgkmcnt(0)
	v_mul_f32_e32 v144, v145, v144
	buffer_store_dword v144, off, s[0:3], 0 offset:100
.LBB63_376:
	s_or_b64 exec, exec, s[10:11]
	buffer_load_dword v144, off, s[0:3], 0 offset:96
	v_cmp_lt_u32_e64 s[4:5], 24, v0
	s_waitcnt vmcnt(0)
	ds_write_b32 v130, v144
	s_waitcnt lgkmcnt(0)
	; wave barrier
	s_waitcnt lgkmcnt(0)
	s_and_saveexec_b64 s[10:11], s[4:5]
	s_cbranch_execz .LBB63_386
; %bb.377:
	s_andn2_b64 vcc, exec, s[8:9]
	s_cbranch_vccnz .LBB63_379
; %bb.378:
	buffer_load_dword v144, v131, s[0:3], 0 offen
	ds_read_b32 v145, v130
	s_waitcnt vmcnt(0) lgkmcnt(0)
	v_mul_f32_e32 v144, v144, v145
	s_cbranch_execz .LBB63_380
	s_branch .LBB63_381
.LBB63_379:
                                        ; implicit-def: $vgpr144
.LBB63_380:
	ds_read_b32 v144, v130
.LBB63_381:
	s_and_saveexec_b64 s[12:13], s[6:7]
	s_cbranch_execz .LBB63_385
; %bb.382:
	v_mov_b32_e32 v145, 0
	v_add_u32_e32 v145, 0x64, v145
	v_subrev_u32_e32 v146, 25, v0
	s_movk_i32 s14, 0x164
	s_mov_b64 s[6:7], 0
.LBB63_383:                             ; =>This Inner Loop Header: Depth=1
	buffer_load_dword v147, v145, s[0:3], 0 offen
	v_mov_b32_e32 v148, s14
	ds_read_b32 v148, v148
	v_add_u32_e32 v146, -1, v146
	s_add_i32 s14, s14, 4
	v_cmp_eq_u32_e32 vcc, 0, v146
	v_add_u32_e32 v145, 4, v145
	s_or_b64 s[6:7], vcc, s[6:7]
	s_waitcnt vmcnt(0) lgkmcnt(0)
	v_fmac_f32_e32 v144, v147, v148
	s_andn2_b64 exec, exec, s[6:7]
	s_cbranch_execnz .LBB63_383
; %bb.384:
	s_or_b64 exec, exec, s[6:7]
.LBB63_385:
	s_or_b64 exec, exec, s[12:13]
	v_mov_b32_e32 v145, 0
	ds_read_b32 v145, v145 offset:96
	s_waitcnt lgkmcnt(0)
	v_mul_f32_e32 v144, v144, v145
	buffer_store_dword v144, off, s[0:3], 0 offset:96
.LBB63_386:
	s_or_b64 exec, exec, s[10:11]
	buffer_load_dword v144, off, s[0:3], 0 offset:92
	v_cmp_lt_u32_e64 s[6:7], 23, v0
	s_waitcnt vmcnt(0)
	ds_write_b32 v130, v144
	s_waitcnt lgkmcnt(0)
	; wave barrier
	s_waitcnt lgkmcnt(0)
	s_and_saveexec_b64 s[10:11], s[6:7]
	s_cbranch_execz .LBB63_396
; %bb.387:
	s_andn2_b64 vcc, exec, s[8:9]
	s_cbranch_vccnz .LBB63_389
; %bb.388:
	buffer_load_dword v144, v131, s[0:3], 0 offen
	ds_read_b32 v145, v130
	s_waitcnt vmcnt(0) lgkmcnt(0)
	v_mul_f32_e32 v144, v144, v145
	s_cbranch_execz .LBB63_390
	s_branch .LBB63_391
.LBB63_389:
                                        ; implicit-def: $vgpr144
.LBB63_390:
	ds_read_b32 v144, v130
.LBB63_391:
	s_and_saveexec_b64 s[12:13], s[4:5]
	s_cbranch_execz .LBB63_395
; %bb.392:
	v_subrev_u32_e32 v145, 24, v0
	s_movk_i32 s14, 0x160
	s_mov_b64 s[4:5], 0
.LBB63_393:                             ; =>This Inner Loop Header: Depth=1
	buffer_load_dword v146, v143, s[0:3], 0 offen
	v_mov_b32_e32 v147, s14
	ds_read_b32 v147, v147
	v_add_u32_e32 v145, -1, v145
	s_add_i32 s14, s14, 4
	v_cmp_eq_u32_e32 vcc, 0, v145
	v_add_u32_e32 v143, 4, v143
	s_or_b64 s[4:5], vcc, s[4:5]
	s_waitcnt vmcnt(0) lgkmcnt(0)
	v_fmac_f32_e32 v144, v146, v147
	s_andn2_b64 exec, exec, s[4:5]
	s_cbranch_execnz .LBB63_393
; %bb.394:
	s_or_b64 exec, exec, s[4:5]
.LBB63_395:
	s_or_b64 exec, exec, s[12:13]
	v_mov_b32_e32 v143, 0
	ds_read_b32 v143, v143 offset:92
	s_waitcnt lgkmcnt(0)
	v_mul_f32_e32 v143, v144, v143
	buffer_store_dword v143, off, s[0:3], 0 offset:92
.LBB63_396:
	s_or_b64 exec, exec, s[10:11]
	buffer_load_dword v143, off, s[0:3], 0 offset:88
	v_cmp_lt_u32_e64 s[4:5], 22, v0
	s_waitcnt vmcnt(0)
	ds_write_b32 v130, v143
	s_waitcnt lgkmcnt(0)
	; wave barrier
	s_waitcnt lgkmcnt(0)
	s_and_saveexec_b64 s[10:11], s[4:5]
	s_cbranch_execz .LBB63_406
; %bb.397:
	s_andn2_b64 vcc, exec, s[8:9]
	s_cbranch_vccnz .LBB63_399
; %bb.398:
	buffer_load_dword v143, v131, s[0:3], 0 offen
	ds_read_b32 v144, v130
	s_waitcnt vmcnt(0) lgkmcnt(0)
	v_mul_f32_e32 v143, v143, v144
	s_cbranch_execz .LBB63_400
	s_branch .LBB63_401
.LBB63_399:
                                        ; implicit-def: $vgpr143
.LBB63_400:
	ds_read_b32 v143, v130
.LBB63_401:
	s_and_saveexec_b64 s[12:13], s[6:7]
	s_cbranch_execz .LBB63_405
; %bb.402:
	v_mov_b32_e32 v144, 0
	v_add_u32_e32 v144, 0x5c, v144
	v_subrev_u32_e32 v145, 23, v0
	s_movk_i32 s14, 0x15c
	s_mov_b64 s[6:7], 0
.LBB63_403:                             ; =>This Inner Loop Header: Depth=1
	buffer_load_dword v146, v144, s[0:3], 0 offen
	v_mov_b32_e32 v147, s14
	ds_read_b32 v147, v147
	v_add_u32_e32 v145, -1, v145
	s_add_i32 s14, s14, 4
	v_cmp_eq_u32_e32 vcc, 0, v145
	v_add_u32_e32 v144, 4, v144
	s_or_b64 s[6:7], vcc, s[6:7]
	s_waitcnt vmcnt(0) lgkmcnt(0)
	v_fmac_f32_e32 v143, v146, v147
	s_andn2_b64 exec, exec, s[6:7]
	s_cbranch_execnz .LBB63_403
; %bb.404:
	s_or_b64 exec, exec, s[6:7]
.LBB63_405:
	s_or_b64 exec, exec, s[12:13]
	v_mov_b32_e32 v144, 0
	ds_read_b32 v144, v144 offset:88
	s_waitcnt lgkmcnt(0)
	v_mul_f32_e32 v143, v143, v144
	buffer_store_dword v143, off, s[0:3], 0 offset:88
.LBB63_406:
	s_or_b64 exec, exec, s[10:11]
	buffer_load_dword v143, off, s[0:3], 0 offset:84
	v_cmp_lt_u32_e64 s[6:7], 21, v0
	s_waitcnt vmcnt(0)
	ds_write_b32 v130, v143
	s_waitcnt lgkmcnt(0)
	; wave barrier
	s_waitcnt lgkmcnt(0)
	s_and_saveexec_b64 s[10:11], s[6:7]
	s_cbranch_execz .LBB63_416
; %bb.407:
	s_andn2_b64 vcc, exec, s[8:9]
	s_cbranch_vccnz .LBB63_409
; %bb.408:
	buffer_load_dword v143, v131, s[0:3], 0 offen
	ds_read_b32 v144, v130
	s_waitcnt vmcnt(0) lgkmcnt(0)
	v_mul_f32_e32 v143, v143, v144
	s_cbranch_execz .LBB63_410
	s_branch .LBB63_411
.LBB63_409:
                                        ; implicit-def: $vgpr143
.LBB63_410:
	ds_read_b32 v143, v130
.LBB63_411:
	s_and_saveexec_b64 s[12:13], s[4:5]
	s_cbranch_execz .LBB63_415
; %bb.412:
	v_subrev_u32_e32 v144, 22, v0
	s_movk_i32 s14, 0x158
	s_mov_b64 s[4:5], 0
.LBB63_413:                             ; =>This Inner Loop Header: Depth=1
	buffer_load_dword v145, v142, s[0:3], 0 offen
	v_mov_b32_e32 v146, s14
	ds_read_b32 v146, v146
	v_add_u32_e32 v144, -1, v144
	s_add_i32 s14, s14, 4
	v_cmp_eq_u32_e32 vcc, 0, v144
	v_add_u32_e32 v142, 4, v142
	s_or_b64 s[4:5], vcc, s[4:5]
	s_waitcnt vmcnt(0) lgkmcnt(0)
	v_fmac_f32_e32 v143, v145, v146
	s_andn2_b64 exec, exec, s[4:5]
	s_cbranch_execnz .LBB63_413
; %bb.414:
	s_or_b64 exec, exec, s[4:5]
.LBB63_415:
	s_or_b64 exec, exec, s[12:13]
	v_mov_b32_e32 v142, 0
	ds_read_b32 v142, v142 offset:84
	s_waitcnt lgkmcnt(0)
	v_mul_f32_e32 v142, v143, v142
	buffer_store_dword v142, off, s[0:3], 0 offset:84
.LBB63_416:
	s_or_b64 exec, exec, s[10:11]
	buffer_load_dword v142, off, s[0:3], 0 offset:80
	v_cmp_lt_u32_e64 s[4:5], 20, v0
	s_waitcnt vmcnt(0)
	ds_write_b32 v130, v142
	s_waitcnt lgkmcnt(0)
	; wave barrier
	s_waitcnt lgkmcnt(0)
	s_and_saveexec_b64 s[10:11], s[4:5]
	s_cbranch_execz .LBB63_426
; %bb.417:
	s_andn2_b64 vcc, exec, s[8:9]
	s_cbranch_vccnz .LBB63_419
; %bb.418:
	buffer_load_dword v142, v131, s[0:3], 0 offen
	ds_read_b32 v143, v130
	s_waitcnt vmcnt(0) lgkmcnt(0)
	v_mul_f32_e32 v142, v142, v143
	s_cbranch_execz .LBB63_420
	s_branch .LBB63_421
.LBB63_419:
                                        ; implicit-def: $vgpr142
.LBB63_420:
	ds_read_b32 v142, v130
.LBB63_421:
	s_and_saveexec_b64 s[12:13], s[6:7]
	s_cbranch_execz .LBB63_425
; %bb.422:
	v_mov_b32_e32 v143, 0
	v_add_u32_e32 v143, 0x54, v143
	v_subrev_u32_e32 v144, 21, v0
	s_movk_i32 s14, 0x154
	s_mov_b64 s[6:7], 0
.LBB63_423:                             ; =>This Inner Loop Header: Depth=1
	buffer_load_dword v145, v143, s[0:3], 0 offen
	v_mov_b32_e32 v146, s14
	ds_read_b32 v146, v146
	v_add_u32_e32 v144, -1, v144
	s_add_i32 s14, s14, 4
	v_cmp_eq_u32_e32 vcc, 0, v144
	v_add_u32_e32 v143, 4, v143
	s_or_b64 s[6:7], vcc, s[6:7]
	s_waitcnt vmcnt(0) lgkmcnt(0)
	v_fmac_f32_e32 v142, v145, v146
	s_andn2_b64 exec, exec, s[6:7]
	s_cbranch_execnz .LBB63_423
; %bb.424:
	s_or_b64 exec, exec, s[6:7]
.LBB63_425:
	s_or_b64 exec, exec, s[12:13]
	v_mov_b32_e32 v143, 0
	ds_read_b32 v143, v143 offset:80
	s_waitcnt lgkmcnt(0)
	v_mul_f32_e32 v142, v142, v143
	buffer_store_dword v142, off, s[0:3], 0 offset:80
.LBB63_426:
	s_or_b64 exec, exec, s[10:11]
	buffer_load_dword v142, off, s[0:3], 0 offset:76
	v_cmp_lt_u32_e64 s[6:7], 19, v0
	s_waitcnt vmcnt(0)
	ds_write_b32 v130, v142
	s_waitcnt lgkmcnt(0)
	; wave barrier
	s_waitcnt lgkmcnt(0)
	s_and_saveexec_b64 s[10:11], s[6:7]
	s_cbranch_execz .LBB63_436
; %bb.427:
	s_andn2_b64 vcc, exec, s[8:9]
	s_cbranch_vccnz .LBB63_429
; %bb.428:
	buffer_load_dword v142, v131, s[0:3], 0 offen
	ds_read_b32 v143, v130
	s_waitcnt vmcnt(0) lgkmcnt(0)
	v_mul_f32_e32 v142, v142, v143
	s_cbranch_execz .LBB63_430
	s_branch .LBB63_431
.LBB63_429:
                                        ; implicit-def: $vgpr142
.LBB63_430:
	ds_read_b32 v142, v130
.LBB63_431:
	s_and_saveexec_b64 s[12:13], s[4:5]
	s_cbranch_execz .LBB63_435
; %bb.432:
	v_subrev_u32_e32 v143, 20, v0
	s_movk_i32 s14, 0x150
	s_mov_b64 s[4:5], 0
.LBB63_433:                             ; =>This Inner Loop Header: Depth=1
	buffer_load_dword v144, v141, s[0:3], 0 offen
	v_mov_b32_e32 v145, s14
	ds_read_b32 v145, v145
	v_add_u32_e32 v143, -1, v143
	s_add_i32 s14, s14, 4
	v_cmp_eq_u32_e32 vcc, 0, v143
	v_add_u32_e32 v141, 4, v141
	s_or_b64 s[4:5], vcc, s[4:5]
	s_waitcnt vmcnt(0) lgkmcnt(0)
	v_fmac_f32_e32 v142, v144, v145
	s_andn2_b64 exec, exec, s[4:5]
	s_cbranch_execnz .LBB63_433
; %bb.434:
	s_or_b64 exec, exec, s[4:5]
.LBB63_435:
	s_or_b64 exec, exec, s[12:13]
	v_mov_b32_e32 v141, 0
	ds_read_b32 v141, v141 offset:76
	s_waitcnt lgkmcnt(0)
	v_mul_f32_e32 v141, v142, v141
	buffer_store_dword v141, off, s[0:3], 0 offset:76
.LBB63_436:
	s_or_b64 exec, exec, s[10:11]
	buffer_load_dword v141, off, s[0:3], 0 offset:72
	v_cmp_lt_u32_e64 s[4:5], 18, v0
	s_waitcnt vmcnt(0)
	ds_write_b32 v130, v141
	s_waitcnt lgkmcnt(0)
	; wave barrier
	s_waitcnt lgkmcnt(0)
	s_and_saveexec_b64 s[10:11], s[4:5]
	s_cbranch_execz .LBB63_446
; %bb.437:
	s_andn2_b64 vcc, exec, s[8:9]
	s_cbranch_vccnz .LBB63_439
; %bb.438:
	buffer_load_dword v141, v131, s[0:3], 0 offen
	ds_read_b32 v142, v130
	s_waitcnt vmcnt(0) lgkmcnt(0)
	v_mul_f32_e32 v141, v141, v142
	s_cbranch_execz .LBB63_440
	s_branch .LBB63_441
.LBB63_439:
                                        ; implicit-def: $vgpr141
.LBB63_440:
	ds_read_b32 v141, v130
.LBB63_441:
	s_and_saveexec_b64 s[12:13], s[6:7]
	s_cbranch_execz .LBB63_445
; %bb.442:
	v_mov_b32_e32 v142, 0
	v_add_u32_e32 v142, 0x4c, v142
	v_subrev_u32_e32 v143, 19, v0
	s_movk_i32 s14, 0x14c
	s_mov_b64 s[6:7], 0
.LBB63_443:                             ; =>This Inner Loop Header: Depth=1
	buffer_load_dword v144, v142, s[0:3], 0 offen
	v_mov_b32_e32 v145, s14
	ds_read_b32 v145, v145
	v_add_u32_e32 v143, -1, v143
	s_add_i32 s14, s14, 4
	v_cmp_eq_u32_e32 vcc, 0, v143
	v_add_u32_e32 v142, 4, v142
	s_or_b64 s[6:7], vcc, s[6:7]
	s_waitcnt vmcnt(0) lgkmcnt(0)
	v_fmac_f32_e32 v141, v144, v145
	s_andn2_b64 exec, exec, s[6:7]
	s_cbranch_execnz .LBB63_443
; %bb.444:
	s_or_b64 exec, exec, s[6:7]
.LBB63_445:
	s_or_b64 exec, exec, s[12:13]
	v_mov_b32_e32 v142, 0
	ds_read_b32 v142, v142 offset:72
	s_waitcnt lgkmcnt(0)
	v_mul_f32_e32 v141, v141, v142
	buffer_store_dword v141, off, s[0:3], 0 offset:72
.LBB63_446:
	s_or_b64 exec, exec, s[10:11]
	buffer_load_dword v141, off, s[0:3], 0 offset:68
	v_cmp_lt_u32_e64 s[6:7], 17, v0
	s_waitcnt vmcnt(0)
	ds_write_b32 v130, v141
	s_waitcnt lgkmcnt(0)
	; wave barrier
	s_waitcnt lgkmcnt(0)
	s_and_saveexec_b64 s[10:11], s[6:7]
	s_cbranch_execz .LBB63_456
; %bb.447:
	s_andn2_b64 vcc, exec, s[8:9]
	s_cbranch_vccnz .LBB63_449
; %bb.448:
	buffer_load_dword v141, v131, s[0:3], 0 offen
	ds_read_b32 v142, v130
	s_waitcnt vmcnt(0) lgkmcnt(0)
	v_mul_f32_e32 v141, v141, v142
	s_cbranch_execz .LBB63_450
	s_branch .LBB63_451
.LBB63_449:
                                        ; implicit-def: $vgpr141
.LBB63_450:
	ds_read_b32 v141, v130
.LBB63_451:
	s_and_saveexec_b64 s[12:13], s[4:5]
	s_cbranch_execz .LBB63_455
; %bb.452:
	v_subrev_u32_e32 v142, 18, v0
	s_movk_i32 s14, 0x148
	s_mov_b64 s[4:5], 0
.LBB63_453:                             ; =>This Inner Loop Header: Depth=1
	buffer_load_dword v143, v140, s[0:3], 0 offen
	v_mov_b32_e32 v144, s14
	ds_read_b32 v144, v144
	v_add_u32_e32 v142, -1, v142
	s_add_i32 s14, s14, 4
	v_cmp_eq_u32_e32 vcc, 0, v142
	v_add_u32_e32 v140, 4, v140
	s_or_b64 s[4:5], vcc, s[4:5]
	s_waitcnt vmcnt(0) lgkmcnt(0)
	v_fmac_f32_e32 v141, v143, v144
	s_andn2_b64 exec, exec, s[4:5]
	s_cbranch_execnz .LBB63_453
; %bb.454:
	s_or_b64 exec, exec, s[4:5]
.LBB63_455:
	s_or_b64 exec, exec, s[12:13]
	v_mov_b32_e32 v140, 0
	ds_read_b32 v140, v140 offset:68
	s_waitcnt lgkmcnt(0)
	v_mul_f32_e32 v140, v141, v140
	buffer_store_dword v140, off, s[0:3], 0 offset:68
.LBB63_456:
	s_or_b64 exec, exec, s[10:11]
	buffer_load_dword v140, off, s[0:3], 0 offset:64
	v_cmp_lt_u32_e64 s[4:5], 16, v0
	s_waitcnt vmcnt(0)
	ds_write_b32 v130, v140
	s_waitcnt lgkmcnt(0)
	; wave barrier
	s_waitcnt lgkmcnt(0)
	s_and_saveexec_b64 s[10:11], s[4:5]
	s_cbranch_execz .LBB63_466
; %bb.457:
	s_andn2_b64 vcc, exec, s[8:9]
	s_cbranch_vccnz .LBB63_459
; %bb.458:
	buffer_load_dword v140, v131, s[0:3], 0 offen
	ds_read_b32 v141, v130
	s_waitcnt vmcnt(0) lgkmcnt(0)
	v_mul_f32_e32 v140, v140, v141
	s_cbranch_execz .LBB63_460
	s_branch .LBB63_461
.LBB63_459:
                                        ; implicit-def: $vgpr140
.LBB63_460:
	ds_read_b32 v140, v130
.LBB63_461:
	s_and_saveexec_b64 s[12:13], s[6:7]
	s_cbranch_execz .LBB63_465
; %bb.462:
	v_mov_b32_e32 v141, 0
	v_add_u32_e32 v141, 0x44, v141
	v_subrev_u32_e32 v142, 17, v0
	s_movk_i32 s14, 0x144
	s_mov_b64 s[6:7], 0
.LBB63_463:                             ; =>This Inner Loop Header: Depth=1
	buffer_load_dword v143, v141, s[0:3], 0 offen
	v_mov_b32_e32 v144, s14
	ds_read_b32 v144, v144
	v_add_u32_e32 v142, -1, v142
	s_add_i32 s14, s14, 4
	v_cmp_eq_u32_e32 vcc, 0, v142
	v_add_u32_e32 v141, 4, v141
	s_or_b64 s[6:7], vcc, s[6:7]
	s_waitcnt vmcnt(0) lgkmcnt(0)
	v_fmac_f32_e32 v140, v143, v144
	s_andn2_b64 exec, exec, s[6:7]
	s_cbranch_execnz .LBB63_463
; %bb.464:
	s_or_b64 exec, exec, s[6:7]
.LBB63_465:
	s_or_b64 exec, exec, s[12:13]
	v_mov_b32_e32 v141, 0
	ds_read_b32 v141, v141 offset:64
	s_waitcnt lgkmcnt(0)
	v_mul_f32_e32 v140, v140, v141
	buffer_store_dword v140, off, s[0:3], 0 offset:64
.LBB63_466:
	s_or_b64 exec, exec, s[10:11]
	buffer_load_dword v140, off, s[0:3], 0 offset:60
	v_cmp_lt_u32_e64 s[6:7], 15, v0
	s_waitcnt vmcnt(0)
	ds_write_b32 v130, v140
	s_waitcnt lgkmcnt(0)
	; wave barrier
	s_waitcnt lgkmcnt(0)
	s_and_saveexec_b64 s[10:11], s[6:7]
	s_cbranch_execz .LBB63_476
; %bb.467:
	s_andn2_b64 vcc, exec, s[8:9]
	s_cbranch_vccnz .LBB63_469
; %bb.468:
	buffer_load_dword v140, v131, s[0:3], 0 offen
	ds_read_b32 v141, v130
	s_waitcnt vmcnt(0) lgkmcnt(0)
	v_mul_f32_e32 v140, v140, v141
	s_cbranch_execz .LBB63_470
	s_branch .LBB63_471
.LBB63_469:
                                        ; implicit-def: $vgpr140
.LBB63_470:
	ds_read_b32 v140, v130
.LBB63_471:
	s_and_saveexec_b64 s[12:13], s[4:5]
	s_cbranch_execz .LBB63_475
; %bb.472:
	v_add_u32_e32 v141, -16, v0
	s_movk_i32 s14, 0x140
	s_mov_b64 s[4:5], 0
.LBB63_473:                             ; =>This Inner Loop Header: Depth=1
	buffer_load_dword v142, v139, s[0:3], 0 offen
	v_mov_b32_e32 v143, s14
	ds_read_b32 v143, v143
	v_add_u32_e32 v141, -1, v141
	s_add_i32 s14, s14, 4
	v_cmp_eq_u32_e32 vcc, 0, v141
	v_add_u32_e32 v139, 4, v139
	s_or_b64 s[4:5], vcc, s[4:5]
	s_waitcnt vmcnt(0) lgkmcnt(0)
	v_fmac_f32_e32 v140, v142, v143
	s_andn2_b64 exec, exec, s[4:5]
	s_cbranch_execnz .LBB63_473
; %bb.474:
	s_or_b64 exec, exec, s[4:5]
.LBB63_475:
	s_or_b64 exec, exec, s[12:13]
	v_mov_b32_e32 v139, 0
	ds_read_b32 v139, v139 offset:60
	s_waitcnt lgkmcnt(0)
	v_mul_f32_e32 v139, v140, v139
	buffer_store_dword v139, off, s[0:3], 0 offset:60
.LBB63_476:
	s_or_b64 exec, exec, s[10:11]
	buffer_load_dword v139, off, s[0:3], 0 offset:56
	v_cmp_lt_u32_e64 s[4:5], 14, v0
	s_waitcnt vmcnt(0)
	ds_write_b32 v130, v139
	s_waitcnt lgkmcnt(0)
	; wave barrier
	s_waitcnt lgkmcnt(0)
	s_and_saveexec_b64 s[10:11], s[4:5]
	s_cbranch_execz .LBB63_486
; %bb.477:
	s_andn2_b64 vcc, exec, s[8:9]
	s_cbranch_vccnz .LBB63_479
; %bb.478:
	buffer_load_dword v139, v131, s[0:3], 0 offen
	ds_read_b32 v140, v130
	s_waitcnt vmcnt(0) lgkmcnt(0)
	v_mul_f32_e32 v139, v139, v140
	s_cbranch_execz .LBB63_480
	s_branch .LBB63_481
.LBB63_479:
                                        ; implicit-def: $vgpr139
.LBB63_480:
	ds_read_b32 v139, v130
.LBB63_481:
	s_and_saveexec_b64 s[12:13], s[6:7]
	s_cbranch_execz .LBB63_485
; %bb.482:
	v_mov_b32_e32 v140, 0
	v_add_u32_e32 v140, 60, v140
	v_add_u32_e32 v141, -15, v0
	s_movk_i32 s14, 0x13c
	s_mov_b64 s[6:7], 0
.LBB63_483:                             ; =>This Inner Loop Header: Depth=1
	buffer_load_dword v142, v140, s[0:3], 0 offen
	v_mov_b32_e32 v143, s14
	ds_read_b32 v143, v143
	v_add_u32_e32 v141, -1, v141
	s_add_i32 s14, s14, 4
	v_cmp_eq_u32_e32 vcc, 0, v141
	v_add_u32_e32 v140, 4, v140
	s_or_b64 s[6:7], vcc, s[6:7]
	s_waitcnt vmcnt(0) lgkmcnt(0)
	v_fmac_f32_e32 v139, v142, v143
	s_andn2_b64 exec, exec, s[6:7]
	s_cbranch_execnz .LBB63_483
; %bb.484:
	s_or_b64 exec, exec, s[6:7]
.LBB63_485:
	s_or_b64 exec, exec, s[12:13]
	v_mov_b32_e32 v140, 0
	ds_read_b32 v140, v140 offset:56
	s_waitcnt lgkmcnt(0)
	v_mul_f32_e32 v139, v139, v140
	buffer_store_dword v139, off, s[0:3], 0 offset:56
.LBB63_486:
	s_or_b64 exec, exec, s[10:11]
	buffer_load_dword v139, off, s[0:3], 0 offset:52
	v_cmp_lt_u32_e64 s[6:7], 13, v0
	s_waitcnt vmcnt(0)
	ds_write_b32 v130, v139
	s_waitcnt lgkmcnt(0)
	; wave barrier
	s_waitcnt lgkmcnt(0)
	s_and_saveexec_b64 s[10:11], s[6:7]
	s_cbranch_execz .LBB63_496
; %bb.487:
	s_andn2_b64 vcc, exec, s[8:9]
	s_cbranch_vccnz .LBB63_489
; %bb.488:
	buffer_load_dword v139, v131, s[0:3], 0 offen
	ds_read_b32 v140, v130
	s_waitcnt vmcnt(0) lgkmcnt(0)
	v_mul_f32_e32 v139, v139, v140
	s_cbranch_execz .LBB63_490
	s_branch .LBB63_491
.LBB63_489:
                                        ; implicit-def: $vgpr139
.LBB63_490:
	ds_read_b32 v139, v130
.LBB63_491:
	s_and_saveexec_b64 s[12:13], s[4:5]
	s_cbranch_execz .LBB63_495
; %bb.492:
	v_add_u32_e32 v140, -14, v0
	s_movk_i32 s14, 0x138
	s_mov_b64 s[4:5], 0
.LBB63_493:                             ; =>This Inner Loop Header: Depth=1
	buffer_load_dword v141, v138, s[0:3], 0 offen
	v_mov_b32_e32 v142, s14
	ds_read_b32 v142, v142
	v_add_u32_e32 v140, -1, v140
	s_add_i32 s14, s14, 4
	v_cmp_eq_u32_e32 vcc, 0, v140
	v_add_u32_e32 v138, 4, v138
	s_or_b64 s[4:5], vcc, s[4:5]
	s_waitcnt vmcnt(0) lgkmcnt(0)
	v_fmac_f32_e32 v139, v141, v142
	s_andn2_b64 exec, exec, s[4:5]
	s_cbranch_execnz .LBB63_493
; %bb.494:
	s_or_b64 exec, exec, s[4:5]
.LBB63_495:
	s_or_b64 exec, exec, s[12:13]
	v_mov_b32_e32 v138, 0
	ds_read_b32 v138, v138 offset:52
	s_waitcnt lgkmcnt(0)
	v_mul_f32_e32 v138, v139, v138
	buffer_store_dword v138, off, s[0:3], 0 offset:52
.LBB63_496:
	s_or_b64 exec, exec, s[10:11]
	buffer_load_dword v138, off, s[0:3], 0 offset:48
	v_cmp_lt_u32_e64 s[4:5], 12, v0
	s_waitcnt vmcnt(0)
	ds_write_b32 v130, v138
	s_waitcnt lgkmcnt(0)
	; wave barrier
	s_waitcnt lgkmcnt(0)
	s_and_saveexec_b64 s[10:11], s[4:5]
	s_cbranch_execz .LBB63_506
; %bb.497:
	s_andn2_b64 vcc, exec, s[8:9]
	s_cbranch_vccnz .LBB63_499
; %bb.498:
	buffer_load_dword v138, v131, s[0:3], 0 offen
	ds_read_b32 v139, v130
	s_waitcnt vmcnt(0) lgkmcnt(0)
	v_mul_f32_e32 v138, v138, v139
	s_cbranch_execz .LBB63_500
	s_branch .LBB63_501
.LBB63_499:
                                        ; implicit-def: $vgpr138
.LBB63_500:
	ds_read_b32 v138, v130
.LBB63_501:
	s_and_saveexec_b64 s[12:13], s[6:7]
	s_cbranch_execz .LBB63_505
; %bb.502:
	v_mov_b32_e32 v139, 0
	v_add_u32_e32 v139, 52, v139
	v_add_u32_e32 v140, -13, v0
	s_movk_i32 s14, 0x134
	s_mov_b64 s[6:7], 0
.LBB63_503:                             ; =>This Inner Loop Header: Depth=1
	buffer_load_dword v141, v139, s[0:3], 0 offen
	v_mov_b32_e32 v142, s14
	ds_read_b32 v142, v142
	v_add_u32_e32 v140, -1, v140
	s_add_i32 s14, s14, 4
	v_cmp_eq_u32_e32 vcc, 0, v140
	v_add_u32_e32 v139, 4, v139
	s_or_b64 s[6:7], vcc, s[6:7]
	s_waitcnt vmcnt(0) lgkmcnt(0)
	v_fmac_f32_e32 v138, v141, v142
	s_andn2_b64 exec, exec, s[6:7]
	s_cbranch_execnz .LBB63_503
; %bb.504:
	s_or_b64 exec, exec, s[6:7]
.LBB63_505:
	s_or_b64 exec, exec, s[12:13]
	v_mov_b32_e32 v139, 0
	ds_read_b32 v139, v139 offset:48
	s_waitcnt lgkmcnt(0)
	v_mul_f32_e32 v138, v138, v139
	buffer_store_dword v138, off, s[0:3], 0 offset:48
.LBB63_506:
	s_or_b64 exec, exec, s[10:11]
	buffer_load_dword v138, off, s[0:3], 0 offset:44
	v_cmp_lt_u32_e64 s[6:7], 11, v0
	s_waitcnt vmcnt(0)
	ds_write_b32 v130, v138
	s_waitcnt lgkmcnt(0)
	; wave barrier
	s_waitcnt lgkmcnt(0)
	s_and_saveexec_b64 s[10:11], s[6:7]
	s_cbranch_execz .LBB63_516
; %bb.507:
	s_andn2_b64 vcc, exec, s[8:9]
	s_cbranch_vccnz .LBB63_509
; %bb.508:
	buffer_load_dword v138, v131, s[0:3], 0 offen
	ds_read_b32 v139, v130
	s_waitcnt vmcnt(0) lgkmcnt(0)
	v_mul_f32_e32 v138, v138, v139
	s_cbranch_execz .LBB63_510
	s_branch .LBB63_511
.LBB63_509:
                                        ; implicit-def: $vgpr138
.LBB63_510:
	ds_read_b32 v138, v130
.LBB63_511:
	s_and_saveexec_b64 s[12:13], s[4:5]
	s_cbranch_execz .LBB63_515
; %bb.512:
	v_add_u32_e32 v139, -12, v0
	s_movk_i32 s14, 0x130
	s_mov_b64 s[4:5], 0
.LBB63_513:                             ; =>This Inner Loop Header: Depth=1
	buffer_load_dword v140, v137, s[0:3], 0 offen
	v_mov_b32_e32 v141, s14
	ds_read_b32 v141, v141
	v_add_u32_e32 v139, -1, v139
	s_add_i32 s14, s14, 4
	v_cmp_eq_u32_e32 vcc, 0, v139
	v_add_u32_e32 v137, 4, v137
	s_or_b64 s[4:5], vcc, s[4:5]
	s_waitcnt vmcnt(0) lgkmcnt(0)
	v_fmac_f32_e32 v138, v140, v141
	s_andn2_b64 exec, exec, s[4:5]
	s_cbranch_execnz .LBB63_513
; %bb.514:
	s_or_b64 exec, exec, s[4:5]
.LBB63_515:
	s_or_b64 exec, exec, s[12:13]
	v_mov_b32_e32 v137, 0
	ds_read_b32 v137, v137 offset:44
	s_waitcnt lgkmcnt(0)
	v_mul_f32_e32 v137, v138, v137
	buffer_store_dword v137, off, s[0:3], 0 offset:44
.LBB63_516:
	s_or_b64 exec, exec, s[10:11]
	buffer_load_dword v137, off, s[0:3], 0 offset:40
	v_cmp_lt_u32_e64 s[4:5], 10, v0
	s_waitcnt vmcnt(0)
	ds_write_b32 v130, v137
	s_waitcnt lgkmcnt(0)
	; wave barrier
	s_waitcnt lgkmcnt(0)
	s_and_saveexec_b64 s[10:11], s[4:5]
	s_cbranch_execz .LBB63_526
; %bb.517:
	s_andn2_b64 vcc, exec, s[8:9]
	s_cbranch_vccnz .LBB63_519
; %bb.518:
	buffer_load_dword v137, v131, s[0:3], 0 offen
	ds_read_b32 v138, v130
	s_waitcnt vmcnt(0) lgkmcnt(0)
	v_mul_f32_e32 v137, v137, v138
	s_cbranch_execz .LBB63_520
	s_branch .LBB63_521
.LBB63_519:
                                        ; implicit-def: $vgpr137
.LBB63_520:
	ds_read_b32 v137, v130
.LBB63_521:
	s_and_saveexec_b64 s[12:13], s[6:7]
	s_cbranch_execz .LBB63_525
; %bb.522:
	v_mov_b32_e32 v138, 0
	v_add_u32_e32 v138, 44, v138
	v_add_u32_e32 v139, -11, v0
	s_movk_i32 s14, 0x12c
	s_mov_b64 s[6:7], 0
.LBB63_523:                             ; =>This Inner Loop Header: Depth=1
	buffer_load_dword v140, v138, s[0:3], 0 offen
	v_mov_b32_e32 v141, s14
	ds_read_b32 v141, v141
	v_add_u32_e32 v139, -1, v139
	s_add_i32 s14, s14, 4
	v_cmp_eq_u32_e32 vcc, 0, v139
	v_add_u32_e32 v138, 4, v138
	s_or_b64 s[6:7], vcc, s[6:7]
	s_waitcnt vmcnt(0) lgkmcnt(0)
	v_fmac_f32_e32 v137, v140, v141
	s_andn2_b64 exec, exec, s[6:7]
	s_cbranch_execnz .LBB63_523
; %bb.524:
	s_or_b64 exec, exec, s[6:7]
.LBB63_525:
	s_or_b64 exec, exec, s[12:13]
	v_mov_b32_e32 v138, 0
	ds_read_b32 v138, v138 offset:40
	s_waitcnt lgkmcnt(0)
	v_mul_f32_e32 v137, v137, v138
	buffer_store_dword v137, off, s[0:3], 0 offset:40
.LBB63_526:
	s_or_b64 exec, exec, s[10:11]
	buffer_load_dword v137, off, s[0:3], 0 offset:36
	v_cmp_lt_u32_e64 s[6:7], 9, v0
	s_waitcnt vmcnt(0)
	ds_write_b32 v130, v137
	s_waitcnt lgkmcnt(0)
	; wave barrier
	s_waitcnt lgkmcnt(0)
	s_and_saveexec_b64 s[10:11], s[6:7]
	s_cbranch_execz .LBB63_536
; %bb.527:
	s_andn2_b64 vcc, exec, s[8:9]
	s_cbranch_vccnz .LBB63_529
; %bb.528:
	buffer_load_dword v137, v131, s[0:3], 0 offen
	ds_read_b32 v138, v130
	s_waitcnt vmcnt(0) lgkmcnt(0)
	v_mul_f32_e32 v137, v137, v138
	s_cbranch_execz .LBB63_530
	s_branch .LBB63_531
.LBB63_529:
                                        ; implicit-def: $vgpr137
.LBB63_530:
	ds_read_b32 v137, v130
.LBB63_531:
	s_and_saveexec_b64 s[12:13], s[4:5]
	s_cbranch_execz .LBB63_535
; %bb.532:
	v_add_u32_e32 v138, -10, v0
	s_movk_i32 s14, 0x128
	s_mov_b64 s[4:5], 0
.LBB63_533:                             ; =>This Inner Loop Header: Depth=1
	buffer_load_dword v139, v136, s[0:3], 0 offen
	v_mov_b32_e32 v140, s14
	ds_read_b32 v140, v140
	v_add_u32_e32 v138, -1, v138
	s_add_i32 s14, s14, 4
	v_cmp_eq_u32_e32 vcc, 0, v138
	v_add_u32_e32 v136, 4, v136
	s_or_b64 s[4:5], vcc, s[4:5]
	s_waitcnt vmcnt(0) lgkmcnt(0)
	v_fmac_f32_e32 v137, v139, v140
	s_andn2_b64 exec, exec, s[4:5]
	s_cbranch_execnz .LBB63_533
; %bb.534:
	s_or_b64 exec, exec, s[4:5]
.LBB63_535:
	s_or_b64 exec, exec, s[12:13]
	v_mov_b32_e32 v136, 0
	ds_read_b32 v136, v136 offset:36
	s_waitcnt lgkmcnt(0)
	v_mul_f32_e32 v136, v137, v136
	buffer_store_dword v136, off, s[0:3], 0 offset:36
.LBB63_536:
	s_or_b64 exec, exec, s[10:11]
	buffer_load_dword v136, off, s[0:3], 0 offset:32
	v_cmp_lt_u32_e64 s[4:5], 8, v0
	s_waitcnt vmcnt(0)
	ds_write_b32 v130, v136
	s_waitcnt lgkmcnt(0)
	; wave barrier
	s_waitcnt lgkmcnt(0)
	s_and_saveexec_b64 s[10:11], s[4:5]
	s_cbranch_execz .LBB63_546
; %bb.537:
	s_andn2_b64 vcc, exec, s[8:9]
	s_cbranch_vccnz .LBB63_539
; %bb.538:
	buffer_load_dword v136, v131, s[0:3], 0 offen
	ds_read_b32 v137, v130
	s_waitcnt vmcnt(0) lgkmcnt(0)
	v_mul_f32_e32 v136, v136, v137
	s_cbranch_execz .LBB63_540
	s_branch .LBB63_541
.LBB63_539:
                                        ; implicit-def: $vgpr136
.LBB63_540:
	ds_read_b32 v136, v130
.LBB63_541:
	s_and_saveexec_b64 s[12:13], s[6:7]
	s_cbranch_execz .LBB63_545
; %bb.542:
	v_mov_b32_e32 v137, 0
	v_add_u32_e32 v137, 36, v137
	v_add_u32_e32 v138, -9, v0
	s_movk_i32 s14, 0x124
	s_mov_b64 s[6:7], 0
.LBB63_543:                             ; =>This Inner Loop Header: Depth=1
	buffer_load_dword v139, v137, s[0:3], 0 offen
	v_mov_b32_e32 v140, s14
	ds_read_b32 v140, v140
	v_add_u32_e32 v138, -1, v138
	s_add_i32 s14, s14, 4
	v_cmp_eq_u32_e32 vcc, 0, v138
	v_add_u32_e32 v137, 4, v137
	s_or_b64 s[6:7], vcc, s[6:7]
	s_waitcnt vmcnt(0) lgkmcnt(0)
	v_fmac_f32_e32 v136, v139, v140
	s_andn2_b64 exec, exec, s[6:7]
	s_cbranch_execnz .LBB63_543
; %bb.544:
	s_or_b64 exec, exec, s[6:7]
.LBB63_545:
	s_or_b64 exec, exec, s[12:13]
	v_mov_b32_e32 v137, 0
	ds_read_b32 v137, v137 offset:32
	s_waitcnt lgkmcnt(0)
	v_mul_f32_e32 v136, v136, v137
	buffer_store_dword v136, off, s[0:3], 0 offset:32
.LBB63_546:
	s_or_b64 exec, exec, s[10:11]
	buffer_load_dword v136, off, s[0:3], 0 offset:28
	v_cmp_lt_u32_e64 s[6:7], 7, v0
	s_waitcnt vmcnt(0)
	ds_write_b32 v130, v136
	s_waitcnt lgkmcnt(0)
	; wave barrier
	s_waitcnt lgkmcnt(0)
	s_and_saveexec_b64 s[10:11], s[6:7]
	s_cbranch_execz .LBB63_556
; %bb.547:
	s_andn2_b64 vcc, exec, s[8:9]
	s_cbranch_vccnz .LBB63_549
; %bb.548:
	buffer_load_dword v136, v131, s[0:3], 0 offen
	ds_read_b32 v137, v130
	s_waitcnt vmcnt(0) lgkmcnt(0)
	v_mul_f32_e32 v136, v136, v137
	s_cbranch_execz .LBB63_550
	s_branch .LBB63_551
.LBB63_549:
                                        ; implicit-def: $vgpr136
.LBB63_550:
	ds_read_b32 v136, v130
.LBB63_551:
	s_and_saveexec_b64 s[12:13], s[4:5]
	s_cbranch_execz .LBB63_555
; %bb.552:
	v_add_u32_e32 v137, -8, v0
	s_movk_i32 s14, 0x120
	s_mov_b64 s[4:5], 0
.LBB63_553:                             ; =>This Inner Loop Header: Depth=1
	buffer_load_dword v138, v135, s[0:3], 0 offen
	v_mov_b32_e32 v139, s14
	ds_read_b32 v139, v139
	v_add_u32_e32 v137, -1, v137
	s_add_i32 s14, s14, 4
	v_cmp_eq_u32_e32 vcc, 0, v137
	v_add_u32_e32 v135, 4, v135
	s_or_b64 s[4:5], vcc, s[4:5]
	s_waitcnt vmcnt(0) lgkmcnt(0)
	v_fmac_f32_e32 v136, v138, v139
	s_andn2_b64 exec, exec, s[4:5]
	s_cbranch_execnz .LBB63_553
; %bb.554:
	s_or_b64 exec, exec, s[4:5]
.LBB63_555:
	s_or_b64 exec, exec, s[12:13]
	v_mov_b32_e32 v135, 0
	ds_read_b32 v135, v135 offset:28
	s_waitcnt lgkmcnt(0)
	v_mul_f32_e32 v135, v136, v135
	buffer_store_dword v135, off, s[0:3], 0 offset:28
.LBB63_556:
	s_or_b64 exec, exec, s[10:11]
	buffer_load_dword v135, off, s[0:3], 0 offset:24
	v_cmp_lt_u32_e64 s[4:5], 6, v0
	s_waitcnt vmcnt(0)
	ds_write_b32 v130, v135
	s_waitcnt lgkmcnt(0)
	; wave barrier
	s_waitcnt lgkmcnt(0)
	s_and_saveexec_b64 s[10:11], s[4:5]
	s_cbranch_execz .LBB63_566
; %bb.557:
	s_andn2_b64 vcc, exec, s[8:9]
	s_cbranch_vccnz .LBB63_559
; %bb.558:
	buffer_load_dword v135, v131, s[0:3], 0 offen
	ds_read_b32 v136, v130
	s_waitcnt vmcnt(0) lgkmcnt(0)
	v_mul_f32_e32 v135, v135, v136
	s_cbranch_execz .LBB63_560
	s_branch .LBB63_561
.LBB63_559:
                                        ; implicit-def: $vgpr135
.LBB63_560:
	ds_read_b32 v135, v130
.LBB63_561:
	s_and_saveexec_b64 s[12:13], s[6:7]
	s_cbranch_execz .LBB63_565
; %bb.562:
	v_mov_b32_e32 v136, 0
	v_add_u32_e32 v136, 28, v136
	v_add_u32_e32 v137, -7, v0
	s_movk_i32 s14, 0x11c
	s_mov_b64 s[6:7], 0
.LBB63_563:                             ; =>This Inner Loop Header: Depth=1
	buffer_load_dword v138, v136, s[0:3], 0 offen
	v_mov_b32_e32 v139, s14
	ds_read_b32 v139, v139
	v_add_u32_e32 v137, -1, v137
	s_add_i32 s14, s14, 4
	v_cmp_eq_u32_e32 vcc, 0, v137
	v_add_u32_e32 v136, 4, v136
	s_or_b64 s[6:7], vcc, s[6:7]
	s_waitcnt vmcnt(0) lgkmcnt(0)
	v_fmac_f32_e32 v135, v138, v139
	s_andn2_b64 exec, exec, s[6:7]
	s_cbranch_execnz .LBB63_563
; %bb.564:
	s_or_b64 exec, exec, s[6:7]
.LBB63_565:
	s_or_b64 exec, exec, s[12:13]
	v_mov_b32_e32 v136, 0
	ds_read_b32 v136, v136 offset:24
	s_waitcnt lgkmcnt(0)
	v_mul_f32_e32 v135, v135, v136
	buffer_store_dword v135, off, s[0:3], 0 offset:24
.LBB63_566:
	s_or_b64 exec, exec, s[10:11]
	buffer_load_dword v135, off, s[0:3], 0 offset:20
	v_cmp_lt_u32_e64 s[6:7], 5, v0
	s_waitcnt vmcnt(0)
	ds_write_b32 v130, v135
	s_waitcnt lgkmcnt(0)
	; wave barrier
	s_waitcnt lgkmcnt(0)
	s_and_saveexec_b64 s[10:11], s[6:7]
	s_cbranch_execz .LBB63_576
; %bb.567:
	s_andn2_b64 vcc, exec, s[8:9]
	s_cbranch_vccnz .LBB63_569
; %bb.568:
	buffer_load_dword v135, v131, s[0:3], 0 offen
	ds_read_b32 v136, v130
	s_waitcnt vmcnt(0) lgkmcnt(0)
	v_mul_f32_e32 v135, v135, v136
	s_cbranch_execz .LBB63_570
	s_branch .LBB63_571
.LBB63_569:
                                        ; implicit-def: $vgpr135
.LBB63_570:
	ds_read_b32 v135, v130
.LBB63_571:
	s_and_saveexec_b64 s[12:13], s[4:5]
	s_cbranch_execz .LBB63_575
; %bb.572:
	v_add_u32_e32 v136, -6, v0
	s_movk_i32 s14, 0x118
	s_mov_b64 s[4:5], 0
.LBB63_573:                             ; =>This Inner Loop Header: Depth=1
	buffer_load_dword v137, v134, s[0:3], 0 offen
	v_mov_b32_e32 v138, s14
	ds_read_b32 v138, v138
	v_add_u32_e32 v136, -1, v136
	s_add_i32 s14, s14, 4
	v_cmp_eq_u32_e32 vcc, 0, v136
	v_add_u32_e32 v134, 4, v134
	s_or_b64 s[4:5], vcc, s[4:5]
	s_waitcnt vmcnt(0) lgkmcnt(0)
	v_fmac_f32_e32 v135, v137, v138
	s_andn2_b64 exec, exec, s[4:5]
	s_cbranch_execnz .LBB63_573
; %bb.574:
	s_or_b64 exec, exec, s[4:5]
.LBB63_575:
	s_or_b64 exec, exec, s[12:13]
	v_mov_b32_e32 v134, 0
	ds_read_b32 v134, v134 offset:20
	s_waitcnt lgkmcnt(0)
	v_mul_f32_e32 v134, v135, v134
	buffer_store_dword v134, off, s[0:3], 0 offset:20
.LBB63_576:
	s_or_b64 exec, exec, s[10:11]
	buffer_load_dword v134, off, s[0:3], 0 offset:16
	v_cmp_lt_u32_e64 s[4:5], 4, v0
	s_waitcnt vmcnt(0)
	ds_write_b32 v130, v134
	s_waitcnt lgkmcnt(0)
	; wave barrier
	s_waitcnt lgkmcnt(0)
	s_and_saveexec_b64 s[10:11], s[4:5]
	s_cbranch_execz .LBB63_586
; %bb.577:
	s_andn2_b64 vcc, exec, s[8:9]
	s_cbranch_vccnz .LBB63_579
; %bb.578:
	buffer_load_dword v134, v131, s[0:3], 0 offen
	ds_read_b32 v135, v130
	s_waitcnt vmcnt(0) lgkmcnt(0)
	v_mul_f32_e32 v134, v134, v135
	s_cbranch_execz .LBB63_580
	s_branch .LBB63_581
.LBB63_579:
                                        ; implicit-def: $vgpr134
.LBB63_580:
	ds_read_b32 v134, v130
.LBB63_581:
	s_and_saveexec_b64 s[12:13], s[6:7]
	s_cbranch_execz .LBB63_585
; %bb.582:
	v_mov_b32_e32 v135, 0
	v_add_u32_e32 v135, 20, v135
	v_add_u32_e32 v136, -5, v0
	s_movk_i32 s14, 0x114
	s_mov_b64 s[6:7], 0
.LBB63_583:                             ; =>This Inner Loop Header: Depth=1
	buffer_load_dword v137, v135, s[0:3], 0 offen
	v_mov_b32_e32 v138, s14
	ds_read_b32 v138, v138
	v_add_u32_e32 v136, -1, v136
	s_add_i32 s14, s14, 4
	v_cmp_eq_u32_e32 vcc, 0, v136
	v_add_u32_e32 v135, 4, v135
	s_or_b64 s[6:7], vcc, s[6:7]
	s_waitcnt vmcnt(0) lgkmcnt(0)
	v_fmac_f32_e32 v134, v137, v138
	s_andn2_b64 exec, exec, s[6:7]
	s_cbranch_execnz .LBB63_583
; %bb.584:
	s_or_b64 exec, exec, s[6:7]
.LBB63_585:
	s_or_b64 exec, exec, s[12:13]
	v_mov_b32_e32 v135, 0
	ds_read_b32 v135, v135 offset:16
	s_waitcnt lgkmcnt(0)
	v_mul_f32_e32 v134, v134, v135
	buffer_store_dword v134, off, s[0:3], 0 offset:16
.LBB63_586:
	s_or_b64 exec, exec, s[10:11]
	buffer_load_dword v134, off, s[0:3], 0 offset:12
	v_cmp_lt_u32_e64 s[6:7], 3, v0
	s_waitcnt vmcnt(0)
	ds_write_b32 v130, v134
	s_waitcnt lgkmcnt(0)
	; wave barrier
	s_waitcnt lgkmcnt(0)
	s_and_saveexec_b64 s[10:11], s[6:7]
	s_cbranch_execz .LBB63_596
; %bb.587:
	s_andn2_b64 vcc, exec, s[8:9]
	s_cbranch_vccnz .LBB63_589
; %bb.588:
	buffer_load_dword v134, v131, s[0:3], 0 offen
	ds_read_b32 v135, v130
	s_waitcnt vmcnt(0) lgkmcnt(0)
	v_mul_f32_e32 v134, v134, v135
	s_cbranch_execz .LBB63_590
	s_branch .LBB63_591
.LBB63_589:
                                        ; implicit-def: $vgpr134
.LBB63_590:
	ds_read_b32 v134, v130
.LBB63_591:
	s_and_saveexec_b64 s[12:13], s[4:5]
	s_cbranch_execz .LBB63_595
; %bb.592:
	v_add_u32_e32 v135, -4, v0
	s_movk_i32 s14, 0x110
	s_mov_b64 s[4:5], 0
.LBB63_593:                             ; =>This Inner Loop Header: Depth=1
	buffer_load_dword v136, v133, s[0:3], 0 offen
	v_mov_b32_e32 v137, s14
	ds_read_b32 v137, v137
	v_add_u32_e32 v135, -1, v135
	s_add_i32 s14, s14, 4
	v_cmp_eq_u32_e32 vcc, 0, v135
	v_add_u32_e32 v133, 4, v133
	s_or_b64 s[4:5], vcc, s[4:5]
	s_waitcnt vmcnt(0) lgkmcnt(0)
	v_fmac_f32_e32 v134, v136, v137
	s_andn2_b64 exec, exec, s[4:5]
	s_cbranch_execnz .LBB63_593
; %bb.594:
	s_or_b64 exec, exec, s[4:5]
.LBB63_595:
	s_or_b64 exec, exec, s[12:13]
	v_mov_b32_e32 v133, 0
	ds_read_b32 v133, v133 offset:12
	s_waitcnt lgkmcnt(0)
	v_mul_f32_e32 v133, v134, v133
	buffer_store_dword v133, off, s[0:3], 0 offset:12
.LBB63_596:
	s_or_b64 exec, exec, s[10:11]
	buffer_load_dword v133, off, s[0:3], 0 offset:8
	v_cmp_lt_u32_e64 s[4:5], 2, v0
	s_waitcnt vmcnt(0)
	ds_write_b32 v130, v133
	s_waitcnt lgkmcnt(0)
	; wave barrier
	s_waitcnt lgkmcnt(0)
	s_and_saveexec_b64 s[10:11], s[4:5]
	s_cbranch_execz .LBB63_606
; %bb.597:
	s_andn2_b64 vcc, exec, s[8:9]
	s_cbranch_vccnz .LBB63_599
; %bb.598:
	buffer_load_dword v133, v131, s[0:3], 0 offen
	ds_read_b32 v134, v130
	s_waitcnt vmcnt(0) lgkmcnt(0)
	v_mul_f32_e32 v133, v133, v134
	s_cbranch_execz .LBB63_600
	s_branch .LBB63_601
.LBB63_599:
                                        ; implicit-def: $vgpr133
.LBB63_600:
	ds_read_b32 v133, v130
.LBB63_601:
	s_and_saveexec_b64 s[12:13], s[6:7]
	s_cbranch_execz .LBB63_605
; %bb.602:
	v_mov_b32_e32 v134, 0
	v_or_b32_e32 v134, 12, v134
	v_add_u32_e32 v135, -3, v0
	s_movk_i32 s14, 0x10c
	s_mov_b64 s[6:7], 0
.LBB63_603:                             ; =>This Inner Loop Header: Depth=1
	buffer_load_dword v136, v134, s[0:3], 0 offen
	v_mov_b32_e32 v137, s14
	ds_read_b32 v137, v137
	v_add_u32_e32 v135, -1, v135
	s_add_i32 s14, s14, 4
	v_cmp_eq_u32_e32 vcc, 0, v135
	v_add_u32_e32 v134, 4, v134
	s_or_b64 s[6:7], vcc, s[6:7]
	s_waitcnt vmcnt(0) lgkmcnt(0)
	v_fmac_f32_e32 v133, v136, v137
	s_andn2_b64 exec, exec, s[6:7]
	s_cbranch_execnz .LBB63_603
; %bb.604:
	s_or_b64 exec, exec, s[6:7]
.LBB63_605:
	s_or_b64 exec, exec, s[12:13]
	v_mov_b32_e32 v134, 0
	ds_read_b32 v134, v134 offset:8
	s_waitcnt lgkmcnt(0)
	v_mul_f32_e32 v133, v133, v134
	buffer_store_dword v133, off, s[0:3], 0 offset:8
.LBB63_606:
	s_or_b64 exec, exec, s[10:11]
	buffer_load_dword v133, off, s[0:3], 0 offset:4
	v_cmp_lt_u32_e64 s[6:7], 1, v0
	s_waitcnt vmcnt(0)
	ds_write_b32 v130, v133
	s_waitcnt lgkmcnt(0)
	; wave barrier
	s_waitcnt lgkmcnt(0)
	s_and_saveexec_b64 s[10:11], s[6:7]
	s_cbranch_execz .LBB63_616
; %bb.607:
	s_andn2_b64 vcc, exec, s[8:9]
	s_cbranch_vccnz .LBB63_609
; %bb.608:
	buffer_load_dword v133, v131, s[0:3], 0 offen
	ds_read_b32 v134, v130
	s_waitcnt vmcnt(0) lgkmcnt(0)
	v_mul_f32_e32 v133, v133, v134
	s_cbranch_execz .LBB63_610
	s_branch .LBB63_611
.LBB63_609:
                                        ; implicit-def: $vgpr133
.LBB63_610:
	ds_read_b32 v133, v130
.LBB63_611:
	s_and_saveexec_b64 s[12:13], s[4:5]
	s_cbranch_execz .LBB63_615
; %bb.612:
	v_add_u32_e32 v134, -2, v0
	s_movk_i32 s14, 0x108
	s_mov_b64 s[4:5], 0
.LBB63_613:                             ; =>This Inner Loop Header: Depth=1
	buffer_load_dword v135, v132, s[0:3], 0 offen
	v_mov_b32_e32 v136, s14
	ds_read_b32 v136, v136
	v_add_u32_e32 v134, -1, v134
	s_add_i32 s14, s14, 4
	v_cmp_eq_u32_e32 vcc, 0, v134
	v_add_u32_e32 v132, 4, v132
	s_or_b64 s[4:5], vcc, s[4:5]
	s_waitcnt vmcnt(0) lgkmcnt(0)
	v_fmac_f32_e32 v133, v135, v136
	s_andn2_b64 exec, exec, s[4:5]
	s_cbranch_execnz .LBB63_613
; %bb.614:
	s_or_b64 exec, exec, s[4:5]
.LBB63_615:
	s_or_b64 exec, exec, s[12:13]
	v_mov_b32_e32 v132, 0
	ds_read_b32 v132, v132 offset:4
	s_waitcnt lgkmcnt(0)
	v_mul_f32_e32 v132, v133, v132
	buffer_store_dword v132, off, s[0:3], 0 offset:4
.LBB63_616:
	s_or_b64 exec, exec, s[10:11]
	buffer_load_dword v132, off, s[0:3], 0
	v_cmp_ne_u32_e32 vcc, 0, v0
	s_waitcnt vmcnt(0)
	ds_write_b32 v130, v132
	s_waitcnt lgkmcnt(0)
	; wave barrier
	s_waitcnt lgkmcnt(0)
	s_and_saveexec_b64 s[4:5], vcc
	s_cbranch_execz .LBB63_626
; %bb.617:
	s_andn2_b64 vcc, exec, s[8:9]
	s_cbranch_vccnz .LBB63_619
; %bb.618:
	buffer_load_dword v132, v131, s[0:3], 0 offen
	ds_read_b32 v133, v130
	s_waitcnt vmcnt(0) lgkmcnt(0)
	v_mul_f32_e32 v132, v132, v133
	s_cbranch_execz .LBB63_620
	s_branch .LBB63_621
.LBB63_619:
                                        ; implicit-def: $vgpr132
.LBB63_620:
	ds_read_b32 v132, v130
.LBB63_621:
	s_and_saveexec_b64 s[10:11], s[6:7]
	s_cbranch_execz .LBB63_625
; %bb.622:
	v_mov_b32_e32 v133, 0
	v_or_b32_e32 v133, 4, v133
	v_add_u32_e32 v134, -1, v0
	s_movk_i32 s12, 0x104
	s_mov_b64 s[6:7], 0
.LBB63_623:                             ; =>This Inner Loop Header: Depth=1
	buffer_load_dword v135, v133, s[0:3], 0 offen
	v_mov_b32_e32 v136, s12
	ds_read_b32 v136, v136
	v_add_u32_e32 v134, -1, v134
	s_add_i32 s12, s12, 4
	v_cmp_eq_u32_e32 vcc, 0, v134
	v_add_u32_e32 v133, 4, v133
	s_or_b64 s[6:7], vcc, s[6:7]
	s_waitcnt vmcnt(0) lgkmcnt(0)
	v_fmac_f32_e32 v132, v135, v136
	s_andn2_b64 exec, exec, s[6:7]
	s_cbranch_execnz .LBB63_623
; %bb.624:
	s_or_b64 exec, exec, s[6:7]
.LBB63_625:
	s_or_b64 exec, exec, s[10:11]
	v_mov_b32_e32 v133, 0
	ds_read_b32 v133, v133
	s_waitcnt lgkmcnt(0)
	v_mul_f32_e32 v132, v132, v133
	buffer_store_dword v132, off, s[0:3], 0
.LBB63_626:
	s_or_b64 exec, exec, s[4:5]
	s_mov_b64 s[4:5], 0
.LBB63_627:
	s_and_b64 vcc, exec, s[4:5]
	s_cbranch_vccz .LBB63_1251
; %bb.628:
	buffer_load_dword v132, off, s[0:3], 0 offset:4
	v_cmp_eq_u32_e64 s[6:7], 0, v0
	s_waitcnt vmcnt(0)
	ds_write_b32 v130, v132
	s_waitcnt lgkmcnt(0)
	; wave barrier
	s_waitcnt lgkmcnt(0)
	s_and_saveexec_b64 s[4:5], s[6:7]
	s_cbranch_execz .LBB63_634
; %bb.629:
	s_and_b64 vcc, exec, s[8:9]
	s_cbranch_vccz .LBB63_631
; %bb.630:
	buffer_load_dword v132, v131, s[0:3], 0 offen
	ds_read_b32 v133, v130
	s_waitcnt vmcnt(0) lgkmcnt(0)
	v_mul_f32_e32 v132, v132, v133
	s_cbranch_execz .LBB63_632
	s_branch .LBB63_633
.LBB63_631:
                                        ; implicit-def: $vgpr132
.LBB63_632:
	ds_read_b32 v132, v130
.LBB63_633:
	v_mov_b32_e32 v133, 0
	ds_read_b32 v133, v133 offset:4
	s_waitcnt lgkmcnt(0)
	v_mul_f32_e32 v132, v132, v133
	buffer_store_dword v132, off, s[0:3], 0 offset:4
.LBB63_634:
	s_or_b64 exec, exec, s[4:5]
	buffer_load_dword v132, off, s[0:3], 0 offset:8
	v_cndmask_b32_e64 v133, 0, 1, s[8:9]
	v_cmp_gt_u32_e32 vcc, 2, v0
	v_cmp_ne_u32_e64 s[4:5], 1, v133
	s_waitcnt vmcnt(0)
	ds_write_b32 v130, v132
	s_waitcnt lgkmcnt(0)
	; wave barrier
	s_waitcnt lgkmcnt(0)
	s_and_saveexec_b64 s[8:9], vcc
	s_cbranch_execz .LBB63_642
; %bb.635:
	s_and_b64 vcc, exec, s[4:5]
	s_cbranch_vccnz .LBB63_637
; %bb.636:
	buffer_load_dword v132, v131, s[0:3], 0 offen
	ds_read_b32 v133, v130
	s_waitcnt vmcnt(0) lgkmcnt(0)
	v_mul_f32_e32 v132, v132, v133
	s_cbranch_execz .LBB63_638
	s_branch .LBB63_639
.LBB63_637:
                                        ; implicit-def: $vgpr132
.LBB63_638:
	ds_read_b32 v132, v130
.LBB63_639:
	s_and_saveexec_b64 s[10:11], s[6:7]
	s_cbranch_execz .LBB63_641
; %bb.640:
	buffer_load_dword v133, v131, s[0:3], 0 offen offset:4
	ds_read_b32 v134, v130 offset:4
	s_waitcnt vmcnt(0) lgkmcnt(0)
	v_fmac_f32_e32 v132, v133, v134
.LBB63_641:
	s_or_b64 exec, exec, s[10:11]
	v_mov_b32_e32 v133, 0
	ds_read_b32 v133, v133 offset:8
	s_waitcnt lgkmcnt(0)
	v_mul_f32_e32 v132, v132, v133
	buffer_store_dword v132, off, s[0:3], 0 offset:8
.LBB63_642:
	s_or_b64 exec, exec, s[8:9]
	buffer_load_dword v132, off, s[0:3], 0 offset:12
	v_cmp_gt_u32_e32 vcc, 3, v0
	s_waitcnt vmcnt(0)
	ds_write_b32 v130, v132
	s_waitcnt lgkmcnt(0)
	; wave barrier
	s_waitcnt lgkmcnt(0)
	s_and_saveexec_b64 s[8:9], vcc
	s_cbranch_execz .LBB63_650
; %bb.643:
	s_and_b64 vcc, exec, s[4:5]
	s_cbranch_vccnz .LBB63_645
; %bb.644:
	buffer_load_dword v132, v131, s[0:3], 0 offen
	ds_read_b32 v133, v130
	s_waitcnt vmcnt(0) lgkmcnt(0)
	v_mul_f32_e32 v132, v132, v133
	s_cbranch_execz .LBB63_646
	s_branch .LBB63_647
.LBB63_645:
                                        ; implicit-def: $vgpr132
.LBB63_646:
	ds_read_b32 v132, v130
.LBB63_647:
	v_cmp_ne_u32_e32 vcc, 2, v0
	s_and_saveexec_b64 s[10:11], vcc
	s_cbranch_execz .LBB63_649
; %bb.648:
	buffer_load_dword v133, v131, s[0:3], 0 offen offset:4
	buffer_load_dword v134, off, s[0:3], 0 offset:8
	v_mov_b32_e32 v135, 0
	ds_read_b32 v136, v130 offset:4
	ds_read_b32 v135, v135 offset:264
	s_waitcnt vmcnt(1) lgkmcnt(1)
	v_fmac_f32_e32 v132, v133, v136
	s_waitcnt vmcnt(0) lgkmcnt(0)
	v_fma_f32 v133, v134, v135, v132
	v_cndmask_b32_e64 v132, v132, v133, s[6:7]
.LBB63_649:
	s_or_b64 exec, exec, s[10:11]
	v_mov_b32_e32 v133, 0
	ds_read_b32 v133, v133 offset:12
	s_waitcnt lgkmcnt(0)
	v_mul_f32_e32 v132, v132, v133
	buffer_store_dword v132, off, s[0:3], 0 offset:12
.LBB63_650:
	s_or_b64 exec, exec, s[8:9]
	buffer_load_dword v132, off, s[0:3], 0 offset:16
	v_cmp_gt_u32_e32 vcc, 4, v0
	s_waitcnt vmcnt(0)
	ds_write_b32 v130, v132
	s_waitcnt lgkmcnt(0)
	; wave barrier
	s_waitcnt lgkmcnt(0)
	s_and_saveexec_b64 s[6:7], vcc
	s_cbranch_execz .LBB63_660
; %bb.651:
	s_and_b64 vcc, exec, s[4:5]
	s_cbranch_vccnz .LBB63_653
; %bb.652:
	buffer_load_dword v132, v131, s[0:3], 0 offen
	ds_read_b32 v133, v130
	s_waitcnt vmcnt(0) lgkmcnt(0)
	v_mul_f32_e32 v132, v132, v133
	s_cbranch_execz .LBB63_654
	s_branch .LBB63_655
.LBB63_653:
                                        ; implicit-def: $vgpr132
.LBB63_654:
	ds_read_b32 v132, v130
.LBB63_655:
	v_cmp_ne_u32_e32 vcc, 3, v0
	s_and_saveexec_b64 s[8:9], vcc
	s_cbranch_execz .LBB63_659
; %bb.656:
	v_mov_b32_e32 v134, 0
	v_add_u32_e32 v133, 0x104, v1
	v_add3_u32 v134, v1, v134, 4
	s_mov_b64 s[10:11], 0
	v_mov_b32_e32 v135, v0
.LBB63_657:                             ; =>This Inner Loop Header: Depth=1
	buffer_load_dword v136, v134, s[0:3], 0 offen
	ds_read_b32 v137, v133
	v_add_u32_e32 v135, 1, v135
	v_cmp_lt_u32_e32 vcc, 2, v135
	v_add_u32_e32 v133, 4, v133
	v_add_u32_e32 v134, 4, v134
	s_or_b64 s[10:11], vcc, s[10:11]
	s_waitcnt vmcnt(0) lgkmcnt(0)
	v_fmac_f32_e32 v132, v136, v137
	s_andn2_b64 exec, exec, s[10:11]
	s_cbranch_execnz .LBB63_657
; %bb.658:
	s_or_b64 exec, exec, s[10:11]
.LBB63_659:
	s_or_b64 exec, exec, s[8:9]
	v_mov_b32_e32 v133, 0
	ds_read_b32 v133, v133 offset:16
	s_waitcnt lgkmcnt(0)
	v_mul_f32_e32 v132, v132, v133
	buffer_store_dword v132, off, s[0:3], 0 offset:16
.LBB63_660:
	s_or_b64 exec, exec, s[6:7]
	buffer_load_dword v132, off, s[0:3], 0 offset:20
	v_cmp_gt_u32_e32 vcc, 5, v0
	s_waitcnt vmcnt(0)
	ds_write_b32 v130, v132
	s_waitcnt lgkmcnt(0)
	; wave barrier
	s_waitcnt lgkmcnt(0)
	s_and_saveexec_b64 s[6:7], vcc
	s_cbranch_execz .LBB63_670
; %bb.661:
	s_and_b64 vcc, exec, s[4:5]
	s_cbranch_vccnz .LBB63_663
; %bb.662:
	buffer_load_dword v132, v131, s[0:3], 0 offen
	ds_read_b32 v133, v130
	s_waitcnt vmcnt(0) lgkmcnt(0)
	v_mul_f32_e32 v132, v132, v133
	s_cbranch_execz .LBB63_664
	s_branch .LBB63_665
.LBB63_663:
                                        ; implicit-def: $vgpr132
.LBB63_664:
	ds_read_b32 v132, v130
.LBB63_665:
	v_cmp_ne_u32_e32 vcc, 4, v0
	s_and_saveexec_b64 s[8:9], vcc
	s_cbranch_execz .LBB63_669
; %bb.666:
	v_mov_b32_e32 v134, 0
	v_add_u32_e32 v133, 0x104, v1
	v_add3_u32 v134, v1, v134, 4
	s_mov_b64 s[10:11], 0
	v_mov_b32_e32 v135, v0
.LBB63_667:                             ; =>This Inner Loop Header: Depth=1
	buffer_load_dword v136, v134, s[0:3], 0 offen
	ds_read_b32 v137, v133
	v_add_u32_e32 v135, 1, v135
	v_cmp_lt_u32_e32 vcc, 3, v135
	v_add_u32_e32 v133, 4, v133
	v_add_u32_e32 v134, 4, v134
	s_or_b64 s[10:11], vcc, s[10:11]
	s_waitcnt vmcnt(0) lgkmcnt(0)
	v_fmac_f32_e32 v132, v136, v137
	s_andn2_b64 exec, exec, s[10:11]
	s_cbranch_execnz .LBB63_667
; %bb.668:
	s_or_b64 exec, exec, s[10:11]
.LBB63_669:
	s_or_b64 exec, exec, s[8:9]
	v_mov_b32_e32 v133, 0
	ds_read_b32 v133, v133 offset:20
	s_waitcnt lgkmcnt(0)
	v_mul_f32_e32 v132, v132, v133
	buffer_store_dword v132, off, s[0:3], 0 offset:20
.LBB63_670:
	;; [unrolled: 56-line block ×35, first 2 shown]
	s_or_b64 exec, exec, s[6:7]
	buffer_load_dword v132, off, s[0:3], 0 offset:156
	v_cmp_gt_u32_e32 vcc, 39, v0
	s_waitcnt vmcnt(0)
	ds_write_b32 v130, v132
	s_waitcnt lgkmcnt(0)
	; wave barrier
	s_waitcnt lgkmcnt(0)
	s_and_saveexec_b64 s[6:7], vcc
	s_cbranch_execz .LBB63_1010
; %bb.1001:
	s_and_b64 vcc, exec, s[4:5]
	s_cbranch_vccnz .LBB63_1003
; %bb.1002:
	buffer_load_dword v132, v131, s[0:3], 0 offen
	ds_read_b32 v133, v130
	s_waitcnt vmcnt(0) lgkmcnt(0)
	v_mul_f32_e32 v132, v132, v133
	s_cbranch_execz .LBB63_1004
	s_branch .LBB63_1005
.LBB63_1003:
                                        ; implicit-def: $vgpr132
.LBB63_1004:
	ds_read_b32 v132, v130
.LBB63_1005:
	v_cmp_ne_u32_e32 vcc, 38, v0
	s_and_saveexec_b64 s[8:9], vcc
	s_cbranch_execz .LBB63_1009
; %bb.1006:
	v_mov_b32_e32 v134, 0
	v_add_u32_e32 v133, 0x104, v1
	v_add3_u32 v134, v1, v134, 4
	s_mov_b64 s[10:11], 0
	v_mov_b32_e32 v135, v0
.LBB63_1007:                            ; =>This Inner Loop Header: Depth=1
	buffer_load_dword v136, v134, s[0:3], 0 offen
	ds_read_b32 v137, v133
	v_add_u32_e32 v135, 1, v135
	v_cmp_lt_u32_e32 vcc, 37, v135
	v_add_u32_e32 v133, 4, v133
	v_add_u32_e32 v134, 4, v134
	s_or_b64 s[10:11], vcc, s[10:11]
	s_waitcnt vmcnt(0) lgkmcnt(0)
	v_fmac_f32_e32 v132, v136, v137
	s_andn2_b64 exec, exec, s[10:11]
	s_cbranch_execnz .LBB63_1007
; %bb.1008:
	s_or_b64 exec, exec, s[10:11]
.LBB63_1009:
	s_or_b64 exec, exec, s[8:9]
	v_mov_b32_e32 v133, 0
	ds_read_b32 v133, v133 offset:156
	s_waitcnt lgkmcnt(0)
	v_mul_f32_e32 v132, v132, v133
	buffer_store_dword v132, off, s[0:3], 0 offset:156
.LBB63_1010:
	s_or_b64 exec, exec, s[6:7]
	buffer_load_dword v132, off, s[0:3], 0 offset:160
	v_cmp_gt_u32_e32 vcc, 40, v0
	s_waitcnt vmcnt(0)
	ds_write_b32 v130, v132
	s_waitcnt lgkmcnt(0)
	; wave barrier
	s_waitcnt lgkmcnt(0)
	s_and_saveexec_b64 s[6:7], vcc
	s_cbranch_execz .LBB63_1020
; %bb.1011:
	s_and_b64 vcc, exec, s[4:5]
	s_cbranch_vccnz .LBB63_1013
; %bb.1012:
	buffer_load_dword v132, v131, s[0:3], 0 offen
	ds_read_b32 v133, v130
	s_waitcnt vmcnt(0) lgkmcnt(0)
	v_mul_f32_e32 v132, v132, v133
	s_cbranch_execz .LBB63_1014
	s_branch .LBB63_1015
.LBB63_1013:
                                        ; implicit-def: $vgpr132
.LBB63_1014:
	ds_read_b32 v132, v130
.LBB63_1015:
	v_cmp_ne_u32_e32 vcc, 39, v0
	s_and_saveexec_b64 s[8:9], vcc
	s_cbranch_execz .LBB63_1019
; %bb.1016:
	v_mov_b32_e32 v134, 0
	v_add_u32_e32 v133, 0x104, v1
	v_add3_u32 v134, v1, v134, 4
	s_mov_b64 s[10:11], 0
	v_mov_b32_e32 v135, v0
.LBB63_1017:                            ; =>This Inner Loop Header: Depth=1
	buffer_load_dword v136, v134, s[0:3], 0 offen
	ds_read_b32 v137, v133
	v_add_u32_e32 v135, 1, v135
	v_cmp_lt_u32_e32 vcc, 38, v135
	v_add_u32_e32 v133, 4, v133
	v_add_u32_e32 v134, 4, v134
	s_or_b64 s[10:11], vcc, s[10:11]
	s_waitcnt vmcnt(0) lgkmcnt(0)
	v_fmac_f32_e32 v132, v136, v137
	s_andn2_b64 exec, exec, s[10:11]
	s_cbranch_execnz .LBB63_1017
; %bb.1018:
	s_or_b64 exec, exec, s[10:11]
.LBB63_1019:
	s_or_b64 exec, exec, s[8:9]
	v_mov_b32_e32 v133, 0
	ds_read_b32 v133, v133 offset:160
	s_waitcnt lgkmcnt(0)
	v_mul_f32_e32 v132, v132, v133
	buffer_store_dword v132, off, s[0:3], 0 offset:160
.LBB63_1020:
	;; [unrolled: 56-line block ×23, first 2 shown]
	s_or_b64 exec, exec, s[6:7]
	buffer_load_dword v132, off, s[0:3], 0 offset:248
	v_cmp_gt_u32_e64 s[6:7], 62, v0
	s_waitcnt vmcnt(0)
	ds_write_b32 v130, v132
	s_waitcnt lgkmcnt(0)
	; wave barrier
	s_waitcnt lgkmcnt(0)
	s_and_saveexec_b64 s[8:9], s[6:7]
	s_cbranch_execz .LBB63_1240
; %bb.1231:
	s_and_b64 vcc, exec, s[4:5]
	s_cbranch_vccnz .LBB63_1233
; %bb.1232:
	buffer_load_dword v132, v131, s[0:3], 0 offen
	ds_read_b32 v133, v130
	s_waitcnt vmcnt(0) lgkmcnt(0)
	v_mul_f32_e32 v132, v132, v133
	s_cbranch_execz .LBB63_1234
	s_branch .LBB63_1235
.LBB63_1233:
                                        ; implicit-def: $vgpr132
.LBB63_1234:
	ds_read_b32 v132, v130
.LBB63_1235:
	v_cmp_ne_u32_e32 vcc, 61, v0
	s_and_saveexec_b64 s[10:11], vcc
	s_cbranch_execz .LBB63_1239
; %bb.1236:
	v_mov_b32_e32 v134, 0
	v_add_u32_e32 v133, 0x104, v1
	v_add3_u32 v134, v1, v134, 4
	s_mov_b64 s[12:13], 0
	v_mov_b32_e32 v135, v0
.LBB63_1237:                            ; =>This Inner Loop Header: Depth=1
	buffer_load_dword v136, v134, s[0:3], 0 offen
	ds_read_b32 v137, v133
	v_add_u32_e32 v135, 1, v135
	v_cmp_lt_u32_e32 vcc, 60, v135
	v_add_u32_e32 v133, 4, v133
	v_add_u32_e32 v134, 4, v134
	s_or_b64 s[12:13], vcc, s[12:13]
	s_waitcnt vmcnt(0) lgkmcnt(0)
	v_fmac_f32_e32 v132, v136, v137
	s_andn2_b64 exec, exec, s[12:13]
	s_cbranch_execnz .LBB63_1237
; %bb.1238:
	s_or_b64 exec, exec, s[12:13]
.LBB63_1239:
	s_or_b64 exec, exec, s[10:11]
	v_mov_b32_e32 v133, 0
	ds_read_b32 v133, v133 offset:248
	s_waitcnt lgkmcnt(0)
	v_mul_f32_e32 v132, v132, v133
	buffer_store_dword v132, off, s[0:3], 0 offset:248
.LBB63_1240:
	s_or_b64 exec, exec, s[8:9]
	buffer_load_dword v132, off, s[0:3], 0 offset:252
	v_cmp_ne_u32_e32 vcc, 63, v0
	s_waitcnt vmcnt(0)
	ds_write_b32 v130, v132
	s_waitcnt lgkmcnt(0)
	; wave barrier
	s_waitcnt lgkmcnt(0)
	s_and_saveexec_b64 s[8:9], vcc
	s_cbranch_execz .LBB63_1250
; %bb.1241:
	s_and_b64 vcc, exec, s[4:5]
	s_cbranch_vccnz .LBB63_1243
; %bb.1242:
	buffer_load_dword v131, v131, s[0:3], 0 offen
	ds_read_b32 v132, v130
	s_waitcnt vmcnt(0) lgkmcnt(0)
	v_mul_f32_e32 v131, v131, v132
	s_cbranch_execz .LBB63_1244
	s_branch .LBB63_1245
.LBB63_1243:
                                        ; implicit-def: $vgpr131
.LBB63_1244:
	ds_read_b32 v131, v130
.LBB63_1245:
	s_and_saveexec_b64 s[4:5], s[6:7]
	s_cbranch_execz .LBB63_1249
; %bb.1246:
	v_mov_b32_e32 v132, 0
	v_add_u32_e32 v130, 0x104, v1
	v_add3_u32 v1, v1, v132, 4
	s_mov_b64 s[6:7], 0
.LBB63_1247:                            ; =>This Inner Loop Header: Depth=1
	buffer_load_dword v132, v1, s[0:3], 0 offen
	ds_read_b32 v133, v130
	v_add_u32_e32 v0, 1, v0
	v_cmp_lt_u32_e32 vcc, 61, v0
	v_add_u32_e32 v130, 4, v130
	v_add_u32_e32 v1, 4, v1
	s_or_b64 s[6:7], vcc, s[6:7]
	s_waitcnt vmcnt(0) lgkmcnt(0)
	v_fmac_f32_e32 v131, v132, v133
	s_andn2_b64 exec, exec, s[6:7]
	s_cbranch_execnz .LBB63_1247
; %bb.1248:
	s_or_b64 exec, exec, s[6:7]
.LBB63_1249:
	s_or_b64 exec, exec, s[4:5]
	v_mov_b32_e32 v0, 0
	ds_read_b32 v0, v0 offset:252
	s_waitcnt lgkmcnt(0)
	v_mul_f32_e32 v0, v131, v0
	buffer_store_dword v0, off, s[0:3], 0 offset:252
.LBB63_1250:
	s_or_b64 exec, exec, s[8:9]
.LBB63_1251:
	buffer_load_dword v0, off, s[0:3], 0
	buffer_load_dword v1, off, s[0:3], 0 offset:4
	buffer_load_dword v130, off, s[0:3], 0 offset:8
	;; [unrolled: 1-line block ×31, first 2 shown]
	s_waitcnt vmcnt(31)
	global_store_dword v[124:125], v0, off
	s_waitcnt vmcnt(31)
	global_store_dword v[128:129], v1, off
	buffer_load_dword v0, off, s[0:3], 0 offset:128
	s_nop 0
	buffer_load_dword v1, off, s[0:3], 0 offset:132
	buffer_load_dword v124, off, s[0:3], 0 offset:136
	buffer_load_dword v125, off, s[0:3], 0 offset:140
	buffer_load_dword v128, off, s[0:3], 0 offset:144
	buffer_load_dword v129, off, s[0:3], 0 offset:148
	buffer_load_dword v160, off, s[0:3], 0 offset:152
	buffer_load_dword v161, off, s[0:3], 0 offset:156
	s_waitcnt vmcnt(39)
	global_store_dword v[2:3], v130, off
	s_waitcnt vmcnt(39)
	global_store_dword v[6:7], v131, off
	buffer_load_dword v2, off, s[0:3], 0 offset:160
	buffer_load_dword v3, off, s[0:3], 0 offset:164
	s_nop 0
	buffer_load_dword v6, off, s[0:3], 0 offset:168
	buffer_load_dword v7, off, s[0:3], 0 offset:172
	;; [unrolled: 1-line block ×6, first 2 shown]
	s_waitcnt vmcnt(47)
	global_store_dword v[4:5], v132, off
	s_waitcnt vmcnt(47)
	global_store_dword v[8:9], v133, off
	;; [unrolled: 2-line block ×3, first 2 shown]
	buffer_load_dword v4, off, s[0:3], 0 offset:192
	buffer_load_dword v5, off, s[0:3], 0 offset:196
	buffer_load_dword v8, off, s[0:3], 0 offset:200
	buffer_load_dword v9, off, s[0:3], 0 offset:204
	s_nop 0
	buffer_load_dword v12, off, s[0:3], 0 offset:208
	buffer_load_dword v13, off, s[0:3], 0 offset:212
	;; [unrolled: 1-line block ×4, first 2 shown]
	s_waitcnt vmcnt(55)
	global_store_dword v[10:11], v135, off
	s_waitcnt vmcnt(55)
	global_store_dword v[14:15], v136, off
	;; [unrolled: 2-line block ×3, first 2 shown]
	buffer_load_dword v10, off, s[0:3], 0 offset:224
	buffer_load_dword v11, off, s[0:3], 0 offset:228
	;; [unrolled: 1-line block ×4, first 2 shown]
	s_nop 0
	buffer_load_dword v18, off, s[0:3], 0 offset:240
	buffer_load_dword v19, off, s[0:3], 0 offset:244
	;; [unrolled: 1-line block ×4, first 2 shown]
	s_waitcnt vmcnt(62)
	global_store_dword v[16:17], v138, off
	global_store_dword v[20:21], v139, off
	s_waitcnt vmcnt(62)
	global_store_dword v[22:23], v140, off
	global_store_dword v[24:25], v141, off
	;; [unrolled: 3-line block ×11, first 2 shown]
	s_waitcnt vmcnt(61)
	global_store_dword v[62:63], v0, off
	s_waitcnt vmcnt(61)
	global_store_dword v[64:65], v1, off
	;; [unrolled: 2-line block ×32, first 2 shown]
.LBB63_1252:
	s_endpgm
	.section	.rodata,"a",@progbits
	.p2align	6, 0x0
	.amdhsa_kernel _ZN9rocsolver6v33100L18trti2_kernel_smallILi64EfPfEEv13rocblas_fill_17rocblas_diagonal_T1_iil
		.amdhsa_group_segment_fixed_size 512
		.amdhsa_private_segment_fixed_size 272
		.amdhsa_kernarg_size 32
		.amdhsa_user_sgpr_count 8
		.amdhsa_user_sgpr_private_segment_buffer 1
		.amdhsa_user_sgpr_dispatch_ptr 0
		.amdhsa_user_sgpr_queue_ptr 0
		.amdhsa_user_sgpr_kernarg_segment_ptr 1
		.amdhsa_user_sgpr_dispatch_id 0
		.amdhsa_user_sgpr_flat_scratch_init 1
		.amdhsa_user_sgpr_kernarg_preload_length 0
		.amdhsa_user_sgpr_kernarg_preload_offset 0
		.amdhsa_user_sgpr_private_segment_size 0
		.amdhsa_uses_dynamic_stack 0
		.amdhsa_system_sgpr_private_segment_wavefront_offset 1
		.amdhsa_system_sgpr_workgroup_id_x 1
		.amdhsa_system_sgpr_workgroup_id_y 0
		.amdhsa_system_sgpr_workgroup_id_z 0
		.amdhsa_system_sgpr_workgroup_info 0
		.amdhsa_system_vgpr_workitem_id 0
		.amdhsa_next_free_vgpr 167
		.amdhsa_next_free_sgpr 20
		.amdhsa_accum_offset 168
		.amdhsa_reserve_vcc 1
		.amdhsa_reserve_flat_scratch 0
		.amdhsa_float_round_mode_32 0
		.amdhsa_float_round_mode_16_64 0
		.amdhsa_float_denorm_mode_32 3
		.amdhsa_float_denorm_mode_16_64 3
		.amdhsa_dx10_clamp 1
		.amdhsa_ieee_mode 1
		.amdhsa_fp16_overflow 0
		.amdhsa_tg_split 0
		.amdhsa_exception_fp_ieee_invalid_op 0
		.amdhsa_exception_fp_denorm_src 0
		.amdhsa_exception_fp_ieee_div_zero 0
		.amdhsa_exception_fp_ieee_overflow 0
		.amdhsa_exception_fp_ieee_underflow 0
		.amdhsa_exception_fp_ieee_inexact 0
		.amdhsa_exception_int_div_zero 0
	.end_amdhsa_kernel
	.section	.text._ZN9rocsolver6v33100L18trti2_kernel_smallILi64EfPfEEv13rocblas_fill_17rocblas_diagonal_T1_iil,"axG",@progbits,_ZN9rocsolver6v33100L18trti2_kernel_smallILi64EfPfEEv13rocblas_fill_17rocblas_diagonal_T1_iil,comdat
.Lfunc_end63:
	.size	_ZN9rocsolver6v33100L18trti2_kernel_smallILi64EfPfEEv13rocblas_fill_17rocblas_diagonal_T1_iil, .Lfunc_end63-_ZN9rocsolver6v33100L18trti2_kernel_smallILi64EfPfEEv13rocblas_fill_17rocblas_diagonal_T1_iil
                                        ; -- End function
	.section	.AMDGPU.csdata,"",@progbits
; Kernel info:
; codeLenInByte = 31416
; NumSgprs: 24
; NumVgprs: 167
; NumAgprs: 0
; TotalNumVgprs: 167
; ScratchSize: 272
; MemoryBound: 0
; FloatMode: 240
; IeeeMode: 1
; LDSByteSize: 512 bytes/workgroup (compile time only)
; SGPRBlocks: 2
; VGPRBlocks: 20
; NumSGPRsForWavesPerEU: 24
; NumVGPRsForWavesPerEU: 167
; AccumOffset: 168
; Occupancy: 3
; WaveLimiterHint : 0
; COMPUTE_PGM_RSRC2:SCRATCH_EN: 1
; COMPUTE_PGM_RSRC2:USER_SGPR: 8
; COMPUTE_PGM_RSRC2:TRAP_HANDLER: 0
; COMPUTE_PGM_RSRC2:TGID_X_EN: 1
; COMPUTE_PGM_RSRC2:TGID_Y_EN: 0
; COMPUTE_PGM_RSRC2:TGID_Z_EN: 0
; COMPUTE_PGM_RSRC2:TIDIG_COMP_CNT: 0
; COMPUTE_PGM_RSRC3_GFX90A:ACCUM_OFFSET: 41
; COMPUTE_PGM_RSRC3_GFX90A:TG_SPLIT: 0
	.section	.text._ZN9rocsolver6v33100L18trti2_kernel_smallILi1EfPKPfEEv13rocblas_fill_17rocblas_diagonal_T1_iil,"axG",@progbits,_ZN9rocsolver6v33100L18trti2_kernel_smallILi1EfPKPfEEv13rocblas_fill_17rocblas_diagonal_T1_iil,comdat
	.globl	_ZN9rocsolver6v33100L18trti2_kernel_smallILi1EfPKPfEEv13rocblas_fill_17rocblas_diagonal_T1_iil ; -- Begin function _ZN9rocsolver6v33100L18trti2_kernel_smallILi1EfPKPfEEv13rocblas_fill_17rocblas_diagonal_T1_iil
	.p2align	8
	.type	_ZN9rocsolver6v33100L18trti2_kernel_smallILi1EfPKPfEEv13rocblas_fill_17rocblas_diagonal_T1_iil,@function
_ZN9rocsolver6v33100L18trti2_kernel_smallILi1EfPKPfEEv13rocblas_fill_17rocblas_diagonal_T1_iil: ; @_ZN9rocsolver6v33100L18trti2_kernel_smallILi1EfPKPfEEv13rocblas_fill_17rocblas_diagonal_T1_iil
; %bb.0:
	v_cmp_eq_u32_e32 vcc, 0, v0
	s_and_saveexec_b64 s[0:1], vcc
	s_cbranch_execz .LBB64_2
; %bb.1:
	s_load_dword s0, s[4:5], 0x10
	s_load_dwordx2 s[2:3], s[4:5], 0x8
	s_ashr_i32 s7, s6, 31
	s_lshl_b64 s[6:7], s[6:7], 3
	v_mov_b32_e32 v0, 0
	s_waitcnt lgkmcnt(0)
	s_ashr_i32 s1, s0, 31
	s_add_u32 s2, s2, s6
	s_addc_u32 s3, s3, s7
	s_load_dwordx2 s[6:7], s[2:3], 0x0
	s_load_dword s8, s[4:5], 0x4
	s_lshl_b64 s[0:1], s[0:1], 2
	s_waitcnt lgkmcnt(0)
	s_add_u32 s0, s6, s0
	s_addc_u32 s1, s7, s1
	s_load_dword s4, s[0:1], 0x0
	s_cmpk_eq_i32 s8, 0x84
	s_waitcnt lgkmcnt(0)
	v_div_scale_f32 v1, s[2:3], s4, s4, 1.0
	v_rcp_f32_e32 v2, v1
	v_div_scale_f32 v4, vcc, 1.0, s4, 1.0
	v_mov_b32_e32 v3, s4
	v_fma_f32 v5, -v1, v2, 1.0
	v_fmac_f32_e32 v2, v5, v2
	v_mul_f32_e32 v5, v4, v2
	v_fma_f32 v6, -v1, v5, v4
	v_fmac_f32_e32 v5, v6, v2
	v_fma_f32 v1, -v1, v5, v4
	v_div_fmas_f32 v1, v1, v2, v5
	v_div_fixup_f32 v1, v1, s4, 1.0
	s_cselect_b64 vcc, -1, 0
	v_cndmask_b32_e32 v1, v1, v3, vcc
	global_store_dword v0, v1, s[0:1]
.LBB64_2:
	s_endpgm
	.section	.rodata,"a",@progbits
	.p2align	6, 0x0
	.amdhsa_kernel _ZN9rocsolver6v33100L18trti2_kernel_smallILi1EfPKPfEEv13rocblas_fill_17rocblas_diagonal_T1_iil
		.amdhsa_group_segment_fixed_size 0
		.amdhsa_private_segment_fixed_size 0
		.amdhsa_kernarg_size 32
		.amdhsa_user_sgpr_count 6
		.amdhsa_user_sgpr_private_segment_buffer 1
		.amdhsa_user_sgpr_dispatch_ptr 0
		.amdhsa_user_sgpr_queue_ptr 0
		.amdhsa_user_sgpr_kernarg_segment_ptr 1
		.amdhsa_user_sgpr_dispatch_id 0
		.amdhsa_user_sgpr_flat_scratch_init 0
		.amdhsa_user_sgpr_kernarg_preload_length 0
		.amdhsa_user_sgpr_kernarg_preload_offset 0
		.amdhsa_user_sgpr_private_segment_size 0
		.amdhsa_uses_dynamic_stack 0
		.amdhsa_system_sgpr_private_segment_wavefront_offset 0
		.amdhsa_system_sgpr_workgroup_id_x 1
		.amdhsa_system_sgpr_workgroup_id_y 0
		.amdhsa_system_sgpr_workgroup_id_z 0
		.amdhsa_system_sgpr_workgroup_info 0
		.amdhsa_system_vgpr_workitem_id 0
		.amdhsa_next_free_vgpr 7
		.amdhsa_next_free_sgpr 9
		.amdhsa_accum_offset 8
		.amdhsa_reserve_vcc 1
		.amdhsa_reserve_flat_scratch 0
		.amdhsa_float_round_mode_32 0
		.amdhsa_float_round_mode_16_64 0
		.amdhsa_float_denorm_mode_32 3
		.amdhsa_float_denorm_mode_16_64 3
		.amdhsa_dx10_clamp 1
		.amdhsa_ieee_mode 1
		.amdhsa_fp16_overflow 0
		.amdhsa_tg_split 0
		.amdhsa_exception_fp_ieee_invalid_op 0
		.amdhsa_exception_fp_denorm_src 0
		.amdhsa_exception_fp_ieee_div_zero 0
		.amdhsa_exception_fp_ieee_overflow 0
		.amdhsa_exception_fp_ieee_underflow 0
		.amdhsa_exception_fp_ieee_inexact 0
		.amdhsa_exception_int_div_zero 0
	.end_amdhsa_kernel
	.section	.text._ZN9rocsolver6v33100L18trti2_kernel_smallILi1EfPKPfEEv13rocblas_fill_17rocblas_diagonal_T1_iil,"axG",@progbits,_ZN9rocsolver6v33100L18trti2_kernel_smallILi1EfPKPfEEv13rocblas_fill_17rocblas_diagonal_T1_iil,comdat
.Lfunc_end64:
	.size	_ZN9rocsolver6v33100L18trti2_kernel_smallILi1EfPKPfEEv13rocblas_fill_17rocblas_diagonal_T1_iil, .Lfunc_end64-_ZN9rocsolver6v33100L18trti2_kernel_smallILi1EfPKPfEEv13rocblas_fill_17rocblas_diagonal_T1_iil
                                        ; -- End function
	.section	.AMDGPU.csdata,"",@progbits
; Kernel info:
; codeLenInByte = 200
; NumSgprs: 13
; NumVgprs: 7
; NumAgprs: 0
; TotalNumVgprs: 7
; ScratchSize: 0
; MemoryBound: 0
; FloatMode: 240
; IeeeMode: 1
; LDSByteSize: 0 bytes/workgroup (compile time only)
; SGPRBlocks: 1
; VGPRBlocks: 0
; NumSGPRsForWavesPerEU: 13
; NumVGPRsForWavesPerEU: 7
; AccumOffset: 8
; Occupancy: 8
; WaveLimiterHint : 1
; COMPUTE_PGM_RSRC2:SCRATCH_EN: 0
; COMPUTE_PGM_RSRC2:USER_SGPR: 6
; COMPUTE_PGM_RSRC2:TRAP_HANDLER: 0
; COMPUTE_PGM_RSRC2:TGID_X_EN: 1
; COMPUTE_PGM_RSRC2:TGID_Y_EN: 0
; COMPUTE_PGM_RSRC2:TGID_Z_EN: 0
; COMPUTE_PGM_RSRC2:TIDIG_COMP_CNT: 0
; COMPUTE_PGM_RSRC3_GFX90A:ACCUM_OFFSET: 1
; COMPUTE_PGM_RSRC3_GFX90A:TG_SPLIT: 0
	.section	.text._ZN9rocsolver6v33100L18trti2_kernel_smallILi2EfPKPfEEv13rocblas_fill_17rocblas_diagonal_T1_iil,"axG",@progbits,_ZN9rocsolver6v33100L18trti2_kernel_smallILi2EfPKPfEEv13rocblas_fill_17rocblas_diagonal_T1_iil,comdat
	.globl	_ZN9rocsolver6v33100L18trti2_kernel_smallILi2EfPKPfEEv13rocblas_fill_17rocblas_diagonal_T1_iil ; -- Begin function _ZN9rocsolver6v33100L18trti2_kernel_smallILi2EfPKPfEEv13rocblas_fill_17rocblas_diagonal_T1_iil
	.p2align	8
	.type	_ZN9rocsolver6v33100L18trti2_kernel_smallILi2EfPKPfEEv13rocblas_fill_17rocblas_diagonal_T1_iil,@function
_ZN9rocsolver6v33100L18trti2_kernel_smallILi2EfPKPfEEv13rocblas_fill_17rocblas_diagonal_T1_iil: ; @_ZN9rocsolver6v33100L18trti2_kernel_smallILi2EfPKPfEEv13rocblas_fill_17rocblas_diagonal_T1_iil
; %bb.0:
	v_cmp_gt_u32_e32 vcc, 2, v0
	s_and_saveexec_b64 s[0:1], vcc
	s_cbranch_execz .LBB65_20
; %bb.1:
	s_load_dwordx2 s[0:1], s[4:5], 0x10
	s_load_dwordx4 s[8:11], s[4:5], 0x0
	s_ashr_i32 s7, s6, 31
	s_lshl_b64 s[2:3], s[6:7], 3
	v_lshlrev_b32_e32 v1, 2, v0
	s_waitcnt lgkmcnt(0)
	s_ashr_i32 s5, s0, 31
	s_add_u32 s2, s10, s2
	s_addc_u32 s3, s11, s3
	s_load_dwordx2 s[2:3], s[2:3], 0x0
	s_mov_b32 s4, s0
	s_lshl_b64 s[4:5], s[4:5], 2
	v_mov_b32_e32 v8, -1.0
	s_waitcnt lgkmcnt(0)
	s_add_u32 s2, s2, s4
	s_addc_u32 s3, s3, s5
	v_mov_b32_e32 v3, s3
	v_add_co_u32_e32 v2, vcc, s2, v1
	s_ashr_i32 s5, s1, 31
	s_mov_b32 s4, s1
	v_addc_co_u32_e32 v3, vcc, 0, v3, vcc
	s_lshl_b64 s[0:1], s[4:5], 2
	v_mov_b32_e32 v5, s1
	v_add_co_u32_e32 v4, vcc, s0, v2
	v_addc_co_u32_e32 v5, vcc, v3, v5, vcc
	global_load_dword v6, v1, s[2:3]
	global_load_dword v7, v[4:5], off
	s_cmpk_lg_i32 s9, 0x84
	s_cselect_b64 s[4:5], -1, 0
	s_cmpk_eq_i32 s9, 0x84
	v_cmp_eq_u32_e64 s[0:1], 0, v0
	s_cbranch_scc1 .LBB65_3
; %bb.2:
	v_cmp_eq_u32_e64 s[2:3], 1, v0
	s_waitcnt vmcnt(0)
	v_cndmask_b32_e64 v8, v6, v7, s[2:3]
	v_div_scale_f32 v9, s[6:7], v8, v8, 1.0
	v_rcp_f32_e32 v10, v9
	v_fma_f32 v11, -v9, v10, 1.0
	v_fmac_f32_e32 v10, v11, v10
	v_div_scale_f32 v11, vcc, 1.0, v8, 1.0
	v_mul_f32_e32 v12, v11, v10
	v_fma_f32 v13, -v9, v12, v11
	v_fmac_f32_e32 v12, v13, v10
	v_fma_f32 v9, -v9, v12, v11
	v_div_fmas_f32 v9, v9, v10, v12
	v_div_fixup_f32 v8, v9, v8, 1.0
	v_cndmask_b32_e64 v7, v7, v8, s[2:3]
	v_cndmask_b32_e64 v6, v6, v8, s[0:1]
	v_xor_b32_e32 v8, 0x80000000, v8
.LBB65_3:
	ds_write_b32 v1, v8
	s_cmpk_lg_i32 s8, 0x79
	v_add_u32_e32 v1, 8, v1
	s_cbranch_scc0 .LBB65_7
; %bb.4:
	v_cmp_eq_u32_e32 vcc, 1, v0
	s_waitcnt vmcnt(0)
	v_pk_mov_b32 v[8:9], v[6:7], v[6:7] op_sel:[0,1]
	ds_write_b32 v1, v6
	s_waitcnt lgkmcnt(0)
	; wave barrier
	s_waitcnt lgkmcnt(0)
	s_and_saveexec_b64 s[0:1], vcc
	s_cbranch_execz .LBB65_11
; %bb.5:
	s_and_b64 vcc, exec, s[4:5]
	s_cbranch_vccz .LBB65_8
; %bb.6:
	ds_read_b32 v8, v1
	v_cmp_eq_u32_e32 vcc, 1, v0
	v_cndmask_b32_e32 v9, v6, v7, vcc
	s_waitcnt lgkmcnt(0)
	v_mul_f32_e32 v8, v9, v8
	s_cbranch_execz .LBB65_9
	s_branch .LBB65_10
.LBB65_7:
                                        ; implicit-def: $vgpr8_vgpr9
	s_branch .LBB65_12
.LBB65_8:
                                        ; implicit-def: $vgpr8
.LBB65_9:
	ds_read_b32 v8, v1
.LBB65_10:
	v_mov_b32_e32 v9, 0
	ds_read_b32 v9, v9
	s_waitcnt lgkmcnt(0)
	v_mul_f32_e32 v8, v8, v9
	v_mov_b32_e32 v9, v7
.LBB65_11:
	s_or_b64 exec, exec, s[0:1]
	s_cbranch_execnz .LBB65_19
.LBB65_12:
	v_cmp_eq_u32_e32 vcc, 0, v0
	s_waitcnt vmcnt(0)
	ds_write_b32 v1, v7
	s_waitcnt lgkmcnt(0)
	; wave barrier
	s_waitcnt lgkmcnt(0)
	s_and_saveexec_b64 s[0:1], vcc
	s_cbranch_execz .LBB65_18
; %bb.13:
	s_and_b64 vcc, exec, s[4:5]
	s_cbranch_vccz .LBB65_15
; %bb.14:
	ds_read_b32 v8, v1
	v_cmp_eq_u32_e32 vcc, 1, v0
	v_cndmask_b32_e32 v0, v6, v7, vcc
	s_waitcnt lgkmcnt(0)
	v_mul_f32_e32 v0, v0, v8
	s_cbranch_execz .LBB65_16
	s_branch .LBB65_17
.LBB65_15:
                                        ; implicit-def: $vgpr0
.LBB65_16:
	ds_read_b32 v0, v1
.LBB65_17:
	v_mov_b32_e32 v1, 0
	ds_read_b32 v1, v1 offset:4
	s_waitcnt lgkmcnt(0)
	v_mul_f32_e32 v7, v0, v1
.LBB65_18:
	s_or_b64 exec, exec, s[0:1]
	v_pk_mov_b32 v[8:9], v[6:7], v[6:7] op_sel:[0,1]
.LBB65_19:
	global_store_dword v[2:3], v8, off
	global_store_dword v[4:5], v9, off
.LBB65_20:
	s_endpgm
	.section	.rodata,"a",@progbits
	.p2align	6, 0x0
	.amdhsa_kernel _ZN9rocsolver6v33100L18trti2_kernel_smallILi2EfPKPfEEv13rocblas_fill_17rocblas_diagonal_T1_iil
		.amdhsa_group_segment_fixed_size 16
		.amdhsa_private_segment_fixed_size 0
		.amdhsa_kernarg_size 32
		.amdhsa_user_sgpr_count 6
		.amdhsa_user_sgpr_private_segment_buffer 1
		.amdhsa_user_sgpr_dispatch_ptr 0
		.amdhsa_user_sgpr_queue_ptr 0
		.amdhsa_user_sgpr_kernarg_segment_ptr 1
		.amdhsa_user_sgpr_dispatch_id 0
		.amdhsa_user_sgpr_flat_scratch_init 0
		.amdhsa_user_sgpr_kernarg_preload_length 0
		.amdhsa_user_sgpr_kernarg_preload_offset 0
		.amdhsa_user_sgpr_private_segment_size 0
		.amdhsa_uses_dynamic_stack 0
		.amdhsa_system_sgpr_private_segment_wavefront_offset 0
		.amdhsa_system_sgpr_workgroup_id_x 1
		.amdhsa_system_sgpr_workgroup_id_y 0
		.amdhsa_system_sgpr_workgroup_id_z 0
		.amdhsa_system_sgpr_workgroup_info 0
		.amdhsa_system_vgpr_workitem_id 0
		.amdhsa_next_free_vgpr 14
		.amdhsa_next_free_sgpr 12
		.amdhsa_accum_offset 16
		.amdhsa_reserve_vcc 1
		.amdhsa_reserve_flat_scratch 0
		.amdhsa_float_round_mode_32 0
		.amdhsa_float_round_mode_16_64 0
		.amdhsa_float_denorm_mode_32 3
		.amdhsa_float_denorm_mode_16_64 3
		.amdhsa_dx10_clamp 1
		.amdhsa_ieee_mode 1
		.amdhsa_fp16_overflow 0
		.amdhsa_tg_split 0
		.amdhsa_exception_fp_ieee_invalid_op 0
		.amdhsa_exception_fp_denorm_src 0
		.amdhsa_exception_fp_ieee_div_zero 0
		.amdhsa_exception_fp_ieee_overflow 0
		.amdhsa_exception_fp_ieee_underflow 0
		.amdhsa_exception_fp_ieee_inexact 0
		.amdhsa_exception_int_div_zero 0
	.end_amdhsa_kernel
	.section	.text._ZN9rocsolver6v33100L18trti2_kernel_smallILi2EfPKPfEEv13rocblas_fill_17rocblas_diagonal_T1_iil,"axG",@progbits,_ZN9rocsolver6v33100L18trti2_kernel_smallILi2EfPKPfEEv13rocblas_fill_17rocblas_diagonal_T1_iil,comdat
.Lfunc_end65:
	.size	_ZN9rocsolver6v33100L18trti2_kernel_smallILi2EfPKPfEEv13rocblas_fill_17rocblas_diagonal_T1_iil, .Lfunc_end65-_ZN9rocsolver6v33100L18trti2_kernel_smallILi2EfPKPfEEv13rocblas_fill_17rocblas_diagonal_T1_iil
                                        ; -- End function
	.section	.AMDGPU.csdata,"",@progbits
; Kernel info:
; codeLenInByte = 556
; NumSgprs: 16
; NumVgprs: 14
; NumAgprs: 0
; TotalNumVgprs: 14
; ScratchSize: 0
; MemoryBound: 0
; FloatMode: 240
; IeeeMode: 1
; LDSByteSize: 16 bytes/workgroup (compile time only)
; SGPRBlocks: 1
; VGPRBlocks: 1
; NumSGPRsForWavesPerEU: 16
; NumVGPRsForWavesPerEU: 14
; AccumOffset: 16
; Occupancy: 8
; WaveLimiterHint : 1
; COMPUTE_PGM_RSRC2:SCRATCH_EN: 0
; COMPUTE_PGM_RSRC2:USER_SGPR: 6
; COMPUTE_PGM_RSRC2:TRAP_HANDLER: 0
; COMPUTE_PGM_RSRC2:TGID_X_EN: 1
; COMPUTE_PGM_RSRC2:TGID_Y_EN: 0
; COMPUTE_PGM_RSRC2:TGID_Z_EN: 0
; COMPUTE_PGM_RSRC2:TIDIG_COMP_CNT: 0
; COMPUTE_PGM_RSRC3_GFX90A:ACCUM_OFFSET: 3
; COMPUTE_PGM_RSRC3_GFX90A:TG_SPLIT: 0
	.section	.text._ZN9rocsolver6v33100L18trti2_kernel_smallILi3EfPKPfEEv13rocblas_fill_17rocblas_diagonal_T1_iil,"axG",@progbits,_ZN9rocsolver6v33100L18trti2_kernel_smallILi3EfPKPfEEv13rocblas_fill_17rocblas_diagonal_T1_iil,comdat
	.globl	_ZN9rocsolver6v33100L18trti2_kernel_smallILi3EfPKPfEEv13rocblas_fill_17rocblas_diagonal_T1_iil ; -- Begin function _ZN9rocsolver6v33100L18trti2_kernel_smallILi3EfPKPfEEv13rocblas_fill_17rocblas_diagonal_T1_iil
	.p2align	8
	.type	_ZN9rocsolver6v33100L18trti2_kernel_smallILi3EfPKPfEEv13rocblas_fill_17rocblas_diagonal_T1_iil,@function
_ZN9rocsolver6v33100L18trti2_kernel_smallILi3EfPKPfEEv13rocblas_fill_17rocblas_diagonal_T1_iil: ; @_ZN9rocsolver6v33100L18trti2_kernel_smallILi3EfPKPfEEv13rocblas_fill_17rocblas_diagonal_T1_iil
; %bb.0:
	v_cmp_gt_u32_e32 vcc, 3, v0
	s_and_saveexec_b64 s[0:1], vcc
	s_cbranch_execz .LBB66_34
; %bb.1:
	s_load_dwordx2 s[0:1], s[4:5], 0x10
	s_load_dwordx4 s[8:11], s[4:5], 0x0
	s_ashr_i32 s7, s6, 31
	s_lshl_b64 s[2:3], s[6:7], 3
	v_lshlrev_b32_e32 v1, 2, v0
	s_waitcnt lgkmcnt(0)
	s_ashr_i32 s5, s0, 31
	s_add_u32 s2, s10, s2
	s_addc_u32 s3, s11, s3
	s_load_dwordx2 s[2:3], s[2:3], 0x0
	s_mov_b32 s4, s0
	s_lshl_b64 s[4:5], s[4:5], 2
	s_waitcnt lgkmcnt(0)
	s_add_u32 s2, s2, s4
	s_addc_u32 s3, s3, s5
	v_mov_b32_e32 v2, s3
	v_add_co_u32_e32 v10, vcc, s2, v1
	s_ashr_i32 s5, s1, 31
	s_mov_b32 s4, s1
	s_add_i32 s0, s1, s1
	v_addc_co_u32_e32 v11, vcc, 0, v2, vcc
	s_lshl_b64 s[4:5], s[4:5], 2
	v_add_u32_e32 v4, s0, v0
	v_mov_b32_e32 v2, s5
	v_add_co_u32_e32 v12, vcc, s4, v10
	v_ashrrev_i32_e32 v5, 31, v4
	v_addc_co_u32_e32 v13, vcc, v11, v2, vcc
	v_lshlrev_b64 v[4:5], 2, v[4:5]
	v_mov_b32_e32 v2, s3
	v_add_co_u32_e32 v14, vcc, s2, v4
	global_load_dword v3, v[12:13], off
	v_addc_co_u32_e32 v15, vcc, v2, v5, vcc
	global_load_dword v2, v1, s[2:3]
	global_load_dword v4, v[14:15], off
	s_cmpk_lg_i32 s9, 0x84
	s_cselect_b64 s[6:7], -1, 0
	s_cmpk_eq_i32 s9, 0x84
	v_mov_b32_e32 v5, -1.0
	v_cmp_eq_u32_e64 s[0:1], 0, v0
	s_cbranch_scc1 .LBB66_3
; %bb.2:
	v_cmp_eq_u32_e64 s[2:3], 1, v0
	s_waitcnt vmcnt(1)
	v_cndmask_b32_e64 v5, v2, v3, s[2:3]
	v_cmp_eq_u32_e64 s[4:5], 2, v0
	s_waitcnt vmcnt(0)
	v_cndmask_b32_e64 v5, v5, v4, s[4:5]
	v_div_scale_f32 v6, s[10:11], v5, v5, 1.0
	v_rcp_f32_e32 v7, v6
	v_fma_f32 v8, -v6, v7, 1.0
	v_fmac_f32_e32 v7, v8, v7
	v_div_scale_f32 v8, vcc, 1.0, v5, 1.0
	v_mul_f32_e32 v9, v8, v7
	v_fma_f32 v16, -v6, v9, v8
	v_fmac_f32_e32 v9, v16, v7
	v_fma_f32 v6, -v6, v9, v8
	v_div_fmas_f32 v6, v6, v7, v9
	v_div_fixup_f32 v5, v6, v5, 1.0
	v_cndmask_b32_e64 v4, v4, v5, s[4:5]
	v_cndmask_b32_e64 v3, v3, v5, s[2:3]
	;; [unrolled: 1-line block ×3, first 2 shown]
	v_xor_b32_e32 v5, 0x80000000, v5
.LBB66_3:
	ds_write_b32 v1, v5
	s_cmpk_eq_i32 s8, 0x79
	v_add_u32_e32 v1, 16, v1
	s_cbranch_scc1 .LBB66_7
; %bb.4:
	s_waitcnt vmcnt(0)
	v_mov_b32_e32 v8, v4
	v_cmp_eq_u32_e64 s[0:1], 2, v0
	v_mov_b32_e32 v7, v3
	v_mov_b32_e32 v6, v2
	ds_write_b32 v1, v3
	s_waitcnt lgkmcnt(0)
	; wave barrier
	s_waitcnt lgkmcnt(0)
	s_and_saveexec_b64 s[2:3], s[0:1]
	s_cbranch_execz .LBB66_11
; %bb.5:
	s_and_b64 vcc, exec, s[6:7]
	s_cbranch_vccz .LBB66_8
; %bb.6:
	ds_read_b32 v5, v1
	v_cmp_eq_u32_e32 vcc, 1, v0
	v_cndmask_b32_e32 v6, v2, v3, vcc
	v_cmp_eq_u32_e32 vcc, 2, v0
	v_cndmask_b32_e32 v6, v6, v4, vcc
	s_waitcnt lgkmcnt(0)
	v_mul_f32_e32 v5, v6, v5
	s_cbranch_execz .LBB66_9
	s_branch .LBB66_10
.LBB66_7:
                                        ; implicit-def: $vgpr6_vgpr7_vgpr8
	s_cbranch_execnz .LBB66_18
	s_branch .LBB66_33
.LBB66_8:
                                        ; implicit-def: $vgpr5
.LBB66_9:
	ds_read_b32 v5, v1
.LBB66_10:
	v_mov_b32_e32 v6, 0
	ds_read_b32 v6, v6 offset:4
	s_waitcnt lgkmcnt(0)
	v_mul_f32_e32 v5, v5, v6
	v_mov_b32_e32 v8, v4
	v_mov_b32_e32 v7, v3
	;; [unrolled: 1-line block ×4, first 2 shown]
.LBB66_11:
	s_or_b64 exec, exec, s[2:3]
	v_cmp_ne_u32_e32 vcc, 0, v0
	ds_write_b32 v1, v6
	s_waitcnt lgkmcnt(0)
	; wave barrier
	s_waitcnt lgkmcnt(0)
	s_and_saveexec_b64 s[2:3], vcc
	s_cbranch_execz .LBB66_17
; %bb.12:
	s_andn2_b64 vcc, exec, s[6:7]
	s_cbranch_vccnz .LBB66_14
; %bb.13:
	ds_read_b32 v5, v1
	v_cmp_eq_u32_e32 vcc, 1, v0
	v_cndmask_b32_e32 v6, v6, v7, vcc
	v_cmp_eq_u32_e32 vcc, 2, v0
	v_cndmask_b32_e32 v6, v6, v8, vcc
	s_waitcnt lgkmcnt(0)
	v_mul_f32_e32 v5, v6, v5
	s_cbranch_execz .LBB66_15
	s_branch .LBB66_16
.LBB66_14:
                                        ; implicit-def: $vgpr5
.LBB66_15:
	ds_read_b32 v5, v1
.LBB66_16:
	v_mov_b32_e32 v6, 0
	ds_read2_b32 v[16:17], v6 offset1:5
	s_waitcnt lgkmcnt(0)
	v_fma_f32 v6, v7, v17, v5
	v_cndmask_b32_e64 v5, v5, v6, s[0:1]
	v_mul_f32_e32 v6, v5, v16
.LBB66_17:
	s_or_b64 exec, exec, s[2:3]
	s_branch .LBB66_33
.LBB66_18:
	v_cmp_eq_u32_e64 s[0:1], 0, v0
	s_waitcnt vmcnt(2)
	ds_write_b32 v1, v3
	s_waitcnt lgkmcnt(0)
	; wave barrier
	s_waitcnt lgkmcnt(0)
	s_and_saveexec_b64 s[2:3], s[0:1]
	s_cbranch_execz .LBB66_24
; %bb.19:
	s_and_b64 vcc, exec, s[6:7]
	s_cbranch_vccz .LBB66_21
; %bb.20:
	ds_read_b32 v5, v1
	v_cmp_eq_u32_e32 vcc, 1, v0
	s_waitcnt vmcnt(1)
	v_cndmask_b32_e32 v3, v2, v3, vcc
	v_cmp_eq_u32_e32 vcc, 2, v0
	s_waitcnt vmcnt(0)
	v_cndmask_b32_e32 v3, v3, v4, vcc
	s_waitcnt lgkmcnt(0)
	v_mul_f32_e32 v3, v3, v5
	s_cbranch_execz .LBB66_22
	s_branch .LBB66_23
.LBB66_21:
                                        ; implicit-def: $vgpr3
.LBB66_22:
	ds_read_b32 v3, v1
.LBB66_23:
	v_mov_b32_e32 v5, 0
	ds_read_b32 v5, v5 offset:4
	s_waitcnt lgkmcnt(0)
	v_mul_f32_e32 v3, v3, v5
.LBB66_24:
	s_or_b64 exec, exec, s[2:3]
	v_cmp_ne_u32_e32 vcc, 2, v0
	s_waitcnt vmcnt(0)
	ds_write_b32 v1, v4
	s_waitcnt lgkmcnt(0)
	; wave barrier
	s_waitcnt lgkmcnt(0)
	s_and_saveexec_b64 s[2:3], vcc
	s_cbranch_execz .LBB66_32
; %bb.25:
	s_andn2_b64 vcc, exec, s[6:7]
	s_cbranch_vccnz .LBB66_27
; %bb.26:
	ds_read_b32 v5, v1
	v_cmp_eq_u32_e32 vcc, 1, v0
	v_cndmask_b32_e32 v6, v2, v3, vcc
	v_cmp_eq_u32_e32 vcc, 2, v0
	v_cndmask_b32_e32 v6, v6, v4, vcc
	s_waitcnt lgkmcnt(0)
	v_mul_f32_e32 v5, v6, v5
	s_cbranch_execz .LBB66_28
	s_branch .LBB66_29
.LBB66_27:
                                        ; implicit-def: $vgpr5
.LBB66_28:
	ds_read_b32 v5, v1
.LBB66_29:
	s_and_saveexec_b64 s[4:5], s[0:1]
	s_cbranch_execz .LBB66_31
; %bb.30:
	ds_read_b32 v1, v1 offset:4
	v_add_u32_e32 v0, 1, v0
	v_cmp_eq_u32_e32 vcc, 1, v0
	v_cndmask_b32_e32 v6, v2, v3, vcc
	v_cmp_eq_u32_e32 vcc, 2, v0
	v_cndmask_b32_e32 v0, v6, v4, vcc
	s_waitcnt lgkmcnt(0)
	v_fmac_f32_e32 v5, v0, v1
.LBB66_31:
	s_or_b64 exec, exec, s[4:5]
	v_mov_b32_e32 v0, 0
	ds_read_b32 v0, v0 offset:8
	s_waitcnt lgkmcnt(0)
	v_mul_f32_e32 v4, v5, v0
.LBB66_32:
	s_or_b64 exec, exec, s[2:3]
	v_mov_b32_e32 v8, v4
	v_mov_b32_e32 v7, v3
	;; [unrolled: 1-line block ×3, first 2 shown]
.LBB66_33:
	global_store_dword v[10:11], v6, off
	global_store_dword v[12:13], v7, off
	;; [unrolled: 1-line block ×3, first 2 shown]
.LBB66_34:
	s_endpgm
	.section	.rodata,"a",@progbits
	.p2align	6, 0x0
	.amdhsa_kernel _ZN9rocsolver6v33100L18trti2_kernel_smallILi3EfPKPfEEv13rocblas_fill_17rocblas_diagonal_T1_iil
		.amdhsa_group_segment_fixed_size 28
		.amdhsa_private_segment_fixed_size 0
		.amdhsa_kernarg_size 32
		.amdhsa_user_sgpr_count 6
		.amdhsa_user_sgpr_private_segment_buffer 1
		.amdhsa_user_sgpr_dispatch_ptr 0
		.amdhsa_user_sgpr_queue_ptr 0
		.amdhsa_user_sgpr_kernarg_segment_ptr 1
		.amdhsa_user_sgpr_dispatch_id 0
		.amdhsa_user_sgpr_flat_scratch_init 0
		.amdhsa_user_sgpr_kernarg_preload_length 0
		.amdhsa_user_sgpr_kernarg_preload_offset 0
		.amdhsa_user_sgpr_private_segment_size 0
		.amdhsa_uses_dynamic_stack 0
		.amdhsa_system_sgpr_private_segment_wavefront_offset 0
		.amdhsa_system_sgpr_workgroup_id_x 1
		.amdhsa_system_sgpr_workgroup_id_y 0
		.amdhsa_system_sgpr_workgroup_id_z 0
		.amdhsa_system_sgpr_workgroup_info 0
		.amdhsa_system_vgpr_workitem_id 0
		.amdhsa_next_free_vgpr 18
		.amdhsa_next_free_sgpr 12
		.amdhsa_accum_offset 20
		.amdhsa_reserve_vcc 1
		.amdhsa_reserve_flat_scratch 0
		.amdhsa_float_round_mode_32 0
		.amdhsa_float_round_mode_16_64 0
		.amdhsa_float_denorm_mode_32 3
		.amdhsa_float_denorm_mode_16_64 3
		.amdhsa_dx10_clamp 1
		.amdhsa_ieee_mode 1
		.amdhsa_fp16_overflow 0
		.amdhsa_tg_split 0
		.amdhsa_exception_fp_ieee_invalid_op 0
		.amdhsa_exception_fp_denorm_src 0
		.amdhsa_exception_fp_ieee_div_zero 0
		.amdhsa_exception_fp_ieee_overflow 0
		.amdhsa_exception_fp_ieee_underflow 0
		.amdhsa_exception_fp_ieee_inexact 0
		.amdhsa_exception_int_div_zero 0
	.end_amdhsa_kernel
	.section	.text._ZN9rocsolver6v33100L18trti2_kernel_smallILi3EfPKPfEEv13rocblas_fill_17rocblas_diagonal_T1_iil,"axG",@progbits,_ZN9rocsolver6v33100L18trti2_kernel_smallILi3EfPKPfEEv13rocblas_fill_17rocblas_diagonal_T1_iil,comdat
.Lfunc_end66:
	.size	_ZN9rocsolver6v33100L18trti2_kernel_smallILi3EfPKPfEEv13rocblas_fill_17rocblas_diagonal_T1_iil, .Lfunc_end66-_ZN9rocsolver6v33100L18trti2_kernel_smallILi3EfPKPfEEv13rocblas_fill_17rocblas_diagonal_T1_iil
                                        ; -- End function
	.section	.AMDGPU.csdata,"",@progbits
; Kernel info:
; codeLenInByte = 972
; NumSgprs: 16
; NumVgprs: 18
; NumAgprs: 0
; TotalNumVgprs: 18
; ScratchSize: 0
; MemoryBound: 0
; FloatMode: 240
; IeeeMode: 1
; LDSByteSize: 28 bytes/workgroup (compile time only)
; SGPRBlocks: 1
; VGPRBlocks: 2
; NumSGPRsForWavesPerEU: 16
; NumVGPRsForWavesPerEU: 18
; AccumOffset: 20
; Occupancy: 8
; WaveLimiterHint : 1
; COMPUTE_PGM_RSRC2:SCRATCH_EN: 0
; COMPUTE_PGM_RSRC2:USER_SGPR: 6
; COMPUTE_PGM_RSRC2:TRAP_HANDLER: 0
; COMPUTE_PGM_RSRC2:TGID_X_EN: 1
; COMPUTE_PGM_RSRC2:TGID_Y_EN: 0
; COMPUTE_PGM_RSRC2:TGID_Z_EN: 0
; COMPUTE_PGM_RSRC2:TIDIG_COMP_CNT: 0
; COMPUTE_PGM_RSRC3_GFX90A:ACCUM_OFFSET: 4
; COMPUTE_PGM_RSRC3_GFX90A:TG_SPLIT: 0
	.section	.text._ZN9rocsolver6v33100L18trti2_kernel_smallILi4EfPKPfEEv13rocblas_fill_17rocblas_diagonal_T1_iil,"axG",@progbits,_ZN9rocsolver6v33100L18trti2_kernel_smallILi4EfPKPfEEv13rocblas_fill_17rocblas_diagonal_T1_iil,comdat
	.globl	_ZN9rocsolver6v33100L18trti2_kernel_smallILi4EfPKPfEEv13rocblas_fill_17rocblas_diagonal_T1_iil ; -- Begin function _ZN9rocsolver6v33100L18trti2_kernel_smallILi4EfPKPfEEv13rocblas_fill_17rocblas_diagonal_T1_iil
	.p2align	8
	.type	_ZN9rocsolver6v33100L18trti2_kernel_smallILi4EfPKPfEEv13rocblas_fill_17rocblas_diagonal_T1_iil,@function
_ZN9rocsolver6v33100L18trti2_kernel_smallILi4EfPKPfEEv13rocblas_fill_17rocblas_diagonal_T1_iil: ; @_ZN9rocsolver6v33100L18trti2_kernel_smallILi4EfPKPfEEv13rocblas_fill_17rocblas_diagonal_T1_iil
; %bb.0:
	v_cmp_gt_u32_e32 vcc, 4, v0
	s_and_saveexec_b64 s[0:1], vcc
	s_cbranch_execz .LBB67_58
; %bb.1:
	s_load_dwordx2 s[0:1], s[4:5], 0x10
	s_load_dwordx4 s[8:11], s[4:5], 0x0
	s_ashr_i32 s7, s6, 31
	s_lshl_b64 s[2:3], s[6:7], 3
	v_lshlrev_b32_e32 v1, 2, v0
	s_waitcnt lgkmcnt(0)
	s_ashr_i32 s5, s0, 31
	s_add_u32 s2, s10, s2
	s_addc_u32 s3, s11, s3
	s_load_dwordx2 s[2:3], s[2:3], 0x0
	s_mov_b32 s4, s0
	s_lshl_b64 s[4:5], s[4:5], 2
	s_waitcnt lgkmcnt(0)
	s_add_u32 s2, s2, s4
	s_addc_u32 s3, s3, s5
	v_mov_b32_e32 v2, s3
	v_add_co_u32_e32 v10, vcc, s2, v1
	s_ashr_i32 s5, s1, 31
	s_mov_b32 s4, s1
	v_addc_co_u32_e32 v11, vcc, 0, v2, vcc
	s_lshl_b64 s[4:5], s[4:5], 2
	v_mov_b32_e32 v2, s5
	v_add_co_u32_e32 v12, vcc, s4, v10
	s_add_i32 s0, s1, s1
	v_addc_co_u32_e32 v13, vcc, v11, v2, vcc
	v_add_u32_e32 v2, s0, v0
	v_ashrrev_i32_e32 v3, 31, v2
	v_lshlrev_b64 v[4:5], 2, v[2:3]
	v_add_u32_e32 v6, s1, v2
	v_mov_b32_e32 v3, s3
	v_add_co_u32_e32 v14, vcc, s2, v4
	v_ashrrev_i32_e32 v7, 31, v6
	v_addc_co_u32_e32 v15, vcc, v3, v5, vcc
	v_lshlrev_b64 v[6:7], 2, v[6:7]
	v_mov_b32_e32 v2, s3
	v_add_co_u32_e32 v16, vcc, s2, v6
	global_load_dword v3, v[12:13], off
	global_load_dword v4, v[14:15], off
	v_addc_co_u32_e32 v17, vcc, v2, v7, vcc
	global_load_dword v2, v1, s[2:3]
	global_load_dword v5, v[16:17], off
	s_cmpk_lg_i32 s9, 0x84
	s_cselect_b64 s[10:11], -1, 0
	s_cmpk_eq_i32 s9, 0x84
	v_mov_b32_e32 v6, -1.0
	v_cmp_eq_u32_e64 s[0:1], 0, v0
	s_cbranch_scc1 .LBB67_3
; %bb.2:
	v_cmp_eq_u32_e64 s[2:3], 1, v0
	s_waitcnt vmcnt(1)
	v_cndmask_b32_e64 v6, v2, v3, s[2:3]
	v_cmp_eq_u32_e64 s[4:5], 2, v0
	v_cndmask_b32_e64 v6, v6, v4, s[4:5]
	v_cmp_eq_u32_e64 s[6:7], 3, v0
	s_waitcnt vmcnt(0)
	v_cndmask_b32_e64 v6, v6, v5, s[6:7]
	v_div_scale_f32 v7, s[12:13], v6, v6, 1.0
	v_rcp_f32_e32 v8, v7
	v_fma_f32 v9, -v7, v8, 1.0
	v_fmac_f32_e32 v8, v9, v8
	v_div_scale_f32 v9, vcc, 1.0, v6, 1.0
	v_mul_f32_e32 v18, v9, v8
	v_fma_f32 v19, -v7, v18, v9
	v_fmac_f32_e32 v18, v19, v8
	v_fma_f32 v7, -v7, v18, v9
	v_div_fmas_f32 v7, v7, v8, v18
	v_div_fixup_f32 v6, v7, v6, 1.0
	v_cndmask_b32_e64 v5, v5, v6, s[6:7]
	v_cndmask_b32_e64 v4, v4, v6, s[4:5]
	;; [unrolled: 1-line block ×4, first 2 shown]
	v_xor_b32_e32 v6, 0x80000000, v6
.LBB67_3:
	s_cmpk_eq_i32 s8, 0x79
	v_add_u32_e32 v19, 16, v1
	ds_write_b32 v1, v6
	s_cbranch_scc1 .LBB67_7
; %bb.4:
	s_waitcnt vmcnt(0)
	v_pk_mov_b32 v[8:9], v[4:5], v[4:5] op_sel:[0,1]
	v_cmp_eq_u32_e64 s[2:3], 3, v0
	v_pk_mov_b32 v[6:7], v[2:3], v[2:3] op_sel:[0,1]
	ds_write_b32 v19, v4
	s_waitcnt lgkmcnt(0)
	; wave barrier
	s_waitcnt lgkmcnt(0)
	s_and_saveexec_b64 s[0:1], s[2:3]
	s_cbranch_execz .LBB67_11
; %bb.5:
	s_and_b64 vcc, exec, s[10:11]
	s_cbranch_vccz .LBB67_8
; %bb.6:
	ds_read_b32 v6, v19
	v_cmp_eq_u32_e32 vcc, 1, v0
	v_cndmask_b32_e32 v1, v2, v3, vcc
	v_cmp_eq_u32_e32 vcc, 2, v0
	v_cndmask_b32_e32 v1, v1, v4, vcc
	;; [unrolled: 2-line block ×3, first 2 shown]
	s_waitcnt lgkmcnt(0)
	v_mul_f32_e32 v1, v1, v6
	s_cbranch_execz .LBB67_9
	s_branch .LBB67_10
.LBB67_7:
                                        ; implicit-def: $vgpr6_vgpr7_vgpr8_vgpr9
	s_cbranch_execnz .LBB67_34
	s_branch .LBB67_57
.LBB67_8:
                                        ; implicit-def: $vgpr1
.LBB67_9:
	ds_read_b32 v1, v19
.LBB67_10:
	v_mov_b32_e32 v6, 0
	ds_read_b32 v6, v6 offset:8
	s_waitcnt lgkmcnt(0)
	v_mul_f32_e32 v1, v1, v6
	v_pk_mov_b32 v[8:9], v[4:5], v[4:5] op_sel:[0,1]
	v_pk_mov_b32 v[6:7], v[2:3], v[2:3] op_sel:[0,1]
	v_mov_b32_e32 v8, v1
.LBB67_11:
	s_or_b64 exec, exec, s[0:1]
	v_cmp_lt_u32_e64 s[0:1], 1, v0
	ds_write_b32 v19, v7
	s_waitcnt lgkmcnt(0)
	; wave barrier
	s_waitcnt lgkmcnt(0)
	s_and_saveexec_b64 s[4:5], s[0:1]
	s_cbranch_execz .LBB67_17
; %bb.12:
	s_andn2_b64 vcc, exec, s[10:11]
	s_cbranch_vccnz .LBB67_14
; %bb.13:
	v_cmp_eq_u32_e32 vcc, 1, v0
	v_cndmask_b32_e32 v1, v6, v7, vcc
	ds_read_b32 v7, v19
	v_cmp_eq_u32_e32 vcc, 2, v0
	v_cndmask_b32_e32 v1, v1, v8, vcc
	v_cmp_eq_u32_e32 vcc, 3, v0
	v_cndmask_b32_e32 v1, v1, v9, vcc
	s_waitcnt lgkmcnt(0)
	v_mul_f32_e32 v1, v1, v7
	s_cbranch_execz .LBB67_15
	s_branch .LBB67_16
.LBB67_14:
                                        ; implicit-def: $vgpr1
.LBB67_15:
	ds_read_b32 v1, v19
.LBB67_16:
	v_mov_b32_e32 v7, 0
	ds_read2_b32 v[20:21], v7 offset0:1 offset1:6
	s_waitcnt lgkmcnt(0)
	v_fma_f32 v7, v8, v21, v1
	v_cndmask_b32_e64 v1, v1, v7, s[2:3]
	v_mul_f32_e32 v7, v1, v20
.LBB67_17:
	s_or_b64 exec, exec, s[4:5]
	v_cmp_ne_u32_e32 vcc, 0, v0
	ds_write_b32 v19, v6
	s_waitcnt lgkmcnt(0)
	; wave barrier
	s_waitcnt lgkmcnt(0)
	s_and_saveexec_b64 s[2:3], vcc
	s_cbranch_execz .LBB67_33
; %bb.18:
	s_andn2_b64 vcc, exec, s[10:11]
	s_cbranch_vccnz .LBB67_20
; %bb.19:
	ds_read_b32 v18, v19
	v_cmp_eq_u32_e32 vcc, 1, v0
	v_cndmask_b32_e32 v1, v6, v7, vcc
	v_cmp_eq_u32_e32 vcc, 2, v0
	v_cndmask_b32_e32 v1, v1, v8, vcc
	v_cmp_eq_u32_e32 vcc, 3, v0
	v_cndmask_b32_e32 v1, v1, v9, vcc
	s_waitcnt lgkmcnt(0)
	v_mul_f32_e32 v21, v1, v18
	s_cbranch_execz .LBB67_21
	s_branch .LBB67_22
.LBB67_20:
                                        ; implicit-def: $vgpr21
.LBB67_21:
	ds_read_b32 v21, v19
.LBB67_22:
	s_and_saveexec_b64 s[4:5], s[0:1]
	s_cbranch_execz .LBB67_32
; %bb.23:
	v_add_u32_e32 v18, -2, v0
	v_add_u32_e32 v1, -1, v0
	v_cmp_lt_u32_e32 vcc, 6, v18
	v_mov_b32_e32 v20, 1
	s_and_saveexec_b64 s[0:1], vcc
	s_cbranch_execz .LBB67_27
; %bb.24:
	v_and_b32_e32 v18, -8, v1
	v_sub_u32_e32 v18, 0, v18
	s_mov_b64 s[6:7], 8
	s_mov_b32 s12, 20
	s_mov_b64 s[8:9], 0
.LBB67_25:                              ; =>This Inner Loop Header: Depth=1
	s_add_i32 s13, s6, -7
	s_cmp_eq_u32 s13, 1
	v_mov_b32_e32 v20, s12
	s_cselect_b64 vcc, -1, 0
	s_cmp_eq_u32 s13, 2
	ds_read2_b32 v[22:23], v20 offset1:1
	ds_read2_b32 v[24:25], v20 offset0:2 offset1:3
	ds_read2_b32 v[26:27], v20 offset0:4 offset1:5
	;; [unrolled: 1-line block ×3, first 2 shown]
	v_cndmask_b32_e32 v20, v6, v7, vcc
	s_cselect_b64 vcc, -1, 0
	s_cmp_eq_u32 s13, 3
	v_cndmask_b32_e32 v20, v20, v8, vcc
	s_cselect_b64 vcc, -1, 0
	s_add_i32 s13, s6, -6
	s_cmp_eq_u32 s13, 1
	v_cndmask_b32_e32 v20, v20, v9, vcc
	s_cselect_b64 vcc, -1, 0
	s_cmp_eq_u32 s13, 2
	s_waitcnt lgkmcnt(3)
	v_fmac_f32_e32 v21, v20, v22
	v_cndmask_b32_e32 v20, v6, v7, vcc
	s_cselect_b64 vcc, -1, 0
	s_cmp_eq_u32 s13, 3
	v_cndmask_b32_e32 v20, v20, v8, vcc
	s_cselect_b64 vcc, -1, 0
	s_add_i32 s13, s6, -5
	s_cmp_eq_u32 s13, 1
	v_cndmask_b32_e32 v20, v20, v9, vcc
	s_cselect_b64 vcc, -1, 0
	s_cmp_eq_u32 s13, 2
	v_fmac_f32_e32 v21, v20, v23
	v_cndmask_b32_e32 v20, v6, v7, vcc
	s_cselect_b64 vcc, -1, 0
	s_cmp_eq_u32 s13, 3
	v_cndmask_b32_e32 v20, v20, v8, vcc
	s_cselect_b64 vcc, -1, 0
	s_add_i32 s13, s6, -4
	s_cmp_eq_u32 s13, 1
	v_cndmask_b32_e32 v20, v20, v9, vcc
	s_cselect_b64 vcc, -1, 0
	s_cmp_eq_u32 s13, 2
	s_waitcnt lgkmcnt(2)
	v_fmac_f32_e32 v21, v20, v24
	v_cndmask_b32_e32 v20, v6, v7, vcc
	s_cselect_b64 vcc, -1, 0
	s_cmp_eq_u32 s13, 3
	v_cndmask_b32_e32 v20, v20, v8, vcc
	s_cselect_b64 vcc, -1, 0
	s_add_i32 s13, s6, -3
	s_cmp_eq_u32 s13, 1
	v_cndmask_b32_e32 v20, v20, v9, vcc
	s_cselect_b64 vcc, -1, 0
	s_cmp_eq_u32 s13, 2
	v_fmac_f32_e32 v21, v20, v25
	v_cndmask_b32_e32 v20, v6, v7, vcc
	s_cselect_b64 vcc, -1, 0
	s_cmp_eq_u32 s13, 3
	v_cndmask_b32_e32 v20, v20, v8, vcc
	s_cselect_b64 vcc, -1, 0
	s_add_i32 s13, s6, -2
	s_cmp_eq_u32 s13, 1
	v_cndmask_b32_e32 v20, v20, v9, vcc
	s_cselect_b64 vcc, -1, 0
	s_cmp_eq_u32 s13, 2
	s_waitcnt lgkmcnt(1)
	v_fmac_f32_e32 v21, v20, v26
	v_cndmask_b32_e32 v20, v6, v7, vcc
	s_cselect_b64 vcc, -1, 0
	s_cmp_eq_u32 s13, 3
	v_cndmask_b32_e32 v20, v20, v8, vcc
	s_cselect_b64 vcc, -1, 0
	s_add_i32 s13, s6, -1
	s_cmp_eq_u32 s13, 1
	v_cndmask_b32_e32 v20, v20, v9, vcc
	s_cselect_b64 vcc, -1, 0
	s_cmp_eq_u32 s13, 2
	v_fmac_f32_e32 v21, v20, v27
	v_cndmask_b32_e32 v20, v6, v7, vcc
	s_cselect_b64 vcc, -1, 0
	s_cmp_eq_u32 s13, 3
	v_cndmask_b32_e32 v20, v20, v8, vcc
	s_cselect_b64 vcc, -1, 0
	s_cmp_eq_u32 s6, 1
	;; [unrolled: 3-line block ×3, first 2 shown]
	s_waitcnt lgkmcnt(0)
	v_fmac_f32_e32 v21, v20, v28
	v_cndmask_b32_e32 v20, v6, v7, vcc
	s_cselect_b64 vcc, -1, 0
	s_cmp_eq_u32 s6, 3
	v_cndmask_b32_e32 v20, v20, v8, vcc
	s_cselect_b64 vcc, -1, 0
	v_cndmask_b32_e32 v20, v20, v9, vcc
	s_add_u32 s6, s6, 8
	v_fmac_f32_e32 v21, v20, v29
	v_add_u32_e32 v20, s6, v18
	s_addc_u32 s7, s7, 0
	s_add_i32 s12, s12, 32
	s_add_i32 s13, s6, -7
	v_cmp_eq_u32_e32 vcc, 8, v20
	s_or_b64 s[8:9], vcc, s[8:9]
	v_mov_b32_e32 v20, s13
	s_andn2_b64 exec, exec, s[8:9]
	s_cbranch_execnz .LBB67_25
; %bb.26:
	s_or_b64 exec, exec, s[8:9]
.LBB67_27:
	s_or_b64 exec, exec, s[0:1]
	v_and_b32_e32 v18, 7, v1
	v_cmp_ne_u32_e32 vcc, 0, v18
	s_and_saveexec_b64 s[6:7], vcc
	s_cbranch_execz .LBB67_31
; %bb.28:
	v_lshl_add_u32 v22, v20, 2, 16
	v_mov_b32_e32 v1, 0
	s_mov_b64 s[8:9], 0
.LBB67_29:                              ; =>This Inner Loop Header: Depth=1
	v_cmp_eq_u32_e32 vcc, 1, v20
	ds_read_b32 v24, v22
	v_cndmask_b32_e32 v23, v6, v7, vcc
	v_cmp_eq_u32_e32 vcc, 2, v20
	v_cndmask_b32_e32 v23, v23, v8, vcc
	v_cmp_eq_u32_e32 vcc, 3, v20
	v_add_co_u32_e64 v20, s[0:1], 1, v20
	v_add_u32_e32 v18, -1, v18
	v_addc_co_u32_e64 v1, s[0:1], 0, v1, s[0:1]
	v_cmp_eq_u32_e64 s[0:1], 0, v18
	v_cndmask_b32_e32 v23, v23, v9, vcc
	v_add_u32_e32 v22, 4, v22
	s_or_b64 s[8:9], s[0:1], s[8:9]
	s_waitcnt lgkmcnt(0)
	v_fmac_f32_e32 v21, v23, v24
	s_andn2_b64 exec, exec, s[8:9]
	s_cbranch_execnz .LBB67_29
; %bb.30:
	s_or_b64 exec, exec, s[8:9]
.LBB67_31:
	s_or_b64 exec, exec, s[6:7]
.LBB67_32:
	s_or_b64 exec, exec, s[4:5]
	v_mov_b32_e32 v1, 0
	ds_read_b32 v1, v1
	s_waitcnt lgkmcnt(0)
	v_mul_f32_e32 v6, v21, v1
.LBB67_33:
	s_or_b64 exec, exec, s[2:3]
	s_branch .LBB67_57
.LBB67_34:
	v_cmp_eq_u32_e64 s[0:1], 0, v0
	s_waitcnt vmcnt(3)
	ds_write_b32 v19, v3
	s_waitcnt lgkmcnt(0)
	; wave barrier
	s_waitcnt lgkmcnt(0)
	s_and_saveexec_b64 s[2:3], s[0:1]
	s_cbranch_execz .LBB67_40
; %bb.35:
	s_and_b64 vcc, exec, s[10:11]
	s_cbranch_vccz .LBB67_37
; %bb.36:
	v_cmp_eq_u32_e32 vcc, 1, v0
	s_waitcnt vmcnt(1)
	v_cndmask_b32_e32 v1, v2, v3, vcc
	ds_read_b32 v3, v19
	v_cmp_eq_u32_e32 vcc, 2, v0
	v_cndmask_b32_e32 v1, v1, v4, vcc
	v_cmp_eq_u32_e32 vcc, 3, v0
	s_waitcnt vmcnt(0)
	v_cndmask_b32_e32 v1, v1, v5, vcc
	s_waitcnt lgkmcnt(0)
	v_mul_f32_e32 v1, v1, v3
	s_cbranch_execz .LBB67_38
	s_branch .LBB67_39
.LBB67_37:
                                        ; implicit-def: $vgpr1
.LBB67_38:
	ds_read_b32 v1, v19
.LBB67_39:
	v_mov_b32_e32 v3, 0
	ds_read_b32 v3, v3 offset:4
	s_waitcnt lgkmcnt(0)
	v_mul_f32_e32 v3, v1, v3
.LBB67_40:
	s_or_b64 exec, exec, s[2:3]
	v_cndmask_b32_e64 v6, 0, 1, s[10:11]
	v_add_u32_e32 v1, 1, v0
	v_cmp_gt_u32_e64 s[2:3], 2, v0
	v_cmp_ne_u32_e64 s[4:5], 1, v6
	s_waitcnt vmcnt(2)
	ds_write_b32 v19, v4
	s_waitcnt lgkmcnt(0)
	; wave barrier
	s_waitcnt lgkmcnt(0)
	s_and_saveexec_b64 s[6:7], s[2:3]
	s_cbranch_execz .LBB67_48
; %bb.41:
	s_and_b64 vcc, exec, s[4:5]
	s_cbranch_vccnz .LBB67_43
; %bb.42:
	ds_read_b32 v7, v19
	v_cmp_eq_u32_e32 vcc, 1, v0
	s_waitcnt vmcnt(1)
	v_cndmask_b32_e32 v6, v2, v3, vcc
	v_cmp_eq_u32_e32 vcc, 2, v0
	v_cndmask_b32_e32 v6, v6, v4, vcc
	v_cmp_eq_u32_e32 vcc, 3, v0
	s_waitcnt vmcnt(0)
	v_cndmask_b32_e32 v6, v6, v5, vcc
	s_waitcnt lgkmcnt(0)
	v_mul_f32_e32 v6, v6, v7
	s_cbranch_execz .LBB67_44
	s_branch .LBB67_45
.LBB67_43:
                                        ; implicit-def: $vgpr6
.LBB67_44:
	ds_read_b32 v6, v19
.LBB67_45:
	s_and_saveexec_b64 s[8:9], s[0:1]
	s_cbranch_execz .LBB67_47
; %bb.46:
	ds_read_b32 v8, v19 offset:4
	v_cmp_eq_u32_e32 vcc, 1, v1
	s_waitcnt vmcnt(1)
	v_cndmask_b32_e32 v7, v2, v3, vcc
	v_cmp_eq_u32_e32 vcc, 2, v1
	v_cndmask_b32_e32 v4, v7, v4, vcc
	v_cmp_eq_u32_e32 vcc, 3, v1
	s_waitcnt vmcnt(0)
	v_cndmask_b32_e32 v4, v4, v5, vcc
	s_waitcnt lgkmcnt(0)
	v_fmac_f32_e32 v6, v4, v8
.LBB67_47:
	s_or_b64 exec, exec, s[8:9]
	v_mov_b32_e32 v4, 0
	ds_read_b32 v4, v4 offset:8
	s_waitcnt lgkmcnt(0)
	v_mul_f32_e32 v4, v6, v4
.LBB67_48:
	s_or_b64 exec, exec, s[6:7]
	v_cmp_ne_u32_e32 vcc, 3, v0
	s_waitcnt vmcnt(0)
	ds_write_b32 v19, v5
	s_waitcnt lgkmcnt(0)
	; wave barrier
	s_waitcnt lgkmcnt(0)
	s_and_saveexec_b64 s[6:7], vcc
	s_cbranch_execz .LBB67_56
; %bb.49:
	s_and_b64 vcc, exec, s[4:5]
	s_cbranch_vccnz .LBB67_51
; %bb.50:
	ds_read_b32 v7, v19
	v_cmp_eq_u32_e32 vcc, 1, v0
	v_cndmask_b32_e32 v6, v2, v3, vcc
	v_cmp_eq_u32_e32 vcc, 2, v0
	v_cndmask_b32_e32 v6, v6, v4, vcc
	;; [unrolled: 2-line block ×3, first 2 shown]
	s_waitcnt lgkmcnt(0)
	v_mul_f32_e32 v0, v0, v7
	s_cbranch_execz .LBB67_52
	s_branch .LBB67_53
.LBB67_51:
                                        ; implicit-def: $vgpr0
.LBB67_52:
	ds_read_b32 v0, v19
.LBB67_53:
	s_and_saveexec_b64 s[4:5], s[2:3]
	s_cbranch_execz .LBB67_55
; %bb.54:
	v_mov_b32_e32 v7, 0
	v_cmp_eq_u32_e32 vcc, 1, v1
	ds_read_b32 v8, v19 offset:4
	ds_read_b32 v7, v7 offset:24
	v_cndmask_b32_e32 v6, v2, v3, vcc
	v_cmp_eq_u32_e32 vcc, 2, v1
	v_cndmask_b32_e32 v6, v6, v4, vcc
	v_cmp_eq_u32_e32 vcc, 3, v1
	v_cndmask_b32_e32 v1, v6, v5, vcc
	s_waitcnt lgkmcnt(1)
	v_fmac_f32_e32 v0, v1, v8
	s_waitcnt lgkmcnt(0)
	v_fma_f32 v1, v4, v7, v0
	v_cndmask_b32_e64 v0, v0, v1, s[0:1]
.LBB67_55:
	s_or_b64 exec, exec, s[4:5]
	v_mov_b32_e32 v1, 0
	ds_read_b32 v1, v1 offset:12
	s_waitcnt lgkmcnt(0)
	v_mul_f32_e32 v5, v0, v1
.LBB67_56:
	s_or_b64 exec, exec, s[6:7]
	v_pk_mov_b32 v[8:9], v[4:5], v[4:5] op_sel:[0,1]
	v_pk_mov_b32 v[6:7], v[2:3], v[2:3] op_sel:[0,1]
.LBB67_57:
	global_store_dword v[10:11], v6, off
	global_store_dword v[12:13], v7, off
	;; [unrolled: 1-line block ×4, first 2 shown]
.LBB67_58:
	s_endpgm
	.section	.rodata,"a",@progbits
	.p2align	6, 0x0
	.amdhsa_kernel _ZN9rocsolver6v33100L18trti2_kernel_smallILi4EfPKPfEEv13rocblas_fill_17rocblas_diagonal_T1_iil
		.amdhsa_group_segment_fixed_size 32
		.amdhsa_private_segment_fixed_size 0
		.amdhsa_kernarg_size 32
		.amdhsa_user_sgpr_count 6
		.amdhsa_user_sgpr_private_segment_buffer 1
		.amdhsa_user_sgpr_dispatch_ptr 0
		.amdhsa_user_sgpr_queue_ptr 0
		.amdhsa_user_sgpr_kernarg_segment_ptr 1
		.amdhsa_user_sgpr_dispatch_id 0
		.amdhsa_user_sgpr_flat_scratch_init 0
		.amdhsa_user_sgpr_kernarg_preload_length 0
		.amdhsa_user_sgpr_kernarg_preload_offset 0
		.amdhsa_user_sgpr_private_segment_size 0
		.amdhsa_uses_dynamic_stack 0
		.amdhsa_system_sgpr_private_segment_wavefront_offset 0
		.amdhsa_system_sgpr_workgroup_id_x 1
		.amdhsa_system_sgpr_workgroup_id_y 0
		.amdhsa_system_sgpr_workgroup_id_z 0
		.amdhsa_system_sgpr_workgroup_info 0
		.amdhsa_system_vgpr_workitem_id 0
		.amdhsa_next_free_vgpr 30
		.amdhsa_next_free_sgpr 14
		.amdhsa_accum_offset 32
		.amdhsa_reserve_vcc 1
		.amdhsa_reserve_flat_scratch 0
		.amdhsa_float_round_mode_32 0
		.amdhsa_float_round_mode_16_64 0
		.amdhsa_float_denorm_mode_32 3
		.amdhsa_float_denorm_mode_16_64 3
		.amdhsa_dx10_clamp 1
		.amdhsa_ieee_mode 1
		.amdhsa_fp16_overflow 0
		.amdhsa_tg_split 0
		.amdhsa_exception_fp_ieee_invalid_op 0
		.amdhsa_exception_fp_denorm_src 0
		.amdhsa_exception_fp_ieee_div_zero 0
		.amdhsa_exception_fp_ieee_overflow 0
		.amdhsa_exception_fp_ieee_underflow 0
		.amdhsa_exception_fp_ieee_inexact 0
		.amdhsa_exception_int_div_zero 0
	.end_amdhsa_kernel
	.section	.text._ZN9rocsolver6v33100L18trti2_kernel_smallILi4EfPKPfEEv13rocblas_fill_17rocblas_diagonal_T1_iil,"axG",@progbits,_ZN9rocsolver6v33100L18trti2_kernel_smallILi4EfPKPfEEv13rocblas_fill_17rocblas_diagonal_T1_iil,comdat
.Lfunc_end67:
	.size	_ZN9rocsolver6v33100L18trti2_kernel_smallILi4EfPKPfEEv13rocblas_fill_17rocblas_diagonal_T1_iil, .Lfunc_end67-_ZN9rocsolver6v33100L18trti2_kernel_smallILi4EfPKPfEEv13rocblas_fill_17rocblas_diagonal_T1_iil
                                        ; -- End function
	.section	.AMDGPU.csdata,"",@progbits
; Kernel info:
; codeLenInByte = 2080
; NumSgprs: 18
; NumVgprs: 30
; NumAgprs: 0
; TotalNumVgprs: 30
; ScratchSize: 0
; MemoryBound: 0
; FloatMode: 240
; IeeeMode: 1
; LDSByteSize: 32 bytes/workgroup (compile time only)
; SGPRBlocks: 2
; VGPRBlocks: 3
; NumSGPRsForWavesPerEU: 18
; NumVGPRsForWavesPerEU: 30
; AccumOffset: 32
; Occupancy: 8
; WaveLimiterHint : 1
; COMPUTE_PGM_RSRC2:SCRATCH_EN: 0
; COMPUTE_PGM_RSRC2:USER_SGPR: 6
; COMPUTE_PGM_RSRC2:TRAP_HANDLER: 0
; COMPUTE_PGM_RSRC2:TGID_X_EN: 1
; COMPUTE_PGM_RSRC2:TGID_Y_EN: 0
; COMPUTE_PGM_RSRC2:TGID_Z_EN: 0
; COMPUTE_PGM_RSRC2:TIDIG_COMP_CNT: 0
; COMPUTE_PGM_RSRC3_GFX90A:ACCUM_OFFSET: 7
; COMPUTE_PGM_RSRC3_GFX90A:TG_SPLIT: 0
	.section	.text._ZN9rocsolver6v33100L18trti2_kernel_smallILi5EfPKPfEEv13rocblas_fill_17rocblas_diagonal_T1_iil,"axG",@progbits,_ZN9rocsolver6v33100L18trti2_kernel_smallILi5EfPKPfEEv13rocblas_fill_17rocblas_diagonal_T1_iil,comdat
	.globl	_ZN9rocsolver6v33100L18trti2_kernel_smallILi5EfPKPfEEv13rocblas_fill_17rocblas_diagonal_T1_iil ; -- Begin function _ZN9rocsolver6v33100L18trti2_kernel_smallILi5EfPKPfEEv13rocblas_fill_17rocblas_diagonal_T1_iil
	.p2align	8
	.type	_ZN9rocsolver6v33100L18trti2_kernel_smallILi5EfPKPfEEv13rocblas_fill_17rocblas_diagonal_T1_iil,@function
_ZN9rocsolver6v33100L18trti2_kernel_smallILi5EfPKPfEEv13rocblas_fill_17rocblas_diagonal_T1_iil: ; @_ZN9rocsolver6v33100L18trti2_kernel_smallILi5EfPKPfEEv13rocblas_fill_17rocblas_diagonal_T1_iil
; %bb.0:
	v_cmp_gt_u32_e32 vcc, 5, v0
	s_and_saveexec_b64 s[0:1], vcc
	s_cbranch_execz .LBB68_84
; %bb.1:
	s_load_dwordx2 s[0:1], s[4:5], 0x10
	s_load_dwordx4 s[12:15], s[4:5], 0x0
	s_ashr_i32 s7, s6, 31
	s_lshl_b64 s[2:3], s[6:7], 3
	v_lshlrev_b32_e32 v7, 2, v0
	s_waitcnt lgkmcnt(0)
	s_ashr_i32 s5, s0, 31
	s_add_u32 s2, s14, s2
	s_addc_u32 s3, s15, s3
	s_load_dwordx2 s[2:3], s[2:3], 0x0
	s_mov_b32 s4, s0
	s_lshl_b64 s[4:5], s[4:5], 2
	s_waitcnt lgkmcnt(0)
	s_add_u32 s2, s2, s4
	s_addc_u32 s3, s3, s5
	v_mov_b32_e32 v1, s3
	v_add_co_u32_e32 v14, vcc, s2, v7
	s_ashr_i32 s5, s1, 31
	s_mov_b32 s4, s1
	s_add_i32 s0, s1, s1
	v_addc_co_u32_e32 v15, vcc, 0, v1, vcc
	s_lshl_b64 s[4:5], s[4:5], 2
	v_add_u32_e32 v2, s0, v0
	v_mov_b32_e32 v1, s5
	v_add_co_u32_e32 v16, vcc, s4, v14
	v_ashrrev_i32_e32 v3, 31, v2
	v_addc_co_u32_e32 v17, vcc, v15, v1, vcc
	v_lshlrev_b64 v[4:5], 2, v[2:3]
	v_add_u32_e32 v2, s1, v2
	v_mov_b32_e32 v1, s3
	v_add_co_u32_e32 v18, vcc, s2, v4
	v_ashrrev_i32_e32 v3, 31, v2
	v_addc_co_u32_e32 v19, vcc, v1, v5, vcc
	v_lshlrev_b64 v[4:5], 2, v[2:3]
	v_add_u32_e32 v8, s1, v2
	v_add_co_u32_e32 v20, vcc, s2, v4
	v_ashrrev_i32_e32 v9, 31, v8
	v_addc_co_u32_e32 v21, vcc, v1, v5, vcc
	v_lshlrev_b64 v[8:9], 2, v[8:9]
	global_load_dword v3, v[16:17], off
	global_load_dword v4, v[18:19], off
	;; [unrolled: 1-line block ×3, first 2 shown]
	v_add_co_u32_e32 v22, vcc, s2, v8
	v_addc_co_u32_e32 v23, vcc, v1, v9, vcc
	global_load_dword v2, v7, s[2:3]
	global_load_dword v6, v[22:23], off
	s_cmpk_lg_i32 s13, 0x84
	v_mov_b32_e32 v1, 0
	s_cselect_b64 s[10:11], -1, 0
	s_cmpk_eq_i32 s13, 0x84
	v_mov_b32_e32 v8, -1.0
	v_cmp_eq_u32_e64 s[0:1], 0, v0
	s_cbranch_scc1 .LBB68_3
; %bb.2:
	v_cmp_eq_u32_e64 s[2:3], 1, v0
	s_waitcnt vmcnt(1)
	v_cndmask_b32_e64 v8, v2, v3, s[2:3]
	v_cmp_eq_u32_e64 s[4:5], 2, v0
	v_cndmask_b32_e64 v8, v8, v4, s[4:5]
	v_cmp_eq_u32_e64 s[6:7], 3, v0
	;; [unrolled: 2-line block ×3, first 2 shown]
	s_waitcnt vmcnt(0)
	v_cndmask_b32_e64 v8, v8, v6, s[8:9]
	v_div_scale_f32 v9, s[14:15], v8, v8, 1.0
	v_rcp_f32_e32 v10, v9
	v_fma_f32 v11, -v9, v10, 1.0
	v_fmac_f32_e32 v10, v11, v10
	v_div_scale_f32 v11, vcc, 1.0, v8, 1.0
	v_mul_f32_e32 v12, v11, v10
	v_fma_f32 v13, -v9, v12, v11
	v_fmac_f32_e32 v12, v13, v10
	v_fma_f32 v9, -v9, v12, v11
	v_div_fmas_f32 v9, v9, v10, v12
	v_div_fixup_f32 v8, v9, v8, 1.0
	v_cndmask_b32_e64 v6, v6, v8, s[8:9]
	v_cndmask_b32_e64 v5, v5, v8, s[6:7]
	;; [unrolled: 1-line block ×5, first 2 shown]
	v_xor_b32_e32 v8, 0x80000000, v8
.LBB68_3:
	s_cmpk_eq_i32 s12, 0x79
	v_add_u32_e32 v13, 32, v7
	ds_write_b32 v7, v8
	s_cbranch_scc1 .LBB68_7
; %bb.4:
	s_waitcnt vmcnt(0)
	v_mov_b32_e32 v12, v6
	v_cmp_eq_u32_e64 s[0:1], 4, v0
	v_mov_b32_e32 v11, v5
	v_mov_b32_e32 v10, v4
	;; [unrolled: 1-line block ×4, first 2 shown]
	ds_write_b32 v13, v5
	s_waitcnt lgkmcnt(0)
	; wave barrier
	s_waitcnt lgkmcnt(0)
	s_and_saveexec_b64 s[2:3], s[0:1]
	s_cbranch_execz .LBB68_11
; %bb.5:
	s_and_b64 vcc, exec, s[10:11]
	s_cbranch_vccz .LBB68_8
; %bb.6:
	v_cmp_eq_u32_e32 vcc, 1, v0
	ds_read_b32 v8, v13
	v_cndmask_b32_e32 v7, v2, v3, vcc
	v_cmp_eq_u32_e32 vcc, 2, v0
	v_cndmask_b32_e32 v7, v7, v4, vcc
	v_cmp_eq_u32_e32 vcc, 3, v0
	;; [unrolled: 2-line block ×3, first 2 shown]
	v_cndmask_b32_e32 v7, v7, v6, vcc
	s_waitcnt lgkmcnt(0)
	v_mul_f32_e32 v7, v7, v8
	s_cbranch_execz .LBB68_9
	s_branch .LBB68_10
.LBB68_7:
                                        ; implicit-def: $vgpr8_vgpr9_vgpr10_vgpr11_vgpr12
	s_cbranch_execnz .LBB68_50
	s_branch .LBB68_83
.LBB68_8:
                                        ; implicit-def: $vgpr7
.LBB68_9:
	ds_read_b32 v7, v13
.LBB68_10:
	v_mov_b32_e32 v8, 0
	ds_read_b32 v8, v8 offset:12
	s_waitcnt lgkmcnt(0)
	v_mul_f32_e32 v7, v7, v8
	v_mov_b32_e32 v12, v6
	v_mov_b32_e32 v11, v5
	;; [unrolled: 1-line block ×6, first 2 shown]
.LBB68_11:
	s_or_b64 exec, exec, s[2:3]
	v_cmp_lt_u32_e64 s[2:3], 2, v0
	ds_write_b32 v13, v10
	s_waitcnt lgkmcnt(0)
	; wave barrier
	s_waitcnt lgkmcnt(0)
	s_and_saveexec_b64 s[4:5], s[2:3]
	s_cbranch_execz .LBB68_17
; %bb.12:
	s_andn2_b64 vcc, exec, s[10:11]
	s_cbranch_vccnz .LBB68_14
; %bb.13:
	v_cmp_eq_u32_e32 vcc, 1, v0
	v_cndmask_b32_e32 v7, v8, v9, vcc
	v_cmp_eq_u32_e32 vcc, 2, v0
	v_cndmask_b32_e32 v7, v7, v10, vcc
	ds_read_b32 v10, v13
	v_cmp_eq_u32_e32 vcc, 3, v0
	v_cndmask_b32_e32 v7, v7, v11, vcc
	v_cmp_eq_u32_e32 vcc, 4, v0
	v_cndmask_b32_e32 v7, v7, v12, vcc
	s_waitcnt lgkmcnt(0)
	v_mul_f32_e32 v7, v7, v10
	s_cbranch_execz .LBB68_15
	s_branch .LBB68_16
.LBB68_14:
                                        ; implicit-def: $vgpr7
.LBB68_15:
	ds_read_b32 v7, v13
.LBB68_16:
	v_mov_b32_e32 v10, 0
	ds_read2_b32 v[24:25], v10 offset0:2 offset1:11
	s_waitcnt lgkmcnt(0)
	v_fma_f32 v10, v11, v25, v7
	v_cndmask_b32_e64 v7, v7, v10, s[0:1]
	v_mul_f32_e32 v10, v7, v24
.LBB68_17:
	s_or_b64 exec, exec, s[4:5]
	v_cmp_lt_u32_e64 s[0:1], 1, v0
	ds_write_b32 v13, v9
	s_waitcnt lgkmcnt(0)
	; wave barrier
	s_waitcnt lgkmcnt(0)
	s_and_saveexec_b64 s[6:7], s[0:1]
	s_cbranch_execz .LBB68_33
; %bb.18:
	s_andn2_b64 vcc, exec, s[10:11]
	s_cbranch_vccnz .LBB68_20
; %bb.19:
	v_cmp_eq_u32_e32 vcc, 1, v0
	ds_read_b32 v24, v13
	v_cndmask_b32_e32 v7, v8, v9, vcc
	v_cmp_eq_u32_e32 vcc, 2, v0
	v_cndmask_b32_e32 v7, v7, v10, vcc
	v_cmp_eq_u32_e32 vcc, 3, v0
	;; [unrolled: 2-line block ×3, first 2 shown]
	v_cndmask_b32_e32 v7, v7, v12, vcc
	s_waitcnt lgkmcnt(0)
	v_mul_f32_e32 v25, v7, v24
	s_cbranch_execz .LBB68_21
	s_branch .LBB68_22
.LBB68_20:
                                        ; implicit-def: $vgpr25
.LBB68_21:
	ds_read_b32 v25, v13
.LBB68_22:
	s_and_saveexec_b64 s[8:9], s[2:3]
	s_cbranch_execz .LBB68_32
; %bb.23:
	v_add_u32_e32 v24, -3, v0
	v_add_u32_e32 v7, -2, v0
	v_cmp_lt_u32_e32 vcc, 6, v24
	v_mov_b32_e32 v26, 2
	s_and_saveexec_b64 s[2:3], vcc
	s_cbranch_execz .LBB68_27
; %bb.24:
	v_and_b32_e32 v24, -8, v7
	v_sub_u32_e32 v24, 0, v24
	s_mov_b64 s[4:5], 9
	s_mov_b32 s14, 40
	s_mov_b64 s[12:13], 0
.LBB68_25:                              ; =>This Inner Loop Header: Depth=1
	s_add_i32 s15, s4, -7
	s_cmp_eq_u32 s15, 1
	s_cselect_b64 vcc, -1, 0
	s_cmp_eq_u32 s15, 2
	v_mov_b32_e32 v30, s14
	v_cndmask_b32_e32 v34, v8, v9, vcc
	s_cselect_b64 vcc, -1, 0
	s_cmp_eq_u32 s15, 3
	ds_read2_b64 v[26:29], v30 offset1:1
	ds_read2_b64 v[30:33], v30 offset0:2 offset1:3
	v_cndmask_b32_e32 v34, v34, v10, vcc
	s_cselect_b64 vcc, -1, 0
	s_cmp_eq_u32 s15, 4
	v_cndmask_b32_e32 v34, v34, v11, vcc
	s_cselect_b64 vcc, -1, 0
	s_add_i32 s15, s4, -6
	s_cmp_eq_u32 s15, 1
	v_cndmask_b32_e32 v34, v34, v12, vcc
	s_cselect_b64 vcc, -1, 0
	s_cmp_eq_u32 s15, 2
	s_waitcnt lgkmcnt(1)
	v_fmac_f32_e32 v25, v34, v26
	v_cndmask_b32_e32 v26, v8, v9, vcc
	s_cselect_b64 vcc, -1, 0
	s_cmp_eq_u32 s15, 3
	v_cndmask_b32_e32 v26, v26, v10, vcc
	s_cselect_b64 vcc, -1, 0
	s_cmp_eq_u32 s15, 4
	v_cndmask_b32_e32 v26, v26, v11, vcc
	s_cselect_b64 vcc, -1, 0
	s_add_i32 s15, s4, -5
	s_cmp_eq_u32 s15, 1
	v_cndmask_b32_e32 v26, v26, v12, vcc
	s_cselect_b64 vcc, -1, 0
	s_cmp_eq_u32 s15, 2
	v_fmac_f32_e32 v25, v26, v27
	v_cndmask_b32_e32 v26, v8, v9, vcc
	s_cselect_b64 vcc, -1, 0
	s_cmp_eq_u32 s15, 3
	v_cndmask_b32_e32 v26, v26, v10, vcc
	s_cselect_b64 vcc, -1, 0
	s_cmp_eq_u32 s15, 4
	v_cndmask_b32_e32 v26, v26, v11, vcc
	s_cselect_b64 vcc, -1, 0
	s_add_i32 s15, s4, -4
	s_cmp_eq_u32 s15, 1
	v_cndmask_b32_e32 v26, v26, v12, vcc
	s_cselect_b64 vcc, -1, 0
	s_cmp_eq_u32 s15, 2
	;; [unrolled: 14-line block ×4, first 2 shown]
	s_waitcnt lgkmcnt(0)
	v_fmac_f32_e32 v25, v26, v30
	v_cndmask_b32_e32 v26, v8, v9, vcc
	s_cselect_b64 vcc, -1, 0
	s_cmp_eq_u32 s15, 3
	v_cndmask_b32_e32 v26, v26, v10, vcc
	s_cselect_b64 vcc, -1, 0
	s_cmp_eq_u32 s15, 4
	v_cndmask_b32_e32 v26, v26, v11, vcc
	s_cselect_b64 vcc, -1, 0
	s_add_i32 s15, s4, -1
	s_cmp_eq_u32 s15, 1
	v_cndmask_b32_e32 v26, v26, v12, vcc
	s_cselect_b64 vcc, -1, 0
	s_cmp_eq_u32 s15, 2
	v_fmac_f32_e32 v25, v26, v31
	v_cndmask_b32_e32 v26, v8, v9, vcc
	s_cselect_b64 vcc, -1, 0
	s_cmp_eq_u32 s15, 3
	v_cndmask_b32_e32 v26, v26, v10, vcc
	s_cselect_b64 vcc, -1, 0
	s_cmp_eq_u32 s15, 4
	;; [unrolled: 3-line block ×4, first 2 shown]
	v_fmac_f32_e32 v25, v26, v32
	v_cndmask_b32_e32 v26, v8, v9, vcc
	s_cselect_b64 vcc, -1, 0
	s_cmp_eq_u32 s4, 3
	v_cndmask_b32_e32 v26, v26, v10, vcc
	s_cselect_b64 vcc, -1, 0
	s_cmp_eq_u32 s4, 4
	v_cndmask_b32_e32 v26, v26, v11, vcc
	s_cselect_b64 vcc, -1, 0
	v_cndmask_b32_e32 v26, v26, v12, vcc
	s_add_u32 s4, s4, 8
	v_fmac_f32_e32 v25, v26, v33
	v_add_u32_e32 v26, s4, v24
	s_addc_u32 s5, s5, 0
	s_add_i32 s14, s14, 32
	s_add_i32 s15, s4, -7
	v_cmp_eq_u32_e32 vcc, 9, v26
	s_or_b64 s[12:13], vcc, s[12:13]
	v_mov_b32_e32 v26, s15
	s_andn2_b64 exec, exec, s[12:13]
	s_cbranch_execnz .LBB68_25
; %bb.26:
	s_or_b64 exec, exec, s[12:13]
.LBB68_27:
	s_or_b64 exec, exec, s[2:3]
	v_and_b32_e32 v24, 7, v7
	v_cmp_ne_u32_e32 vcc, 0, v24
	s_and_saveexec_b64 s[12:13], vcc
	s_cbranch_execz .LBB68_31
; %bb.28:
	v_lshl_add_u32 v27, v26, 2, 32
	v_mov_b32_e32 v7, 0
	s_mov_b64 s[14:15], 0
.LBB68_29:                              ; =>This Inner Loop Header: Depth=1
	v_cmp_eq_u32_e32 vcc, 1, v26
	ds_read_b32 v29, v27
	v_cndmask_b32_e32 v28, v8, v9, vcc
	v_cmp_eq_u32_e32 vcc, 2, v26
	v_cndmask_b32_e32 v28, v28, v10, vcc
	v_cmp_eq_u32_e64 s[2:3], 3, v26
	v_add_u32_e32 v24, -1, v24
	v_cndmask_b32_e64 v28, v28, v11, s[2:3]
	v_cmp_eq_u32_e64 s[2:3], 4, v26
	v_cmp_eq_u32_e32 vcc, 0, v24
	v_add_co_u32_e64 v26, s[4:5], 1, v26
	v_cndmask_b32_e64 v28, v28, v12, s[2:3]
	v_add_u32_e32 v27, 4, v27
	v_addc_co_u32_e64 v7, s[4:5], 0, v7, s[4:5]
	s_or_b64 s[14:15], vcc, s[14:15]
	s_waitcnt lgkmcnt(0)
	v_fmac_f32_e32 v25, v28, v29
	s_andn2_b64 exec, exec, s[14:15]
	s_cbranch_execnz .LBB68_29
; %bb.30:
	s_or_b64 exec, exec, s[14:15]
.LBB68_31:
	s_or_b64 exec, exec, s[12:13]
.LBB68_32:
	s_or_b64 exec, exec, s[8:9]
	v_mov_b32_e32 v7, 0
	ds_read_b32 v7, v7 offset:4
	s_waitcnt lgkmcnt(0)
	v_mul_f32_e32 v9, v25, v7
.LBB68_33:
	s_or_b64 exec, exec, s[6:7]
	v_cmp_ne_u32_e32 vcc, 0, v0
	ds_write_b32 v13, v8
	s_waitcnt lgkmcnt(0)
	; wave barrier
	s_waitcnt lgkmcnt(0)
	s_and_saveexec_b64 s[4:5], vcc
	s_cbranch_execz .LBB68_49
; %bb.34:
	s_andn2_b64 vcc, exec, s[10:11]
	s_cbranch_vccnz .LBB68_36
; %bb.35:
	v_cmp_eq_u32_e32 vcc, 1, v0
	ds_read_b32 v24, v13
	v_cndmask_b32_e32 v7, v8, v9, vcc
	v_cmp_eq_u32_e32 vcc, 2, v0
	v_cndmask_b32_e32 v7, v7, v10, vcc
	v_cmp_eq_u32_e32 vcc, 3, v0
	;; [unrolled: 2-line block ×3, first 2 shown]
	v_cndmask_b32_e32 v7, v7, v12, vcc
	s_waitcnt lgkmcnt(0)
	v_mul_f32_e32 v25, v7, v24
	s_cbranch_execz .LBB68_37
	s_branch .LBB68_38
.LBB68_36:
                                        ; implicit-def: $vgpr25
.LBB68_37:
	ds_read_b32 v25, v13
.LBB68_38:
	s_and_saveexec_b64 s[6:7], s[0:1]
	s_cbranch_execz .LBB68_48
; %bb.39:
	v_add_u32_e32 v24, -2, v0
	v_add_u32_e32 v7, -1, v0
	v_cmp_lt_u32_e32 vcc, 6, v24
	v_mov_b32_e32 v26, 1
	s_and_saveexec_b64 s[0:1], vcc
	s_cbranch_execz .LBB68_43
; %bb.40:
	v_and_b32_e32 v24, -8, v7
	v_sub_u32_e32 v24, 0, v24
	s_mov_b64 s[2:3], 8
	s_mov_b32 s12, 36
	s_mov_b64 s[8:9], 0
.LBB68_41:                              ; =>This Inner Loop Header: Depth=1
	s_add_i32 s13, s2, -7
	s_cmp_eq_u32 s13, 1
	s_cselect_b64 vcc, -1, 0
	s_cmp_eq_u32 s13, 2
	v_cndmask_b32_e32 v34, v8, v9, vcc
	s_cselect_b64 vcc, -1, 0
	s_cmp_eq_u32 s13, 3
	v_cndmask_b32_e32 v34, v34, v10, vcc
	s_cselect_b64 vcc, -1, 0
	s_cmp_eq_u32 s13, 4
	v_mov_b32_e32 v32, s12
	v_cndmask_b32_e32 v34, v34, v11, vcc
	s_cselect_b64 vcc, -1, 0
	s_add_i32 s13, s2, -6
	ds_read2_b32 v[26:27], v32 offset1:1
	ds_read2_b32 v[28:29], v32 offset0:2 offset1:3
	ds_read2_b32 v[30:31], v32 offset0:4 offset1:5
	;; [unrolled: 1-line block ×3, first 2 shown]
	s_cmp_eq_u32 s13, 1
	v_cndmask_b32_e32 v34, v34, v12, vcc
	s_cselect_b64 vcc, -1, 0
	s_cmp_eq_u32 s13, 2
	s_waitcnt lgkmcnt(3)
	v_fmac_f32_e32 v25, v34, v26
	v_cndmask_b32_e32 v26, v8, v9, vcc
	s_cselect_b64 vcc, -1, 0
	s_cmp_eq_u32 s13, 3
	v_cndmask_b32_e32 v26, v26, v10, vcc
	s_cselect_b64 vcc, -1, 0
	s_cmp_eq_u32 s13, 4
	v_cndmask_b32_e32 v26, v26, v11, vcc
	s_cselect_b64 vcc, -1, 0
	s_add_i32 s13, s2, -5
	s_cmp_eq_u32 s13, 1
	v_cndmask_b32_e32 v26, v26, v12, vcc
	s_cselect_b64 vcc, -1, 0
	s_cmp_eq_u32 s13, 2
	v_fmac_f32_e32 v25, v26, v27
	v_cndmask_b32_e32 v26, v8, v9, vcc
	s_cselect_b64 vcc, -1, 0
	s_cmp_eq_u32 s13, 3
	v_cndmask_b32_e32 v26, v26, v10, vcc
	s_cselect_b64 vcc, -1, 0
	s_cmp_eq_u32 s13, 4
	v_cndmask_b32_e32 v26, v26, v11, vcc
	s_cselect_b64 vcc, -1, 0
	s_add_i32 s13, s2, -4
	s_cmp_eq_u32 s13, 1
	v_cndmask_b32_e32 v26, v26, v12, vcc
	s_cselect_b64 vcc, -1, 0
	s_cmp_eq_u32 s13, 2
	s_waitcnt lgkmcnt(2)
	v_fmac_f32_e32 v25, v26, v28
	v_cndmask_b32_e32 v26, v8, v9, vcc
	s_cselect_b64 vcc, -1, 0
	s_cmp_eq_u32 s13, 3
	v_cndmask_b32_e32 v26, v26, v10, vcc
	s_cselect_b64 vcc, -1, 0
	s_cmp_eq_u32 s13, 4
	v_cndmask_b32_e32 v26, v26, v11, vcc
	s_cselect_b64 vcc, -1, 0
	s_add_i32 s13, s2, -3
	s_cmp_eq_u32 s13, 1
	v_cndmask_b32_e32 v26, v26, v12, vcc
	s_cselect_b64 vcc, -1, 0
	s_cmp_eq_u32 s13, 2
	v_fmac_f32_e32 v25, v26, v29
	v_cndmask_b32_e32 v26, v8, v9, vcc
	s_cselect_b64 vcc, -1, 0
	s_cmp_eq_u32 s13, 3
	v_cndmask_b32_e32 v26, v26, v10, vcc
	s_cselect_b64 vcc, -1, 0
	s_cmp_eq_u32 s13, 4
	v_cndmask_b32_e32 v26, v26, v11, vcc
	s_cselect_b64 vcc, -1, 0
	s_add_i32 s13, s2, -2
	s_cmp_eq_u32 s13, 1
	v_cndmask_b32_e32 v26, v26, v12, vcc
	s_cselect_b64 vcc, -1, 0
	s_cmp_eq_u32 s13, 2
	s_waitcnt lgkmcnt(1)
	v_fmac_f32_e32 v25, v26, v30
	v_cndmask_b32_e32 v26, v8, v9, vcc
	s_cselect_b64 vcc, -1, 0
	s_cmp_eq_u32 s13, 3
	v_cndmask_b32_e32 v26, v26, v10, vcc
	s_cselect_b64 vcc, -1, 0
	s_cmp_eq_u32 s13, 4
	v_cndmask_b32_e32 v26, v26, v11, vcc
	s_cselect_b64 vcc, -1, 0
	s_add_i32 s13, s2, -1
	s_cmp_eq_u32 s13, 1
	v_cndmask_b32_e32 v26, v26, v12, vcc
	s_cselect_b64 vcc, -1, 0
	s_cmp_eq_u32 s13, 2
	v_fmac_f32_e32 v25, v26, v31
	v_cndmask_b32_e32 v26, v8, v9, vcc
	s_cselect_b64 vcc, -1, 0
	s_cmp_eq_u32 s13, 3
	v_cndmask_b32_e32 v26, v26, v10, vcc
	s_cselect_b64 vcc, -1, 0
	s_cmp_eq_u32 s13, 4
	;; [unrolled: 3-line block ×4, first 2 shown]
	s_waitcnt lgkmcnt(0)
	v_fmac_f32_e32 v25, v26, v32
	v_cndmask_b32_e32 v26, v8, v9, vcc
	s_cselect_b64 vcc, -1, 0
	s_cmp_eq_u32 s2, 3
	v_cndmask_b32_e32 v26, v26, v10, vcc
	s_cselect_b64 vcc, -1, 0
	s_cmp_eq_u32 s2, 4
	v_cndmask_b32_e32 v26, v26, v11, vcc
	s_cselect_b64 vcc, -1, 0
	v_cndmask_b32_e32 v26, v26, v12, vcc
	s_add_u32 s2, s2, 8
	v_fmac_f32_e32 v25, v26, v33
	v_add_u32_e32 v26, s2, v24
	s_addc_u32 s3, s3, 0
	s_add_i32 s12, s12, 32
	s_add_i32 s13, s2, -7
	v_cmp_eq_u32_e32 vcc, 8, v26
	s_or_b64 s[8:9], vcc, s[8:9]
	v_mov_b32_e32 v26, s13
	s_andn2_b64 exec, exec, s[8:9]
	s_cbranch_execnz .LBB68_41
; %bb.42:
	s_or_b64 exec, exec, s[8:9]
.LBB68_43:
	s_or_b64 exec, exec, s[0:1]
	v_and_b32_e32 v24, 7, v7
	v_cmp_ne_u32_e32 vcc, 0, v24
	s_and_saveexec_b64 s[8:9], vcc
	s_cbranch_execz .LBB68_47
; %bb.44:
	v_lshl_add_u32 v27, v26, 2, 32
	v_mov_b32_e32 v7, 0
	s_mov_b64 s[12:13], 0
.LBB68_45:                              ; =>This Inner Loop Header: Depth=1
	v_cmp_eq_u32_e32 vcc, 1, v26
	ds_read_b32 v29, v27
	v_cndmask_b32_e32 v28, v8, v9, vcc
	v_cmp_eq_u32_e32 vcc, 2, v26
	v_cndmask_b32_e32 v28, v28, v10, vcc
	v_cmp_eq_u32_e64 s[0:1], 3, v26
	v_add_u32_e32 v24, -1, v24
	v_cndmask_b32_e64 v28, v28, v11, s[0:1]
	v_cmp_eq_u32_e64 s[0:1], 4, v26
	v_cmp_eq_u32_e32 vcc, 0, v24
	v_add_co_u32_e64 v26, s[2:3], 1, v26
	v_cndmask_b32_e64 v28, v28, v12, s[0:1]
	v_add_u32_e32 v27, 4, v27
	v_addc_co_u32_e64 v7, s[2:3], 0, v7, s[2:3]
	s_or_b64 s[12:13], vcc, s[12:13]
	s_waitcnt lgkmcnt(0)
	v_fmac_f32_e32 v25, v28, v29
	s_andn2_b64 exec, exec, s[12:13]
	s_cbranch_execnz .LBB68_45
; %bb.46:
	s_or_b64 exec, exec, s[12:13]
.LBB68_47:
	s_or_b64 exec, exec, s[8:9]
.LBB68_48:
	s_or_b64 exec, exec, s[6:7]
	v_mov_b32_e32 v7, 0
	ds_read_b32 v7, v7
	s_waitcnt lgkmcnt(0)
	v_mul_f32_e32 v8, v25, v7
.LBB68_49:
	s_or_b64 exec, exec, s[4:5]
	s_branch .LBB68_83
.LBB68_50:
	v_cmp_eq_u32_e64 s[0:1], 0, v0
	s_waitcnt vmcnt(4)
	ds_write_b32 v13, v3
	s_waitcnt lgkmcnt(0)
	; wave barrier
	s_waitcnt lgkmcnt(0)
	s_and_saveexec_b64 s[2:3], s[0:1]
	s_cbranch_execz .LBB68_56
; %bb.51:
	s_and_b64 vcc, exec, s[10:11]
	s_cbranch_vccz .LBB68_53
; %bb.52:
	v_cmp_eq_u32_e32 vcc, 1, v0
	ds_read_b32 v7, v13
	s_waitcnt vmcnt(1)
	v_cndmask_b32_e32 v3, v2, v3, vcc
	v_cmp_eq_u32_e32 vcc, 2, v0
	v_cndmask_b32_e32 v3, v3, v4, vcc
	v_cmp_eq_u32_e32 vcc, 3, v0
	;; [unrolled: 2-line block ×3, first 2 shown]
	s_waitcnt vmcnt(0)
	v_cndmask_b32_e32 v3, v3, v6, vcc
	s_waitcnt lgkmcnt(0)
	v_mul_f32_e32 v3, v3, v7
	s_cbranch_execz .LBB68_54
	s_branch .LBB68_55
.LBB68_53:
                                        ; implicit-def: $vgpr3
.LBB68_54:
	ds_read_b32 v3, v13
.LBB68_55:
	v_mov_b32_e32 v7, 0
	ds_read_b32 v7, v7 offset:4
	s_waitcnt lgkmcnt(0)
	v_mul_f32_e32 v3, v3, v7
.LBB68_56:
	s_or_b64 exec, exec, s[2:3]
	v_cndmask_b32_e64 v8, 0, 1, s[10:11]
	v_add_u32_e32 v7, 1, v0
	v_cmp_gt_u32_e32 vcc, 2, v0
	v_cmp_ne_u32_e64 s[2:3], 1, v8
	s_waitcnt vmcnt(3)
	ds_write_b32 v13, v4
	s_waitcnt lgkmcnt(0)
	; wave barrier
	s_waitcnt lgkmcnt(0)
	s_and_saveexec_b64 s[4:5], vcc
	s_cbranch_execz .LBB68_64
; %bb.57:
	s_and_b64 vcc, exec, s[2:3]
	s_cbranch_vccnz .LBB68_59
; %bb.58:
	v_cmp_eq_u32_e32 vcc, 1, v0
	ds_read_b32 v9, v13
	s_waitcnt vmcnt(1)
	v_cndmask_b32_e32 v8, v2, v3, vcc
	v_cmp_eq_u32_e32 vcc, 2, v0
	v_cndmask_b32_e32 v8, v8, v4, vcc
	v_cmp_eq_u32_e32 vcc, 3, v0
	;; [unrolled: 2-line block ×3, first 2 shown]
	s_waitcnt vmcnt(0)
	v_cndmask_b32_e32 v8, v8, v6, vcc
	s_waitcnt lgkmcnt(0)
	v_mul_f32_e32 v8, v8, v9
	s_cbranch_execz .LBB68_60
	s_branch .LBB68_61
.LBB68_59:
                                        ; implicit-def: $vgpr8
.LBB68_60:
	ds_read_b32 v8, v13
.LBB68_61:
	s_and_saveexec_b64 s[6:7], s[0:1]
	s_cbranch_execz .LBB68_63
; %bb.62:
	v_cmp_eq_u32_e32 vcc, 1, v7
	s_waitcnt vmcnt(1)
	v_cndmask_b32_e32 v9, v2, v3, vcc
	v_cmp_eq_u32_e32 vcc, 2, v7
	v_cndmask_b32_e32 v4, v9, v4, vcc
	ds_read_b32 v9, v13 offset:4
	v_cmp_eq_u32_e32 vcc, 3, v7
	v_cndmask_b32_e32 v4, v4, v5, vcc
	v_cmp_eq_u32_e32 vcc, 4, v7
	s_waitcnt vmcnt(0)
	v_cndmask_b32_e32 v4, v4, v6, vcc
	s_waitcnt lgkmcnt(0)
	v_fmac_f32_e32 v8, v4, v9
.LBB68_63:
	s_or_b64 exec, exec, s[6:7]
	v_mov_b32_e32 v4, 0
	ds_read_b32 v4, v4 offset:8
	s_waitcnt lgkmcnt(0)
	v_mul_f32_e32 v4, v8, v4
.LBB68_64:
	s_or_b64 exec, exec, s[4:5]
	v_cmp_gt_u32_e64 s[4:5], 3, v0
	s_waitcnt vmcnt(2)
	ds_write_b32 v13, v5
	s_waitcnt lgkmcnt(0)
	; wave barrier
	s_waitcnt lgkmcnt(0)
	s_and_saveexec_b64 s[6:7], s[4:5]
	s_cbranch_execz .LBB68_72
; %bb.65:
	s_and_b64 vcc, exec, s[2:3]
	s_cbranch_vccnz .LBB68_67
; %bb.66:
	v_cmp_eq_u32_e32 vcc, 1, v0
	ds_read_b32 v9, v13
	s_waitcnt vmcnt(1)
	v_cndmask_b32_e32 v8, v2, v3, vcc
	v_cmp_eq_u32_e32 vcc, 2, v0
	v_cndmask_b32_e32 v8, v8, v4, vcc
	v_cmp_eq_u32_e32 vcc, 3, v0
	;; [unrolled: 2-line block ×3, first 2 shown]
	s_waitcnt vmcnt(0)
	v_cndmask_b32_e32 v8, v8, v6, vcc
	s_waitcnt lgkmcnt(0)
	v_mul_f32_e32 v8, v8, v9
	s_cbranch_execz .LBB68_68
	s_branch .LBB68_69
.LBB68_67:
                                        ; implicit-def: $vgpr8
.LBB68_68:
	ds_read_b32 v8, v13
.LBB68_69:
	v_cmp_ne_u32_e32 vcc, 2, v0
	s_and_saveexec_b64 s[8:9], vcc
	s_cbranch_execz .LBB68_71
; %bb.70:
	v_cmp_eq_u32_e32 vcc, 1, v7
	v_mov_b32_e32 v10, 0
	s_waitcnt vmcnt(1)
	v_cndmask_b32_e32 v9, v2, v3, vcc
	v_cmp_eq_u32_e32 vcc, 2, v7
	ds_read_b32 v11, v13 offset:4
	ds_read_b32 v10, v10 offset:40
	v_cndmask_b32_e32 v9, v9, v4, vcc
	v_cmp_eq_u32_e32 vcc, 3, v7
	v_cndmask_b32_e32 v5, v9, v5, vcc
	v_cmp_eq_u32_e32 vcc, 4, v7
	s_waitcnt vmcnt(0)
	v_cndmask_b32_e32 v5, v5, v6, vcc
	s_waitcnt lgkmcnt(1)
	v_fmac_f32_e32 v8, v5, v11
	s_waitcnt lgkmcnt(0)
	v_fma_f32 v5, v4, v10, v8
	v_cndmask_b32_e64 v8, v8, v5, s[0:1]
.LBB68_71:
	s_or_b64 exec, exec, s[8:9]
	v_mov_b32_e32 v5, 0
	ds_read_b32 v5, v5 offset:12
	s_waitcnt lgkmcnt(0)
	v_mul_f32_e32 v5, v8, v5
.LBB68_72:
	s_or_b64 exec, exec, s[6:7]
	v_cmp_ne_u32_e32 vcc, 4, v0
	s_waitcnt vmcnt(0)
	ds_write_b32 v13, v6
	s_waitcnt lgkmcnt(0)
	; wave barrier
	s_waitcnt lgkmcnt(0)
	s_and_saveexec_b64 s[6:7], vcc
	s_cbranch_execz .LBB68_82
; %bb.73:
	s_and_b64 vcc, exec, s[2:3]
	s_cbranch_vccnz .LBB68_75
; %bb.74:
	v_cmp_eq_u32_e32 vcc, 1, v0
	ds_read_b32 v8, v13
	v_cndmask_b32_e32 v7, v2, v3, vcc
	v_cmp_eq_u32_e32 vcc, 2, v0
	v_cndmask_b32_e32 v7, v7, v4, vcc
	v_cmp_eq_u32_e32 vcc, 3, v0
	v_cndmask_b32_e32 v7, v7, v5, vcc
	v_cmp_eq_u32_e32 vcc, 4, v0
	v_cndmask_b32_e32 v7, v7, v6, vcc
	s_waitcnt lgkmcnt(0)
	v_mul_f32_e32 v7, v7, v8
	s_cbranch_execz .LBB68_76
	s_branch .LBB68_77
.LBB68_75:
                                        ; implicit-def: $vgpr7
.LBB68_76:
	ds_read_b32 v7, v13
.LBB68_77:
	s_and_saveexec_b64 s[2:3], s[4:5]
	s_cbranch_execz .LBB68_81
; %bb.78:
	v_lshl_add_u32 v8, v0, 2, 36
	s_mov_b64 s[4:5], 0
.LBB68_79:                              ; =>This Inner Loop Header: Depth=1
	v_add_co_u32_e32 v0, vcc, 1, v0
	v_addc_co_u32_e32 v1, vcc, 0, v1, vcc
	ds_read_b32 v9, v8
	v_cmp_eq_u32_e32 vcc, 1, v0
	v_cndmask_b32_e32 v10, v2, v3, vcc
	v_cmp_lt_u32_e32 vcc, 2, v0
	v_cmp_eq_u32_e64 s[0:1], 2, v0
	v_cndmask_b32_e64 v10, v10, v4, s[0:1]
	s_or_b64 s[4:5], vcc, s[4:5]
	v_cmp_eq_u32_e32 vcc, 3, v0
	v_cndmask_b32_e32 v10, v10, v5, vcc
	v_cmp_eq_u32_e32 vcc, 4, v0
	v_cndmask_b32_e32 v10, v10, v6, vcc
	v_add_u32_e32 v8, 4, v8
	s_waitcnt lgkmcnt(0)
	v_fmac_f32_e32 v7, v10, v9
	s_andn2_b64 exec, exec, s[4:5]
	s_cbranch_execnz .LBB68_79
; %bb.80:
	s_or_b64 exec, exec, s[4:5]
.LBB68_81:
	s_or_b64 exec, exec, s[2:3]
	v_mov_b32_e32 v0, 0
	ds_read_b32 v0, v0 offset:16
	s_waitcnt lgkmcnt(0)
	v_mul_f32_e32 v6, v7, v0
.LBB68_82:
	s_or_b64 exec, exec, s[6:7]
	v_mov_b32_e32 v12, v6
	v_mov_b32_e32 v11, v5
	;; [unrolled: 1-line block ×5, first 2 shown]
.LBB68_83:
	global_store_dword v[14:15], v8, off
	global_store_dword v[16:17], v9, off
	;; [unrolled: 1-line block ×5, first 2 shown]
.LBB68_84:
	s_endpgm
	.section	.rodata,"a",@progbits
	.p2align	6, 0x0
	.amdhsa_kernel _ZN9rocsolver6v33100L18trti2_kernel_smallILi5EfPKPfEEv13rocblas_fill_17rocblas_diagonal_T1_iil
		.amdhsa_group_segment_fixed_size 52
		.amdhsa_private_segment_fixed_size 0
		.amdhsa_kernarg_size 32
		.amdhsa_user_sgpr_count 6
		.amdhsa_user_sgpr_private_segment_buffer 1
		.amdhsa_user_sgpr_dispatch_ptr 0
		.amdhsa_user_sgpr_queue_ptr 0
		.amdhsa_user_sgpr_kernarg_segment_ptr 1
		.amdhsa_user_sgpr_dispatch_id 0
		.amdhsa_user_sgpr_flat_scratch_init 0
		.amdhsa_user_sgpr_kernarg_preload_length 0
		.amdhsa_user_sgpr_kernarg_preload_offset 0
		.amdhsa_user_sgpr_private_segment_size 0
		.amdhsa_uses_dynamic_stack 0
		.amdhsa_system_sgpr_private_segment_wavefront_offset 0
		.amdhsa_system_sgpr_workgroup_id_x 1
		.amdhsa_system_sgpr_workgroup_id_y 0
		.amdhsa_system_sgpr_workgroup_id_z 0
		.amdhsa_system_sgpr_workgroup_info 0
		.amdhsa_system_vgpr_workitem_id 0
		.amdhsa_next_free_vgpr 35
		.amdhsa_next_free_sgpr 16
		.amdhsa_accum_offset 36
		.amdhsa_reserve_vcc 1
		.amdhsa_reserve_flat_scratch 0
		.amdhsa_float_round_mode_32 0
		.amdhsa_float_round_mode_16_64 0
		.amdhsa_float_denorm_mode_32 3
		.amdhsa_float_denorm_mode_16_64 3
		.amdhsa_dx10_clamp 1
		.amdhsa_ieee_mode 1
		.amdhsa_fp16_overflow 0
		.amdhsa_tg_split 0
		.amdhsa_exception_fp_ieee_invalid_op 0
		.amdhsa_exception_fp_denorm_src 0
		.amdhsa_exception_fp_ieee_div_zero 0
		.amdhsa_exception_fp_ieee_overflow 0
		.amdhsa_exception_fp_ieee_underflow 0
		.amdhsa_exception_fp_ieee_inexact 0
		.amdhsa_exception_int_div_zero 0
	.end_amdhsa_kernel
	.section	.text._ZN9rocsolver6v33100L18trti2_kernel_smallILi5EfPKPfEEv13rocblas_fill_17rocblas_diagonal_T1_iil,"axG",@progbits,_ZN9rocsolver6v33100L18trti2_kernel_smallILi5EfPKPfEEv13rocblas_fill_17rocblas_diagonal_T1_iil,comdat
.Lfunc_end68:
	.size	_ZN9rocsolver6v33100L18trti2_kernel_smallILi5EfPKPfEEv13rocblas_fill_17rocblas_diagonal_T1_iil, .Lfunc_end68-_ZN9rocsolver6v33100L18trti2_kernel_smallILi5EfPKPfEEv13rocblas_fill_17rocblas_diagonal_T1_iil
                                        ; -- End function
	.section	.AMDGPU.csdata,"",@progbits
; Kernel info:
; codeLenInByte = 3444
; NumSgprs: 20
; NumVgprs: 35
; NumAgprs: 0
; TotalNumVgprs: 35
; ScratchSize: 0
; MemoryBound: 0
; FloatMode: 240
; IeeeMode: 1
; LDSByteSize: 52 bytes/workgroup (compile time only)
; SGPRBlocks: 2
; VGPRBlocks: 4
; NumSGPRsForWavesPerEU: 20
; NumVGPRsForWavesPerEU: 35
; AccumOffset: 36
; Occupancy: 8
; WaveLimiterHint : 1
; COMPUTE_PGM_RSRC2:SCRATCH_EN: 0
; COMPUTE_PGM_RSRC2:USER_SGPR: 6
; COMPUTE_PGM_RSRC2:TRAP_HANDLER: 0
; COMPUTE_PGM_RSRC2:TGID_X_EN: 1
; COMPUTE_PGM_RSRC2:TGID_Y_EN: 0
; COMPUTE_PGM_RSRC2:TGID_Z_EN: 0
; COMPUTE_PGM_RSRC2:TIDIG_COMP_CNT: 0
; COMPUTE_PGM_RSRC3_GFX90A:ACCUM_OFFSET: 8
; COMPUTE_PGM_RSRC3_GFX90A:TG_SPLIT: 0
	.section	.text._ZN9rocsolver6v33100L18trti2_kernel_smallILi6EfPKPfEEv13rocblas_fill_17rocblas_diagonal_T1_iil,"axG",@progbits,_ZN9rocsolver6v33100L18trti2_kernel_smallILi6EfPKPfEEv13rocblas_fill_17rocblas_diagonal_T1_iil,comdat
	.globl	_ZN9rocsolver6v33100L18trti2_kernel_smallILi6EfPKPfEEv13rocblas_fill_17rocblas_diagonal_T1_iil ; -- Begin function _ZN9rocsolver6v33100L18trti2_kernel_smallILi6EfPKPfEEv13rocblas_fill_17rocblas_diagonal_T1_iil
	.p2align	8
	.type	_ZN9rocsolver6v33100L18trti2_kernel_smallILi6EfPKPfEEv13rocblas_fill_17rocblas_diagonal_T1_iil,@function
_ZN9rocsolver6v33100L18trti2_kernel_smallILi6EfPKPfEEv13rocblas_fill_17rocblas_diagonal_T1_iil: ; @_ZN9rocsolver6v33100L18trti2_kernel_smallILi6EfPKPfEEv13rocblas_fill_17rocblas_diagonal_T1_iil
; %bb.0:
	v_cmp_gt_u32_e32 vcc, 6, v0
	s_and_saveexec_b64 s[0:1], vcc
	s_cbranch_execz .LBB69_110
; %bb.1:
	s_load_dwordx2 s[0:1], s[4:5], 0x10
	s_load_dwordx4 s[12:15], s[4:5], 0x0
	s_ashr_i32 s7, s6, 31
	s_lshl_b64 s[2:3], s[6:7], 3
	v_lshlrev_b32_e32 v8, 2, v0
	s_waitcnt lgkmcnt(0)
	s_ashr_i32 s5, s0, 31
	s_add_u32 s2, s14, s2
	s_addc_u32 s3, s15, s3
	s_load_dwordx2 s[2:3], s[2:3], 0x0
	s_mov_b32 s4, s0
	s_lshl_b64 s[4:5], s[4:5], 2
	v_mov_b32_e32 v9, -1.0
	s_waitcnt lgkmcnt(0)
	s_add_u32 s2, s2, s4
	s_addc_u32 s3, s3, s5
	v_mov_b32_e32 v1, s3
	v_add_co_u32_e32 v14, vcc, s2, v8
	s_ashr_i32 s5, s1, 31
	s_mov_b32 s4, s1
	s_add_i32 s0, s1, s1
	v_addc_co_u32_e32 v15, vcc, 0, v1, vcc
	s_lshl_b64 s[4:5], s[4:5], 2
	v_add_u32_e32 v2, s0, v0
	v_mov_b32_e32 v1, s5
	v_add_co_u32_e32 v16, vcc, s4, v14
	v_ashrrev_i32_e32 v3, 31, v2
	v_addc_co_u32_e32 v17, vcc, v15, v1, vcc
	v_lshlrev_b64 v[4:5], 2, v[2:3]
	v_add_u32_e32 v2, s1, v2
	v_mov_b32_e32 v1, s3
	v_add_co_u32_e32 v18, vcc, s2, v4
	v_ashrrev_i32_e32 v3, 31, v2
	v_addc_co_u32_e32 v19, vcc, v1, v5, vcc
	v_lshlrev_b64 v[4:5], 2, v[2:3]
	v_add_u32_e32 v2, s1, v2
	v_add_co_u32_e32 v20, vcc, s2, v4
	v_ashrrev_i32_e32 v3, 31, v2
	v_addc_co_u32_e32 v21, vcc, v1, v5, vcc
	v_lshlrev_b64 v[4:5], 2, v[2:3]
	v_add_u32_e32 v10, s1, v2
	v_add_co_u32_e32 v22, vcc, s2, v4
	v_ashrrev_i32_e32 v11, 31, v10
	v_addc_co_u32_e32 v23, vcc, v1, v5, vcc
	global_load_dword v3, v[16:17], off
	global_load_dword v4, v[18:19], off
	;; [unrolled: 1-line block ×4, first 2 shown]
	v_lshlrev_b64 v[10:11], 2, v[10:11]
	v_add_co_u32_e32 v24, vcc, s2, v10
	v_addc_co_u32_e32 v25, vcc, v1, v11, vcc
	global_load_dword v2, v8, s[2:3]
	global_load_dword v7, v[24:25], off
	s_cmpk_lg_i32 s13, 0x84
	v_mov_b32_e32 v1, 0
	s_cselect_b64 s[14:15], -1, 0
	s_cmpk_eq_i32 s13, 0x84
	v_cmp_eq_u32_e64 s[0:1], 0, v0
	s_cbranch_scc1 .LBB69_3
; %bb.2:
	v_cmp_eq_u32_e64 s[2:3], 1, v0
	s_waitcnt vmcnt(1)
	v_cndmask_b32_e64 v9, v2, v3, s[2:3]
	v_cmp_eq_u32_e64 s[4:5], 2, v0
	v_cndmask_b32_e64 v9, v9, v4, s[4:5]
	v_cmp_eq_u32_e64 s[6:7], 3, v0
	;; [unrolled: 2-line block ×4, first 2 shown]
	s_waitcnt vmcnt(0)
	v_cndmask_b32_e64 v9, v9, v7, s[10:11]
	v_div_scale_f32 v10, s[16:17], v9, v9, 1.0
	v_rcp_f32_e32 v11, v10
	v_fma_f32 v12, -v10, v11, 1.0
	v_fmac_f32_e32 v11, v12, v11
	v_div_scale_f32 v12, vcc, 1.0, v9, 1.0
	v_mul_f32_e32 v13, v12, v11
	v_fma_f32 v26, -v10, v13, v12
	v_fmac_f32_e32 v13, v26, v11
	v_fma_f32 v10, -v10, v13, v12
	v_div_fmas_f32 v10, v10, v11, v13
	v_div_fixup_f32 v9, v10, v9, 1.0
	v_cndmask_b32_e64 v7, v7, v9, s[10:11]
	v_cndmask_b32_e64 v6, v6, v9, s[8:9]
	;; [unrolled: 1-line block ×6, first 2 shown]
	v_xor_b32_e32 v9, 0x80000000, v9
.LBB69_3:
	s_cmpk_eq_i32 s12, 0x79
	v_add_u32_e32 v29, 32, v8
	ds_write_b32 v8, v9
	s_cbranch_scc1 .LBB69_7
; %bb.4:
	s_waitcnt vmcnt(0)
	v_pk_mov_b32 v[12:13], v[6:7], v[6:7] op_sel:[0,1]
	v_cmp_eq_u32_e64 s[0:1], 5, v0
	v_pk_mov_b32 v[10:11], v[4:5], v[4:5] op_sel:[0,1]
	v_pk_mov_b32 v[8:9], v[2:3], v[2:3] op_sel:[0,1]
	ds_write_b32 v29, v6
	s_waitcnt lgkmcnt(0)
	; wave barrier
	s_waitcnt lgkmcnt(0)
	s_and_saveexec_b64 s[2:3], s[0:1]
	s_cbranch_execz .LBB69_11
; %bb.5:
	s_and_b64 vcc, exec, s[14:15]
	s_cbranch_vccz .LBB69_8
; %bb.6:
	v_cmp_eq_u32_e32 vcc, 1, v0
	v_cndmask_b32_e32 v8, v2, v3, vcc
	v_cmp_eq_u32_e32 vcc, 2, v0
	ds_read_b32 v9, v29
	v_cndmask_b32_e32 v8, v8, v4, vcc
	v_cmp_eq_u32_e32 vcc, 3, v0
	v_cndmask_b32_e32 v8, v8, v5, vcc
	v_cmp_eq_u32_e32 vcc, 4, v0
	;; [unrolled: 2-line block ×3, first 2 shown]
	v_cndmask_b32_e32 v8, v8, v7, vcc
	s_waitcnt lgkmcnt(0)
	v_mul_f32_e32 v8, v8, v9
	s_cbranch_execz .LBB69_9
	s_branch .LBB69_10
.LBB69_7:
                                        ; implicit-def: $vgpr8_vgpr9_vgpr10_vgpr11_vgpr12_vgpr13
	s_cbranch_execnz .LBB69_66
	s_branch .LBB69_109
.LBB69_8:
                                        ; implicit-def: $vgpr8
.LBB69_9:
	ds_read_b32 v8, v29
.LBB69_10:
	v_mov_b32_e32 v9, 0
	ds_read_b32 v9, v9 offset:16
	s_waitcnt lgkmcnt(0)
	v_mul_f32_e32 v26, v8, v9
	v_pk_mov_b32 v[12:13], v[6:7], v[6:7] op_sel:[0,1]
	v_pk_mov_b32 v[10:11], v[4:5], v[4:5] op_sel:[0,1]
	;; [unrolled: 1-line block ×3, first 2 shown]
	v_mov_b32_e32 v12, v26
.LBB69_11:
	s_or_b64 exec, exec, s[2:3]
	v_cmp_lt_u32_e64 s[2:3], 3, v0
	ds_write_b32 v29, v11
	s_waitcnt lgkmcnt(0)
	; wave barrier
	s_waitcnt lgkmcnt(0)
	s_and_saveexec_b64 s[4:5], s[2:3]
	s_cbranch_execz .LBB69_17
; %bb.12:
	s_andn2_b64 vcc, exec, s[14:15]
	s_cbranch_vccnz .LBB69_14
; %bb.13:
	v_cmp_eq_u32_e32 vcc, 1, v0
	v_cndmask_b32_e32 v26, v8, v9, vcc
	v_cmp_eq_u32_e32 vcc, 2, v0
	v_cndmask_b32_e32 v26, v26, v10, vcc
	;; [unrolled: 2-line block ×3, first 2 shown]
	ds_read_b32 v26, v29
	v_cmp_eq_u32_e32 vcc, 4, v0
	v_cndmask_b32_e32 v11, v11, v12, vcc
	v_cmp_eq_u32_e32 vcc, 5, v0
	v_cndmask_b32_e32 v11, v11, v13, vcc
	s_waitcnt lgkmcnt(0)
	v_mul_f32_e32 v11, v11, v26
	s_cbranch_execz .LBB69_15
	s_branch .LBB69_16
.LBB69_14:
                                        ; implicit-def: $vgpr11
.LBB69_15:
	ds_read_b32 v11, v29
.LBB69_16:
	v_mov_b32_e32 v26, 0
	ds_read2_b32 v[26:27], v26 offset0:3 offset1:12
	s_waitcnt lgkmcnt(0)
	v_fma_f32 v27, v12, v27, v11
	v_cndmask_b32_e64 v11, v11, v27, s[0:1]
	v_mul_f32_e32 v11, v11, v26
.LBB69_17:
	s_or_b64 exec, exec, s[4:5]
	v_cmp_lt_u32_e64 s[0:1], 2, v0
	ds_write_b32 v29, v10
	s_waitcnt lgkmcnt(0)
	; wave barrier
	s_waitcnt lgkmcnt(0)
	s_and_saveexec_b64 s[4:5], s[0:1]
	s_cbranch_execz .LBB69_33
; %bb.18:
	s_andn2_b64 vcc, exec, s[14:15]
	s_cbranch_vccnz .LBB69_20
; %bb.19:
	v_cmp_eq_u32_e32 vcc, 1, v0
	v_cndmask_b32_e32 v26, v8, v9, vcc
	v_cmp_eq_u32_e32 vcc, 2, v0
	ds_read_b32 v27, v29
	v_cndmask_b32_e32 v26, v26, v10, vcc
	v_cmp_eq_u32_e32 vcc, 3, v0
	v_cndmask_b32_e32 v26, v26, v11, vcc
	v_cmp_eq_u32_e32 vcc, 4, v0
	;; [unrolled: 2-line block ×3, first 2 shown]
	v_cndmask_b32_e32 v26, v26, v13, vcc
	s_waitcnt lgkmcnt(0)
	v_mul_f32_e32 v30, v26, v27
	s_cbranch_execz .LBB69_21
	s_branch .LBB69_22
.LBB69_20:
                                        ; implicit-def: $vgpr30
.LBB69_21:
	ds_read_b32 v30, v29
.LBB69_22:
	s_and_saveexec_b64 s[6:7], s[2:3]
	s_cbranch_execz .LBB69_32
; %bb.23:
	v_add_u32_e32 v26, -4, v0
	v_add_u32_e32 v27, -3, v0
	v_cmp_lt_u32_e32 vcc, 6, v26
	v_mov_b32_e32 v28, 3
	s_and_saveexec_b64 s[2:3], vcc
	s_cbranch_execz .LBB69_27
; %bb.24:
	v_and_b32_e32 v26, -8, v27
	v_sub_u32_e32 v26, 0, v26
	s_mov_b64 s[8:9], 10
	s_mov_b32 s12, 44
	s_mov_b64 s[10:11], 0
.LBB69_25:                              ; =>This Inner Loop Header: Depth=1
	s_add_i32 s13, s8, -7
	s_cmp_eq_u32 s13, 1
	v_mov_b32_e32 v28, s12
	s_cselect_b64 vcc, -1, 0
	s_cmp_eq_u32 s13, 2
	ds_read2_b32 v[32:33], v28 offset1:1
	ds_read2_b32 v[34:35], v28 offset0:2 offset1:3
	ds_read2_b32 v[36:37], v28 offset0:4 offset1:5
	;; [unrolled: 1-line block ×3, first 2 shown]
	v_cndmask_b32_e32 v28, v8, v9, vcc
	s_cselect_b64 vcc, -1, 0
	s_cmp_eq_u32 s13, 3
	v_cndmask_b32_e32 v28, v28, v10, vcc
	s_cselect_b64 vcc, -1, 0
	s_cmp_eq_u32 s13, 4
	v_cndmask_b32_e32 v28, v28, v11, vcc
	s_cselect_b64 vcc, -1, 0
	s_cmp_eq_u32 s13, 5
	v_cndmask_b32_e32 v28, v28, v12, vcc
	s_cselect_b64 vcc, -1, 0
	s_add_i32 s13, s8, -6
	s_cmp_eq_u32 s13, 1
	v_cndmask_b32_e32 v28, v28, v13, vcc
	s_cselect_b64 vcc, -1, 0
	s_cmp_eq_u32 s13, 2
	s_waitcnt lgkmcnt(3)
	v_fmac_f32_e32 v30, v28, v32
	v_cndmask_b32_e32 v28, v8, v9, vcc
	s_cselect_b64 vcc, -1, 0
	s_cmp_eq_u32 s13, 3
	v_cndmask_b32_e32 v28, v28, v10, vcc
	s_cselect_b64 vcc, -1, 0
	s_cmp_eq_u32 s13, 4
	v_cndmask_b32_e32 v28, v28, v11, vcc
	s_cselect_b64 vcc, -1, 0
	s_cmp_eq_u32 s13, 5
	v_cndmask_b32_e32 v28, v28, v12, vcc
	s_cselect_b64 vcc, -1, 0
	s_add_i32 s13, s8, -5
	s_cmp_eq_u32 s13, 1
	v_cndmask_b32_e32 v28, v28, v13, vcc
	s_cselect_b64 vcc, -1, 0
	s_cmp_eq_u32 s13, 2
	v_fmac_f32_e32 v30, v28, v33
	v_cndmask_b32_e32 v28, v8, v9, vcc
	s_cselect_b64 vcc, -1, 0
	s_cmp_eq_u32 s13, 3
	v_cndmask_b32_e32 v28, v28, v10, vcc
	s_cselect_b64 vcc, -1, 0
	s_cmp_eq_u32 s13, 4
	v_cndmask_b32_e32 v28, v28, v11, vcc
	s_cselect_b64 vcc, -1, 0
	s_cmp_eq_u32 s13, 5
	v_cndmask_b32_e32 v28, v28, v12, vcc
	s_cselect_b64 vcc, -1, 0
	s_add_i32 s13, s8, -4
	s_cmp_eq_u32 s13, 1
	v_cndmask_b32_e32 v28, v28, v13, vcc
	s_cselect_b64 vcc, -1, 0
	s_cmp_eq_u32 s13, 2
	s_waitcnt lgkmcnt(2)
	v_fmac_f32_e32 v30, v28, v34
	v_cndmask_b32_e32 v28, v8, v9, vcc
	s_cselect_b64 vcc, -1, 0
	s_cmp_eq_u32 s13, 3
	v_cndmask_b32_e32 v28, v28, v10, vcc
	s_cselect_b64 vcc, -1, 0
	s_cmp_eq_u32 s13, 4
	v_cndmask_b32_e32 v28, v28, v11, vcc
	s_cselect_b64 vcc, -1, 0
	s_cmp_eq_u32 s13, 5
	v_cndmask_b32_e32 v28, v28, v12, vcc
	s_cselect_b64 vcc, -1, 0
	s_add_i32 s13, s8, -3
	s_cmp_eq_u32 s13, 1
	v_cndmask_b32_e32 v28, v28, v13, vcc
	s_cselect_b64 vcc, -1, 0
	s_cmp_eq_u32 s13, 2
	v_fmac_f32_e32 v30, v28, v35
	v_cndmask_b32_e32 v28, v8, v9, vcc
	s_cselect_b64 vcc, -1, 0
	s_cmp_eq_u32 s13, 3
	v_cndmask_b32_e32 v28, v28, v10, vcc
	s_cselect_b64 vcc, -1, 0
	s_cmp_eq_u32 s13, 4
	v_cndmask_b32_e32 v28, v28, v11, vcc
	s_cselect_b64 vcc, -1, 0
	s_cmp_eq_u32 s13, 5
	v_cndmask_b32_e32 v28, v28, v12, vcc
	s_cselect_b64 vcc, -1, 0
	s_add_i32 s13, s8, -2
	s_cmp_eq_u32 s13, 1
	v_cndmask_b32_e32 v28, v28, v13, vcc
	s_cselect_b64 vcc, -1, 0
	s_cmp_eq_u32 s13, 2
	s_waitcnt lgkmcnt(1)
	v_fmac_f32_e32 v30, v28, v36
	v_cndmask_b32_e32 v28, v8, v9, vcc
	s_cselect_b64 vcc, -1, 0
	s_cmp_eq_u32 s13, 3
	v_cndmask_b32_e32 v28, v28, v10, vcc
	s_cselect_b64 vcc, -1, 0
	s_cmp_eq_u32 s13, 4
	v_cndmask_b32_e32 v28, v28, v11, vcc
	s_cselect_b64 vcc, -1, 0
	s_cmp_eq_u32 s13, 5
	v_cndmask_b32_e32 v28, v28, v12, vcc
	s_cselect_b64 vcc, -1, 0
	s_add_i32 s13, s8, -1
	s_cmp_eq_u32 s13, 1
	v_cndmask_b32_e32 v28, v28, v13, vcc
	s_cselect_b64 vcc, -1, 0
	s_cmp_eq_u32 s13, 2
	v_fmac_f32_e32 v30, v28, v37
	v_cndmask_b32_e32 v28, v8, v9, vcc
	s_cselect_b64 vcc, -1, 0
	s_cmp_eq_u32 s13, 3
	v_cndmask_b32_e32 v28, v28, v10, vcc
	s_cselect_b64 vcc, -1, 0
	s_cmp_eq_u32 s13, 4
	v_cndmask_b32_e32 v28, v28, v11, vcc
	s_cselect_b64 vcc, -1, 0
	s_cmp_eq_u32 s13, 5
	v_cndmask_b32_e32 v28, v28, v12, vcc
	s_cselect_b64 vcc, -1, 0
	s_cmp_eq_u32 s8, 1
	v_cndmask_b32_e32 v28, v28, v13, vcc
	s_cselect_b64 vcc, -1, 0
	s_cmp_eq_u32 s8, 2
	s_waitcnt lgkmcnt(0)
	v_fmac_f32_e32 v30, v28, v38
	v_cndmask_b32_e32 v28, v8, v9, vcc
	s_cselect_b64 vcc, -1, 0
	s_cmp_eq_u32 s8, 3
	v_cndmask_b32_e32 v28, v28, v10, vcc
	s_cselect_b64 vcc, -1, 0
	s_cmp_eq_u32 s8, 4
	;; [unrolled: 3-line block ×3, first 2 shown]
	v_cndmask_b32_e32 v28, v28, v12, vcc
	s_cselect_b64 vcc, -1, 0
	v_cndmask_b32_e32 v28, v28, v13, vcc
	s_add_u32 s8, s8, 8
	v_fmac_f32_e32 v30, v28, v39
	v_add_u32_e32 v28, s8, v26
	s_addc_u32 s9, s9, 0
	s_add_i32 s12, s12, 32
	s_add_i32 s13, s8, -7
	v_cmp_eq_u32_e32 vcc, 10, v28
	s_or_b64 s[10:11], vcc, s[10:11]
	v_mov_b32_e32 v28, s13
	s_andn2_b64 exec, exec, s[10:11]
	s_cbranch_execnz .LBB69_25
; %bb.26:
	s_or_b64 exec, exec, s[10:11]
.LBB69_27:
	s_or_b64 exec, exec, s[2:3]
	v_and_b32_e32 v26, 7, v27
	v_cmp_ne_u32_e32 vcc, 0, v26
	s_and_saveexec_b64 s[8:9], vcc
	s_cbranch_execz .LBB69_31
; %bb.28:
	v_lshl_add_u32 v31, v28, 2, 32
	v_mov_b32_e32 v27, 0
	s_mov_b64 s[10:11], 0
.LBB69_29:                              ; =>This Inner Loop Header: Depth=1
	v_cmp_eq_u32_e32 vcc, 1, v28
	v_cndmask_b32_e32 v32, v8, v9, vcc
	ds_read_b32 v33, v31
	v_add_u32_e32 v26, -1, v26
	v_cmp_eq_u32_e32 vcc, 2, v28
	v_cndmask_b32_e32 v32, v32, v10, vcc
	v_cmp_eq_u32_e32 vcc, 0, v26
	v_cmp_eq_u32_e64 s[2:3], 3, v28
	v_cndmask_b32_e64 v32, v32, v11, s[2:3]
	s_or_b64 s[10:11], vcc, s[10:11]
	v_cmp_eq_u32_e32 vcc, 4, v28
	v_cndmask_b32_e32 v32, v32, v12, vcc
	v_cmp_eq_u32_e32 vcc, 5, v28
	v_add_co_u32_e64 v28, s[2:3], 1, v28
	v_cndmask_b32_e32 v32, v32, v13, vcc
	v_add_u32_e32 v31, 4, v31
	v_addc_co_u32_e64 v27, s[2:3], 0, v27, s[2:3]
	s_waitcnt lgkmcnt(0)
	v_fmac_f32_e32 v30, v32, v33
	s_andn2_b64 exec, exec, s[10:11]
	s_cbranch_execnz .LBB69_29
; %bb.30:
	s_or_b64 exec, exec, s[10:11]
.LBB69_31:
	s_or_b64 exec, exec, s[8:9]
.LBB69_32:
	s_or_b64 exec, exec, s[6:7]
	v_mov_b32_e32 v10, 0
	ds_read_b32 v10, v10 offset:8
	s_waitcnt lgkmcnt(0)
	v_mul_f32_e32 v10, v30, v10
.LBB69_33:
	s_or_b64 exec, exec, s[4:5]
	v_cmp_lt_u32_e64 s[2:3], 1, v0
	ds_write_b32 v29, v9
	s_waitcnt lgkmcnt(0)
	; wave barrier
	s_waitcnt lgkmcnt(0)
	s_and_saveexec_b64 s[4:5], s[2:3]
	s_cbranch_execz .LBB69_49
; %bb.34:
	s_andn2_b64 vcc, exec, s[14:15]
	s_cbranch_vccnz .LBB69_36
; %bb.35:
	v_cmp_eq_u32_e32 vcc, 1, v0
	v_cndmask_b32_e32 v26, v8, v9, vcc
	v_cmp_eq_u32_e32 vcc, 2, v0
	ds_read_b32 v27, v29
	v_cndmask_b32_e32 v26, v26, v10, vcc
	v_cmp_eq_u32_e32 vcc, 3, v0
	v_cndmask_b32_e32 v26, v26, v11, vcc
	v_cmp_eq_u32_e32 vcc, 4, v0
	;; [unrolled: 2-line block ×3, first 2 shown]
	v_cndmask_b32_e32 v26, v26, v13, vcc
	s_waitcnt lgkmcnt(0)
	v_mul_f32_e32 v30, v26, v27
	s_cbranch_execz .LBB69_37
	s_branch .LBB69_38
.LBB69_36:
                                        ; implicit-def: $vgpr30
.LBB69_37:
	ds_read_b32 v30, v29
.LBB69_38:
	s_and_saveexec_b64 s[6:7], s[0:1]
	s_cbranch_execz .LBB69_48
; %bb.39:
	v_add_u32_e32 v26, -3, v0
	v_add_u32_e32 v27, -2, v0
	v_cmp_lt_u32_e32 vcc, 6, v26
	v_mov_b32_e32 v28, 2
	s_and_saveexec_b64 s[0:1], vcc
	s_cbranch_execz .LBB69_43
; %bb.40:
	v_and_b32_e32 v26, -8, v27
	v_sub_u32_e32 v26, 0, v26
	s_mov_b64 s[8:9], 9
	s_mov_b32 s12, 40
	s_mov_b64 s[10:11], 0
.LBB69_41:                              ; =>This Inner Loop Header: Depth=1
	s_add_i32 s13, s8, -7
	s_cmp_eq_u32 s13, 1
	v_mov_b32_e32 v28, s12
	s_cselect_b64 vcc, -1, 0
	s_cmp_eq_u32 s13, 2
	ds_read2_b64 v[32:35], v28 offset1:1
	ds_read2_b64 v[36:39], v28 offset0:2 offset1:3
	v_cndmask_b32_e32 v28, v8, v9, vcc
	s_cselect_b64 vcc, -1, 0
	s_cmp_eq_u32 s13, 3
	v_cndmask_b32_e32 v28, v28, v10, vcc
	s_cselect_b64 vcc, -1, 0
	s_cmp_eq_u32 s13, 4
	;; [unrolled: 3-line block ×3, first 2 shown]
	v_cndmask_b32_e32 v28, v28, v12, vcc
	s_cselect_b64 vcc, -1, 0
	s_add_i32 s13, s8, -6
	s_cmp_eq_u32 s13, 1
	v_cndmask_b32_e32 v28, v28, v13, vcc
	s_cselect_b64 vcc, -1, 0
	s_cmp_eq_u32 s13, 2
	s_waitcnt lgkmcnt(1)
	v_fmac_f32_e32 v30, v28, v32
	v_cndmask_b32_e32 v28, v8, v9, vcc
	s_cselect_b64 vcc, -1, 0
	s_cmp_eq_u32 s13, 3
	v_cndmask_b32_e32 v28, v28, v10, vcc
	s_cselect_b64 vcc, -1, 0
	s_cmp_eq_u32 s13, 4
	v_cndmask_b32_e32 v28, v28, v11, vcc
	s_cselect_b64 vcc, -1, 0
	s_cmp_eq_u32 s13, 5
	v_cndmask_b32_e32 v28, v28, v12, vcc
	s_cselect_b64 vcc, -1, 0
	s_add_i32 s13, s8, -5
	s_cmp_eq_u32 s13, 1
	v_cndmask_b32_e32 v28, v28, v13, vcc
	s_cselect_b64 vcc, -1, 0
	s_cmp_eq_u32 s13, 2
	v_fmac_f32_e32 v30, v28, v33
	v_cndmask_b32_e32 v28, v8, v9, vcc
	s_cselect_b64 vcc, -1, 0
	s_cmp_eq_u32 s13, 3
	v_cndmask_b32_e32 v28, v28, v10, vcc
	s_cselect_b64 vcc, -1, 0
	s_cmp_eq_u32 s13, 4
	v_cndmask_b32_e32 v28, v28, v11, vcc
	s_cselect_b64 vcc, -1, 0
	s_cmp_eq_u32 s13, 5
	v_cndmask_b32_e32 v28, v28, v12, vcc
	s_cselect_b64 vcc, -1, 0
	s_add_i32 s13, s8, -4
	s_cmp_eq_u32 s13, 1
	v_cndmask_b32_e32 v28, v28, v13, vcc
	s_cselect_b64 vcc, -1, 0
	s_cmp_eq_u32 s13, 2
	;; [unrolled: 17-line block ×4, first 2 shown]
	s_waitcnt lgkmcnt(0)
	v_fmac_f32_e32 v30, v28, v36
	v_cndmask_b32_e32 v28, v8, v9, vcc
	s_cselect_b64 vcc, -1, 0
	s_cmp_eq_u32 s13, 3
	v_cndmask_b32_e32 v28, v28, v10, vcc
	s_cselect_b64 vcc, -1, 0
	s_cmp_eq_u32 s13, 4
	;; [unrolled: 3-line block ×3, first 2 shown]
	v_cndmask_b32_e32 v28, v28, v12, vcc
	s_cselect_b64 vcc, -1, 0
	s_add_i32 s13, s8, -1
	s_cmp_eq_u32 s13, 1
	v_cndmask_b32_e32 v28, v28, v13, vcc
	s_cselect_b64 vcc, -1, 0
	s_cmp_eq_u32 s13, 2
	v_fmac_f32_e32 v30, v28, v37
	v_cndmask_b32_e32 v28, v8, v9, vcc
	s_cselect_b64 vcc, -1, 0
	s_cmp_eq_u32 s13, 3
	v_cndmask_b32_e32 v28, v28, v10, vcc
	s_cselect_b64 vcc, -1, 0
	s_cmp_eq_u32 s13, 4
	;; [unrolled: 3-line block ×5, first 2 shown]
	v_fmac_f32_e32 v30, v28, v38
	v_cndmask_b32_e32 v28, v8, v9, vcc
	s_cselect_b64 vcc, -1, 0
	s_cmp_eq_u32 s8, 3
	v_cndmask_b32_e32 v28, v28, v10, vcc
	s_cselect_b64 vcc, -1, 0
	s_cmp_eq_u32 s8, 4
	;; [unrolled: 3-line block ×3, first 2 shown]
	v_cndmask_b32_e32 v28, v28, v12, vcc
	s_cselect_b64 vcc, -1, 0
	v_cndmask_b32_e32 v28, v28, v13, vcc
	s_add_u32 s8, s8, 8
	v_fmac_f32_e32 v30, v28, v39
	v_add_u32_e32 v28, s8, v26
	s_addc_u32 s9, s9, 0
	s_add_i32 s12, s12, 32
	s_add_i32 s13, s8, -7
	v_cmp_eq_u32_e32 vcc, 9, v28
	s_or_b64 s[10:11], vcc, s[10:11]
	v_mov_b32_e32 v28, s13
	s_andn2_b64 exec, exec, s[10:11]
	s_cbranch_execnz .LBB69_41
; %bb.42:
	s_or_b64 exec, exec, s[10:11]
.LBB69_43:
	s_or_b64 exec, exec, s[0:1]
	v_and_b32_e32 v26, 7, v27
	v_cmp_ne_u32_e32 vcc, 0, v26
	s_and_saveexec_b64 s[8:9], vcc
	s_cbranch_execz .LBB69_47
; %bb.44:
	v_lshl_add_u32 v31, v28, 2, 32
	v_mov_b32_e32 v27, 0
	s_mov_b64 s[10:11], 0
.LBB69_45:                              ; =>This Inner Loop Header: Depth=1
	v_cmp_eq_u32_e32 vcc, 1, v28
	v_cndmask_b32_e32 v32, v8, v9, vcc
	ds_read_b32 v33, v31
	v_add_u32_e32 v26, -1, v26
	v_cmp_eq_u32_e32 vcc, 2, v28
	v_cndmask_b32_e32 v32, v32, v10, vcc
	v_cmp_eq_u32_e32 vcc, 0, v26
	v_cmp_eq_u32_e64 s[0:1], 3, v28
	v_cndmask_b32_e64 v32, v32, v11, s[0:1]
	s_or_b64 s[10:11], vcc, s[10:11]
	v_cmp_eq_u32_e32 vcc, 4, v28
	v_cndmask_b32_e32 v32, v32, v12, vcc
	v_cmp_eq_u32_e32 vcc, 5, v28
	v_add_co_u32_e64 v28, s[0:1], 1, v28
	v_cndmask_b32_e32 v32, v32, v13, vcc
	v_add_u32_e32 v31, 4, v31
	v_addc_co_u32_e64 v27, s[0:1], 0, v27, s[0:1]
	s_waitcnt lgkmcnt(0)
	v_fmac_f32_e32 v30, v32, v33
	s_andn2_b64 exec, exec, s[10:11]
	s_cbranch_execnz .LBB69_45
; %bb.46:
	s_or_b64 exec, exec, s[10:11]
.LBB69_47:
	s_or_b64 exec, exec, s[8:9]
.LBB69_48:
	s_or_b64 exec, exec, s[6:7]
	v_mov_b32_e32 v9, 0
	ds_read_b32 v9, v9 offset:4
	s_waitcnt lgkmcnt(0)
	v_mul_f32_e32 v9, v30, v9
.LBB69_49:
	s_or_b64 exec, exec, s[4:5]
	v_cmp_ne_u32_e32 vcc, 0, v0
	ds_write_b32 v29, v8
	s_waitcnt lgkmcnt(0)
	; wave barrier
	s_waitcnt lgkmcnt(0)
	s_and_saveexec_b64 s[4:5], vcc
	s_cbranch_execz .LBB69_65
; %bb.50:
	s_andn2_b64 vcc, exec, s[14:15]
	s_cbranch_vccnz .LBB69_52
; %bb.51:
	v_cmp_eq_u32_e32 vcc, 1, v0
	v_cndmask_b32_e32 v26, v8, v9, vcc
	v_cmp_eq_u32_e32 vcc, 2, v0
	ds_read_b32 v27, v29
	v_cndmask_b32_e32 v26, v26, v10, vcc
	v_cmp_eq_u32_e32 vcc, 3, v0
	v_cndmask_b32_e32 v26, v26, v11, vcc
	v_cmp_eq_u32_e32 vcc, 4, v0
	;; [unrolled: 2-line block ×3, first 2 shown]
	v_cndmask_b32_e32 v26, v26, v13, vcc
	s_waitcnt lgkmcnt(0)
	v_mul_f32_e32 v30, v26, v27
	s_cbranch_execz .LBB69_53
	s_branch .LBB69_54
.LBB69_52:
                                        ; implicit-def: $vgpr30
.LBB69_53:
	ds_read_b32 v30, v29
.LBB69_54:
	s_and_saveexec_b64 s[6:7], s[2:3]
	s_cbranch_execz .LBB69_64
; %bb.55:
	v_add_u32_e32 v26, -2, v0
	v_add_u32_e32 v27, -1, v0
	v_cmp_lt_u32_e32 vcc, 6, v26
	v_mov_b32_e32 v28, 1
	s_and_saveexec_b64 s[0:1], vcc
	s_cbranch_execz .LBB69_59
; %bb.56:
	v_and_b32_e32 v26, -8, v27
	v_sub_u32_e32 v26, 0, v26
	s_mov_b64 s[2:3], 8
	s_mov_b32 s10, 36
	s_mov_b64 s[8:9], 0
.LBB69_57:                              ; =>This Inner Loop Header: Depth=1
	s_add_i32 s11, s2, -7
	s_cmp_eq_u32 s11, 1
	v_mov_b32_e32 v28, s10
	s_cselect_b64 vcc, -1, 0
	s_cmp_eq_u32 s11, 2
	ds_read2_b32 v[32:33], v28 offset1:1
	ds_read2_b32 v[34:35], v28 offset0:2 offset1:3
	ds_read2_b32 v[36:37], v28 offset0:4 offset1:5
	;; [unrolled: 1-line block ×3, first 2 shown]
	v_cndmask_b32_e32 v28, v8, v9, vcc
	s_cselect_b64 vcc, -1, 0
	s_cmp_eq_u32 s11, 3
	v_cndmask_b32_e32 v28, v28, v10, vcc
	s_cselect_b64 vcc, -1, 0
	s_cmp_eq_u32 s11, 4
	v_cndmask_b32_e32 v28, v28, v11, vcc
	s_cselect_b64 vcc, -1, 0
	s_cmp_eq_u32 s11, 5
	v_cndmask_b32_e32 v28, v28, v12, vcc
	s_cselect_b64 vcc, -1, 0
	s_add_i32 s11, s2, -6
	s_cmp_eq_u32 s11, 1
	v_cndmask_b32_e32 v28, v28, v13, vcc
	s_cselect_b64 vcc, -1, 0
	s_cmp_eq_u32 s11, 2
	s_waitcnt lgkmcnt(3)
	v_fmac_f32_e32 v30, v28, v32
	v_cndmask_b32_e32 v28, v8, v9, vcc
	s_cselect_b64 vcc, -1, 0
	s_cmp_eq_u32 s11, 3
	v_cndmask_b32_e32 v28, v28, v10, vcc
	s_cselect_b64 vcc, -1, 0
	s_cmp_eq_u32 s11, 4
	v_cndmask_b32_e32 v28, v28, v11, vcc
	s_cselect_b64 vcc, -1, 0
	s_cmp_eq_u32 s11, 5
	v_cndmask_b32_e32 v28, v28, v12, vcc
	s_cselect_b64 vcc, -1, 0
	s_add_i32 s11, s2, -5
	s_cmp_eq_u32 s11, 1
	v_cndmask_b32_e32 v28, v28, v13, vcc
	s_cselect_b64 vcc, -1, 0
	s_cmp_eq_u32 s11, 2
	v_fmac_f32_e32 v30, v28, v33
	v_cndmask_b32_e32 v28, v8, v9, vcc
	s_cselect_b64 vcc, -1, 0
	s_cmp_eq_u32 s11, 3
	v_cndmask_b32_e32 v28, v28, v10, vcc
	s_cselect_b64 vcc, -1, 0
	s_cmp_eq_u32 s11, 4
	v_cndmask_b32_e32 v28, v28, v11, vcc
	s_cselect_b64 vcc, -1, 0
	s_cmp_eq_u32 s11, 5
	v_cndmask_b32_e32 v28, v28, v12, vcc
	s_cselect_b64 vcc, -1, 0
	s_add_i32 s11, s2, -4
	s_cmp_eq_u32 s11, 1
	v_cndmask_b32_e32 v28, v28, v13, vcc
	s_cselect_b64 vcc, -1, 0
	s_cmp_eq_u32 s11, 2
	s_waitcnt lgkmcnt(2)
	v_fmac_f32_e32 v30, v28, v34
	v_cndmask_b32_e32 v28, v8, v9, vcc
	s_cselect_b64 vcc, -1, 0
	s_cmp_eq_u32 s11, 3
	v_cndmask_b32_e32 v28, v28, v10, vcc
	s_cselect_b64 vcc, -1, 0
	s_cmp_eq_u32 s11, 4
	v_cndmask_b32_e32 v28, v28, v11, vcc
	s_cselect_b64 vcc, -1, 0
	s_cmp_eq_u32 s11, 5
	v_cndmask_b32_e32 v28, v28, v12, vcc
	s_cselect_b64 vcc, -1, 0
	s_add_i32 s11, s2, -3
	s_cmp_eq_u32 s11, 1
	v_cndmask_b32_e32 v28, v28, v13, vcc
	s_cselect_b64 vcc, -1, 0
	s_cmp_eq_u32 s11, 2
	v_fmac_f32_e32 v30, v28, v35
	;; [unrolled: 35-line block ×3, first 2 shown]
	v_cndmask_b32_e32 v28, v8, v9, vcc
	s_cselect_b64 vcc, -1, 0
	s_cmp_eq_u32 s11, 3
	v_cndmask_b32_e32 v28, v28, v10, vcc
	s_cselect_b64 vcc, -1, 0
	s_cmp_eq_u32 s11, 4
	;; [unrolled: 3-line block ×5, first 2 shown]
	s_waitcnt lgkmcnt(0)
	v_fmac_f32_e32 v30, v28, v38
	v_cndmask_b32_e32 v28, v8, v9, vcc
	s_cselect_b64 vcc, -1, 0
	s_cmp_eq_u32 s2, 3
	v_cndmask_b32_e32 v28, v28, v10, vcc
	s_cselect_b64 vcc, -1, 0
	s_cmp_eq_u32 s2, 4
	;; [unrolled: 3-line block ×3, first 2 shown]
	v_cndmask_b32_e32 v28, v28, v12, vcc
	s_cselect_b64 vcc, -1, 0
	v_cndmask_b32_e32 v28, v28, v13, vcc
	s_add_u32 s2, s2, 8
	v_fmac_f32_e32 v30, v28, v39
	v_add_u32_e32 v28, s2, v26
	s_addc_u32 s3, s3, 0
	s_add_i32 s10, s10, 32
	s_add_i32 s11, s2, -7
	v_cmp_eq_u32_e32 vcc, 8, v28
	s_or_b64 s[8:9], vcc, s[8:9]
	v_mov_b32_e32 v28, s11
	s_andn2_b64 exec, exec, s[8:9]
	s_cbranch_execnz .LBB69_57
; %bb.58:
	s_or_b64 exec, exec, s[8:9]
.LBB69_59:
	s_or_b64 exec, exec, s[0:1]
	v_and_b32_e32 v26, 7, v27
	v_cmp_ne_u32_e32 vcc, 0, v26
	s_and_saveexec_b64 s[2:3], vcc
	s_cbranch_execz .LBB69_63
; %bb.60:
	v_lshl_add_u32 v31, v28, 2, 32
	v_mov_b32_e32 v27, 0
	s_mov_b64 s[8:9], 0
.LBB69_61:                              ; =>This Inner Loop Header: Depth=1
	v_cmp_eq_u32_e32 vcc, 1, v28
	v_cndmask_b32_e32 v32, v8, v9, vcc
	ds_read_b32 v33, v31
	v_add_u32_e32 v26, -1, v26
	v_cmp_eq_u32_e32 vcc, 2, v28
	v_cndmask_b32_e32 v32, v32, v10, vcc
	v_cmp_eq_u32_e32 vcc, 0, v26
	v_cmp_eq_u32_e64 s[0:1], 3, v28
	v_cndmask_b32_e64 v32, v32, v11, s[0:1]
	s_or_b64 s[8:9], vcc, s[8:9]
	v_cmp_eq_u32_e32 vcc, 4, v28
	v_cndmask_b32_e32 v32, v32, v12, vcc
	v_cmp_eq_u32_e32 vcc, 5, v28
	v_add_co_u32_e64 v28, s[0:1], 1, v28
	v_cndmask_b32_e32 v32, v32, v13, vcc
	v_add_u32_e32 v31, 4, v31
	v_addc_co_u32_e64 v27, s[0:1], 0, v27, s[0:1]
	s_waitcnt lgkmcnt(0)
	v_fmac_f32_e32 v30, v32, v33
	s_andn2_b64 exec, exec, s[8:9]
	s_cbranch_execnz .LBB69_61
; %bb.62:
	s_or_b64 exec, exec, s[8:9]
.LBB69_63:
	s_or_b64 exec, exec, s[2:3]
.LBB69_64:
	s_or_b64 exec, exec, s[6:7]
	v_mov_b32_e32 v8, 0
	ds_read_b32 v8, v8
	s_waitcnt lgkmcnt(0)
	v_mul_f32_e32 v8, v30, v8
.LBB69_65:
	s_or_b64 exec, exec, s[4:5]
	s_branch .LBB69_109
.LBB69_66:
	v_cmp_eq_u32_e64 s[2:3], 0, v0
	s_waitcnt vmcnt(5)
	ds_write_b32 v29, v3
	s_waitcnt lgkmcnt(0)
	; wave barrier
	s_waitcnt lgkmcnt(0)
	s_and_saveexec_b64 s[0:1], s[2:3]
	s_cbranch_execz .LBB69_72
; %bb.67:
	s_and_b64 vcc, exec, s[14:15]
	s_cbranch_vccz .LBB69_69
; %bb.68:
	v_cmp_eq_u32_e32 vcc, 1, v0
	s_waitcnt vmcnt(1)
	v_cndmask_b32_e32 v3, v2, v3, vcc
	v_cmp_eq_u32_e32 vcc, 2, v0
	ds_read_b32 v8, v29
	v_cndmask_b32_e32 v3, v3, v4, vcc
	v_cmp_eq_u32_e32 vcc, 3, v0
	v_cndmask_b32_e32 v3, v3, v5, vcc
	v_cmp_eq_u32_e32 vcc, 4, v0
	;; [unrolled: 2-line block ×3, first 2 shown]
	s_waitcnt vmcnt(0)
	v_cndmask_b32_e32 v3, v3, v7, vcc
	s_waitcnt lgkmcnt(0)
	v_mul_f32_e32 v3, v3, v8
	s_cbranch_execz .LBB69_70
	s_branch .LBB69_71
.LBB69_69:
                                        ; implicit-def: $vgpr3
.LBB69_70:
	ds_read_b32 v3, v29
.LBB69_71:
	v_mov_b32_e32 v8, 0
	ds_read_b32 v8, v8 offset:4
	s_waitcnt lgkmcnt(0)
	v_mul_f32_e32 v3, v3, v8
.LBB69_72:
	s_or_b64 exec, exec, s[0:1]
	v_cndmask_b32_e64 v9, 0, 1, s[14:15]
	v_add_u32_e32 v8, 1, v0
	v_cmp_gt_u32_e32 vcc, 2, v0
	v_cmp_ne_u32_e64 s[0:1], 1, v9
	s_waitcnt vmcnt(4)
	ds_write_b32 v29, v4
	s_waitcnt lgkmcnt(0)
	; wave barrier
	s_waitcnt lgkmcnt(0)
	s_and_saveexec_b64 s[4:5], vcc
	s_cbranch_execz .LBB69_80
; %bb.73:
	s_and_b64 vcc, exec, s[0:1]
	s_cbranch_vccnz .LBB69_75
; %bb.74:
	v_cmp_eq_u32_e32 vcc, 1, v0
	s_waitcnt vmcnt(1)
	v_cndmask_b32_e32 v9, v2, v3, vcc
	v_cmp_eq_u32_e32 vcc, 2, v0
	ds_read_b32 v10, v29
	v_cndmask_b32_e32 v9, v9, v4, vcc
	v_cmp_eq_u32_e32 vcc, 3, v0
	v_cndmask_b32_e32 v9, v9, v5, vcc
	v_cmp_eq_u32_e32 vcc, 4, v0
	;; [unrolled: 2-line block ×3, first 2 shown]
	s_waitcnt vmcnt(0)
	v_cndmask_b32_e32 v9, v9, v7, vcc
	s_waitcnt lgkmcnt(0)
	v_mul_f32_e32 v9, v9, v10
	s_cbranch_execz .LBB69_76
	s_branch .LBB69_77
.LBB69_75:
                                        ; implicit-def: $vgpr9
.LBB69_76:
	ds_read_b32 v9, v29
.LBB69_77:
	s_and_saveexec_b64 s[6:7], s[2:3]
	s_cbranch_execz .LBB69_79
; %bb.78:
	v_cmp_eq_u32_e32 vcc, 1, v8
	s_waitcnt vmcnt(1)
	v_cndmask_b32_e32 v10, v2, v3, vcc
	v_cmp_eq_u32_e32 vcc, 2, v8
	v_cndmask_b32_e32 v4, v10, v4, vcc
	ds_read_b32 v10, v29 offset:4
	v_cmp_eq_u32_e32 vcc, 3, v8
	v_cndmask_b32_e32 v4, v4, v5, vcc
	v_cmp_eq_u32_e32 vcc, 4, v8
	v_cndmask_b32_e32 v4, v4, v6, vcc
	v_cmp_eq_u32_e32 vcc, 5, v8
	s_waitcnt vmcnt(0)
	v_cndmask_b32_e32 v4, v4, v7, vcc
	s_waitcnt lgkmcnt(0)
	v_fmac_f32_e32 v9, v4, v10
.LBB69_79:
	s_or_b64 exec, exec, s[6:7]
	v_mov_b32_e32 v4, 0
	ds_read_b32 v4, v4 offset:8
	s_waitcnt lgkmcnt(0)
	v_mul_f32_e32 v4, v9, v4
.LBB69_80:
	s_or_b64 exec, exec, s[4:5]
	v_cmp_gt_u32_e32 vcc, 3, v0
	s_waitcnt vmcnt(3)
	ds_write_b32 v29, v5
	s_waitcnt lgkmcnt(0)
	; wave barrier
	s_waitcnt lgkmcnt(0)
	s_and_saveexec_b64 s[4:5], vcc
	s_cbranch_execz .LBB69_88
; %bb.81:
	s_and_b64 vcc, exec, s[0:1]
	s_cbranch_vccnz .LBB69_83
; %bb.82:
	v_cmp_eq_u32_e32 vcc, 1, v0
	s_waitcnt vmcnt(1)
	v_cndmask_b32_e32 v9, v2, v3, vcc
	v_cmp_eq_u32_e32 vcc, 2, v0
	ds_read_b32 v10, v29
	v_cndmask_b32_e32 v9, v9, v4, vcc
	v_cmp_eq_u32_e32 vcc, 3, v0
	v_cndmask_b32_e32 v9, v9, v5, vcc
	v_cmp_eq_u32_e32 vcc, 4, v0
	;; [unrolled: 2-line block ×3, first 2 shown]
	s_waitcnt vmcnt(0)
	v_cndmask_b32_e32 v9, v9, v7, vcc
	s_waitcnt lgkmcnt(0)
	v_mul_f32_e32 v9, v9, v10
	s_cbranch_execz .LBB69_84
	s_branch .LBB69_85
.LBB69_83:
                                        ; implicit-def: $vgpr9
.LBB69_84:
	ds_read_b32 v9, v29
.LBB69_85:
	v_cmp_ne_u32_e32 vcc, 2, v0
	s_and_saveexec_b64 s[6:7], vcc
	s_cbranch_execz .LBB69_87
; %bb.86:
	v_cmp_eq_u32_e32 vcc, 1, v8
	s_waitcnt vmcnt(1)
	v_cndmask_b32_e32 v10, v2, v3, vcc
	v_cmp_eq_u32_e32 vcc, 2, v8
	v_cndmask_b32_e32 v10, v10, v4, vcc
	v_cmp_eq_u32_e32 vcc, 3, v8
	v_cndmask_b32_e32 v5, v10, v5, vcc
	v_mov_b32_e32 v10, 0
	ds_read_b32 v11, v29 offset:4
	ds_read_b32 v10, v10 offset:40
	v_cmp_eq_u32_e32 vcc, 4, v8
	v_cndmask_b32_e32 v5, v5, v6, vcc
	v_cmp_eq_u32_e32 vcc, 5, v8
	s_waitcnt vmcnt(0)
	v_cndmask_b32_e32 v5, v5, v7, vcc
	s_waitcnt lgkmcnt(1)
	v_fmac_f32_e32 v9, v5, v11
	s_waitcnt lgkmcnt(0)
	v_fma_f32 v5, v4, v10, v9
	v_cndmask_b32_e64 v9, v9, v5, s[2:3]
.LBB69_87:
	s_or_b64 exec, exec, s[6:7]
	v_mov_b32_e32 v5, 0
	ds_read_b32 v5, v5 offset:12
	s_waitcnt lgkmcnt(0)
	v_mul_f32_e32 v5, v9, v5
.LBB69_88:
	s_or_b64 exec, exec, s[4:5]
	v_cmp_gt_u32_e64 s[2:3], 4, v0
	s_waitcnt vmcnt(2)
	ds_write_b32 v29, v6
	s_waitcnt lgkmcnt(0)
	; wave barrier
	s_waitcnt lgkmcnt(0)
	s_and_saveexec_b64 s[6:7], s[2:3]
	s_cbranch_execz .LBB69_98
; %bb.89:
	s_and_b64 vcc, exec, s[0:1]
	s_cbranch_vccnz .LBB69_91
; %bb.90:
	v_cmp_eq_u32_e32 vcc, 1, v0
	s_waitcnt vmcnt(1)
	v_cndmask_b32_e32 v8, v2, v3, vcc
	v_cmp_eq_u32_e32 vcc, 2, v0
	ds_read_b32 v9, v29
	v_cndmask_b32_e32 v8, v8, v4, vcc
	v_cmp_eq_u32_e32 vcc, 3, v0
	v_cndmask_b32_e32 v8, v8, v5, vcc
	v_cmp_eq_u32_e32 vcc, 4, v0
	;; [unrolled: 2-line block ×3, first 2 shown]
	s_waitcnt vmcnt(0)
	v_cndmask_b32_e32 v8, v8, v7, vcc
	s_waitcnt lgkmcnt(0)
	v_mul_f32_e32 v10, v8, v9
	s_cbranch_execz .LBB69_92
	s_branch .LBB69_93
.LBB69_91:
                                        ; implicit-def: $vgpr10
.LBB69_92:
	ds_read_b32 v10, v29
.LBB69_93:
	v_cmp_ne_u32_e32 vcc, 3, v0
	s_and_saveexec_b64 s[8:9], vcc
	s_cbranch_execz .LBB69_97
; %bb.94:
	v_lshl_add_u32 v11, v0, 2, 36
	s_mov_b64 s[10:11], 0
	v_pk_mov_b32 v[8:9], v[0:1], v[0:1] op_sel:[0,1]
.LBB69_95:                              ; =>This Inner Loop Header: Depth=1
	v_add_co_u32_e32 v8, vcc, 1, v8
	v_addc_co_u32_e32 v9, vcc, 0, v9, vcc
	v_cmp_eq_u32_e32 vcc, 1, v8
	ds_read_b32 v12, v11
	s_waitcnt vmcnt(1)
	v_cndmask_b32_e32 v13, v2, v3, vcc
	v_cmp_lt_u32_e32 vcc, 2, v8
	v_cmp_eq_u32_e64 s[4:5], 2, v8
	v_cndmask_b32_e64 v13, v13, v4, s[4:5]
	s_or_b64 s[10:11], vcc, s[10:11]
	v_cmp_eq_u32_e32 vcc, 3, v8
	v_cndmask_b32_e32 v13, v13, v5, vcc
	v_cmp_eq_u32_e32 vcc, 4, v8
	v_cndmask_b32_e32 v13, v13, v6, vcc
	v_cmp_eq_u32_e32 vcc, 5, v8
	s_waitcnt vmcnt(0)
	v_cndmask_b32_e32 v13, v13, v7, vcc
	v_add_u32_e32 v11, 4, v11
	s_waitcnt lgkmcnt(0)
	v_fmac_f32_e32 v10, v13, v12
	s_andn2_b64 exec, exec, s[10:11]
	s_cbranch_execnz .LBB69_95
; %bb.96:
	s_or_b64 exec, exec, s[10:11]
.LBB69_97:
	s_or_b64 exec, exec, s[8:9]
	v_mov_b32_e32 v6, 0
	ds_read_b32 v6, v6 offset:16
	s_waitcnt lgkmcnt(0)
	v_mul_f32_e32 v6, v10, v6
.LBB69_98:
	s_or_b64 exec, exec, s[6:7]
	v_cmp_ne_u32_e32 vcc, 5, v0
	s_waitcnt vmcnt(0)
	ds_write_b32 v29, v7
	s_waitcnt lgkmcnt(0)
	; wave barrier
	s_waitcnt lgkmcnt(0)
	s_and_saveexec_b64 s[4:5], vcc
	s_cbranch_execz .LBB69_108
; %bb.99:
	s_and_b64 vcc, exec, s[0:1]
	s_cbranch_vccnz .LBB69_101
; %bb.100:
	v_cmp_eq_u32_e32 vcc, 1, v0
	v_cndmask_b32_e32 v8, v2, v3, vcc
	v_cmp_eq_u32_e32 vcc, 2, v0
	ds_read_b32 v9, v29
	v_cndmask_b32_e32 v8, v8, v4, vcc
	v_cmp_eq_u32_e32 vcc, 3, v0
	v_cndmask_b32_e32 v8, v8, v5, vcc
	v_cmp_eq_u32_e32 vcc, 4, v0
	;; [unrolled: 2-line block ×3, first 2 shown]
	v_cndmask_b32_e32 v8, v8, v7, vcc
	s_waitcnt lgkmcnt(0)
	v_mul_f32_e32 v8, v8, v9
	s_cbranch_execz .LBB69_102
	s_branch .LBB69_103
.LBB69_101:
                                        ; implicit-def: $vgpr8
.LBB69_102:
	ds_read_b32 v8, v29
.LBB69_103:
	s_and_saveexec_b64 s[6:7], s[2:3]
	s_cbranch_execz .LBB69_107
; %bb.104:
	v_lshl_add_u32 v9, v0, 2, 36
	s_mov_b64 s[2:3], 0
.LBB69_105:                             ; =>This Inner Loop Header: Depth=1
	v_add_co_u32_e32 v0, vcc, 1, v0
	v_addc_co_u32_e32 v1, vcc, 0, v1, vcc
	v_cmp_eq_u32_e32 vcc, 1, v0
	ds_read_b32 v10, v9
	v_cndmask_b32_e32 v11, v2, v3, vcc
	v_cmp_lt_u32_e32 vcc, 3, v0
	v_cmp_eq_u32_e64 s[0:1], 2, v0
	v_cndmask_b32_e64 v11, v11, v4, s[0:1]
	s_or_b64 s[2:3], vcc, s[2:3]
	v_cmp_eq_u32_e32 vcc, 3, v0
	v_cndmask_b32_e32 v11, v11, v5, vcc
	v_cmp_eq_u32_e32 vcc, 4, v0
	v_cndmask_b32_e32 v11, v11, v6, vcc
	;; [unrolled: 2-line block ×3, first 2 shown]
	v_add_u32_e32 v9, 4, v9
	s_waitcnt lgkmcnt(0)
	v_fmac_f32_e32 v8, v11, v10
	s_andn2_b64 exec, exec, s[2:3]
	s_cbranch_execnz .LBB69_105
; %bb.106:
	s_or_b64 exec, exec, s[2:3]
.LBB69_107:
	s_or_b64 exec, exec, s[6:7]
	v_mov_b32_e32 v0, 0
	ds_read_b32 v0, v0 offset:20
	s_waitcnt lgkmcnt(0)
	v_mul_f32_e32 v7, v8, v0
.LBB69_108:
	s_or_b64 exec, exec, s[4:5]
	v_pk_mov_b32 v[12:13], v[6:7], v[6:7] op_sel:[0,1]
	v_pk_mov_b32 v[10:11], v[4:5], v[4:5] op_sel:[0,1]
	;; [unrolled: 1-line block ×3, first 2 shown]
.LBB69_109:
	global_store_dword v[14:15], v8, off
	global_store_dword v[16:17], v9, off
	;; [unrolled: 1-line block ×6, first 2 shown]
.LBB69_110:
	s_endpgm
	.section	.rodata,"a",@progbits
	.p2align	6, 0x0
	.amdhsa_kernel _ZN9rocsolver6v33100L18trti2_kernel_smallILi6EfPKPfEEv13rocblas_fill_17rocblas_diagonal_T1_iil
		.amdhsa_group_segment_fixed_size 56
		.amdhsa_private_segment_fixed_size 0
		.amdhsa_kernarg_size 32
		.amdhsa_user_sgpr_count 6
		.amdhsa_user_sgpr_private_segment_buffer 1
		.amdhsa_user_sgpr_dispatch_ptr 0
		.amdhsa_user_sgpr_queue_ptr 0
		.amdhsa_user_sgpr_kernarg_segment_ptr 1
		.amdhsa_user_sgpr_dispatch_id 0
		.amdhsa_user_sgpr_flat_scratch_init 0
		.amdhsa_user_sgpr_kernarg_preload_length 0
		.amdhsa_user_sgpr_kernarg_preload_offset 0
		.amdhsa_user_sgpr_private_segment_size 0
		.amdhsa_uses_dynamic_stack 0
		.amdhsa_system_sgpr_private_segment_wavefront_offset 0
		.amdhsa_system_sgpr_workgroup_id_x 1
		.amdhsa_system_sgpr_workgroup_id_y 0
		.amdhsa_system_sgpr_workgroup_id_z 0
		.amdhsa_system_sgpr_workgroup_info 0
		.amdhsa_system_vgpr_workitem_id 0
		.amdhsa_next_free_vgpr 40
		.amdhsa_next_free_sgpr 18
		.amdhsa_accum_offset 40
		.amdhsa_reserve_vcc 1
		.amdhsa_reserve_flat_scratch 0
		.amdhsa_float_round_mode_32 0
		.amdhsa_float_round_mode_16_64 0
		.amdhsa_float_denorm_mode_32 3
		.amdhsa_float_denorm_mode_16_64 3
		.amdhsa_dx10_clamp 1
		.amdhsa_ieee_mode 1
		.amdhsa_fp16_overflow 0
		.amdhsa_tg_split 0
		.amdhsa_exception_fp_ieee_invalid_op 0
		.amdhsa_exception_fp_denorm_src 0
		.amdhsa_exception_fp_ieee_div_zero 0
		.amdhsa_exception_fp_ieee_overflow 0
		.amdhsa_exception_fp_ieee_underflow 0
		.amdhsa_exception_fp_ieee_inexact 0
		.amdhsa_exception_int_div_zero 0
	.end_amdhsa_kernel
	.section	.text._ZN9rocsolver6v33100L18trti2_kernel_smallILi6EfPKPfEEv13rocblas_fill_17rocblas_diagonal_T1_iil,"axG",@progbits,_ZN9rocsolver6v33100L18trti2_kernel_smallILi6EfPKPfEEv13rocblas_fill_17rocblas_diagonal_T1_iil,comdat
.Lfunc_end69:
	.size	_ZN9rocsolver6v33100L18trti2_kernel_smallILi6EfPKPfEEv13rocblas_fill_17rocblas_diagonal_T1_iil, .Lfunc_end69-_ZN9rocsolver6v33100L18trti2_kernel_smallILi6EfPKPfEEv13rocblas_fill_17rocblas_diagonal_T1_iil
                                        ; -- End function
	.section	.AMDGPU.csdata,"",@progbits
; Kernel info:
; codeLenInByte = 5060
; NumSgprs: 22
; NumVgprs: 40
; NumAgprs: 0
; TotalNumVgprs: 40
; ScratchSize: 0
; MemoryBound: 0
; FloatMode: 240
; IeeeMode: 1
; LDSByteSize: 56 bytes/workgroup (compile time only)
; SGPRBlocks: 2
; VGPRBlocks: 4
; NumSGPRsForWavesPerEU: 22
; NumVGPRsForWavesPerEU: 40
; AccumOffset: 40
; Occupancy: 8
; WaveLimiterHint : 1
; COMPUTE_PGM_RSRC2:SCRATCH_EN: 0
; COMPUTE_PGM_RSRC2:USER_SGPR: 6
; COMPUTE_PGM_RSRC2:TRAP_HANDLER: 0
; COMPUTE_PGM_RSRC2:TGID_X_EN: 1
; COMPUTE_PGM_RSRC2:TGID_Y_EN: 0
; COMPUTE_PGM_RSRC2:TGID_Z_EN: 0
; COMPUTE_PGM_RSRC2:TIDIG_COMP_CNT: 0
; COMPUTE_PGM_RSRC3_GFX90A:ACCUM_OFFSET: 9
; COMPUTE_PGM_RSRC3_GFX90A:TG_SPLIT: 0
	.section	.text._ZN9rocsolver6v33100L18trti2_kernel_smallILi7EfPKPfEEv13rocblas_fill_17rocblas_diagonal_T1_iil,"axG",@progbits,_ZN9rocsolver6v33100L18trti2_kernel_smallILi7EfPKPfEEv13rocblas_fill_17rocblas_diagonal_T1_iil,comdat
	.globl	_ZN9rocsolver6v33100L18trti2_kernel_smallILi7EfPKPfEEv13rocblas_fill_17rocblas_diagonal_T1_iil ; -- Begin function _ZN9rocsolver6v33100L18trti2_kernel_smallILi7EfPKPfEEv13rocblas_fill_17rocblas_diagonal_T1_iil
	.p2align	8
	.type	_ZN9rocsolver6v33100L18trti2_kernel_smallILi7EfPKPfEEv13rocblas_fill_17rocblas_diagonal_T1_iil,@function
_ZN9rocsolver6v33100L18trti2_kernel_smallILi7EfPKPfEEv13rocblas_fill_17rocblas_diagonal_T1_iil: ; @_ZN9rocsolver6v33100L18trti2_kernel_smallILi7EfPKPfEEv13rocblas_fill_17rocblas_diagonal_T1_iil
; %bb.0:
	v_cmp_gt_u32_e32 vcc, 7, v0
	s_and_saveexec_b64 s[0:1], vcc
	s_cbranch_execz .LBB70_136
; %bb.1:
	s_load_dwordx2 s[0:1], s[4:5], 0x10
	s_load_dwordx4 s[16:19], s[4:5], 0x0
	s_ashr_i32 s7, s6, 31
	s_lshl_b64 s[2:3], s[6:7], 3
	v_lshlrev_b32_e32 v9, 2, v0
	s_waitcnt lgkmcnt(0)
	s_ashr_i32 s5, s0, 31
	s_add_u32 s2, s18, s2
	s_addc_u32 s3, s19, s3
	s_load_dwordx2 s[2:3], s[2:3], 0x0
	s_mov_b32 s4, s0
	s_lshl_b64 s[4:5], s[4:5], 2
	s_waitcnt lgkmcnt(0)
	s_add_u32 s2, s2, s4
	s_addc_u32 s3, s3, s5
	v_mov_b32_e32 v1, s3
	v_add_co_u32_e32 v18, vcc, s2, v9
	s_ashr_i32 s5, s1, 31
	s_mov_b32 s4, s1
	s_add_i32 s0, s1, s1
	v_addc_co_u32_e32 v19, vcc, 0, v1, vcc
	s_lshl_b64 s[4:5], s[4:5], 2
	v_add_u32_e32 v2, s0, v0
	v_mov_b32_e32 v1, s5
	v_add_co_u32_e32 v20, vcc, s4, v18
	v_ashrrev_i32_e32 v3, 31, v2
	v_addc_co_u32_e32 v21, vcc, v19, v1, vcc
	v_lshlrev_b64 v[4:5], 2, v[2:3]
	v_add_u32_e32 v2, s1, v2
	v_mov_b32_e32 v1, s3
	v_add_co_u32_e32 v22, vcc, s2, v4
	v_ashrrev_i32_e32 v3, 31, v2
	v_addc_co_u32_e32 v23, vcc, v1, v5, vcc
	v_lshlrev_b64 v[4:5], 2, v[2:3]
	v_add_u32_e32 v2, s1, v2
	v_add_co_u32_e32 v24, vcc, s2, v4
	v_ashrrev_i32_e32 v3, 31, v2
	v_addc_co_u32_e32 v25, vcc, v1, v5, vcc
	v_lshlrev_b64 v[4:5], 2, v[2:3]
	v_add_u32_e32 v2, s1, v2
	v_add_co_u32_e32 v26, vcc, s2, v4
	v_ashrrev_i32_e32 v3, 31, v2
	v_addc_co_u32_e32 v27, vcc, v1, v5, vcc
	v_lshlrev_b64 v[4:5], 2, v[2:3]
	v_add_co_u32_e32 v28, vcc, s2, v4
	v_add_u32_e32 v10, s1, v2
	v_addc_co_u32_e32 v29, vcc, v1, v5, vcc
	global_load_dword v3, v[20:21], off
	global_load_dword v4, v[22:23], off
	;; [unrolled: 1-line block ×5, first 2 shown]
	v_ashrrev_i32_e32 v11, 31, v10
	v_lshlrev_b64 v[10:11], 2, v[10:11]
	v_add_co_u32_e32 v30, vcc, s2, v10
	v_addc_co_u32_e32 v31, vcc, v1, v11, vcc
	global_load_dword v2, v9, s[2:3]
	global_load_dword v8, v[30:31], off
	s_cmpk_lg_i32 s17, 0x84
	v_mov_b32_e32 v1, 0
	s_cselect_b64 s[14:15], -1, 0
	s_cmpk_eq_i32 s17, 0x84
	v_mov_b32_e32 v10, -1.0
	v_cmp_eq_u32_e64 s[0:1], 0, v0
	s_cbranch_scc1 .LBB70_3
; %bb.2:
	v_cmp_eq_u32_e64 s[2:3], 1, v0
	s_waitcnt vmcnt(1)
	v_cndmask_b32_e64 v10, v2, v3, s[2:3]
	v_cmp_eq_u32_e64 s[4:5], 2, v0
	v_cndmask_b32_e64 v10, v10, v4, s[4:5]
	v_cmp_eq_u32_e64 s[6:7], 3, v0
	;; [unrolled: 2-line block ×5, first 2 shown]
	s_waitcnt vmcnt(0)
	v_cndmask_b32_e64 v10, v10, v8, s[12:13]
	v_div_scale_f32 v11, s[18:19], v10, v10, 1.0
	v_rcp_f32_e32 v12, v11
	v_fma_f32 v13, -v11, v12, 1.0
	v_fmac_f32_e32 v12, v13, v12
	v_div_scale_f32 v13, vcc, 1.0, v10, 1.0
	v_mul_f32_e32 v14, v13, v12
	v_fma_f32 v15, -v11, v14, v13
	v_fmac_f32_e32 v14, v15, v12
	v_fma_f32 v11, -v11, v14, v13
	v_div_fmas_f32 v11, v11, v12, v14
	v_div_fixup_f32 v10, v11, v10, 1.0
	v_cndmask_b32_e64 v8, v8, v10, s[12:13]
	v_cndmask_b32_e64 v7, v7, v10, s[10:11]
	v_cndmask_b32_e64 v6, v6, v10, s[8:9]
	v_cndmask_b32_e64 v5, v5, v10, s[6:7]
	v_cndmask_b32_e64 v4, v4, v10, s[4:5]
	v_cndmask_b32_e64 v3, v3, v10, s[2:3]
	v_cndmask_b32_e64 v2, v2, v10, s[0:1]
	v_xor_b32_e32 v10, 0x80000000, v10
.LBB70_3:
	s_cmpk_eq_i32 s16, 0x79
	v_add_u32_e32 v17, 32, v9
	ds_write_b32 v9, v10
	s_cbranch_scc1 .LBB70_7
; %bb.4:
	s_waitcnt vmcnt(0)
	v_mov_b32_e32 v16, v8
	v_cmp_eq_u32_e64 s[2:3], 6, v0
	v_mov_b32_e32 v15, v7
	v_mov_b32_e32 v14, v6
	;; [unrolled: 1-line block ×6, first 2 shown]
	ds_write_b32 v17, v7
	s_waitcnt lgkmcnt(0)
	; wave barrier
	s_waitcnt lgkmcnt(0)
	s_and_saveexec_b64 s[0:1], s[2:3]
	s_cbranch_execz .LBB70_11
; %bb.5:
	s_and_b64 vcc, exec, s[14:15]
	s_cbranch_vccz .LBB70_8
; %bb.6:
	v_cmp_eq_u32_e32 vcc, 1, v0
	v_cndmask_b32_e32 v9, v2, v3, vcc
	v_cmp_eq_u32_e32 vcc, 2, v0
	v_cndmask_b32_e32 v9, v9, v4, vcc
	v_cmp_eq_u32_e32 vcc, 3, v0
	ds_read_b32 v10, v17
	v_cndmask_b32_e32 v9, v9, v5, vcc
	v_cmp_eq_u32_e32 vcc, 4, v0
	v_cndmask_b32_e32 v9, v9, v6, vcc
	v_cmp_eq_u32_e32 vcc, 5, v0
	;; [unrolled: 2-line block ×3, first 2 shown]
	v_cndmask_b32_e32 v9, v9, v8, vcc
	s_waitcnt lgkmcnt(0)
	v_mul_f32_e32 v9, v9, v10
	s_cbranch_execz .LBB70_9
	s_branch .LBB70_10
.LBB70_7:
                                        ; implicit-def: $vgpr10_vgpr11_vgpr12_vgpr13_vgpr14_vgpr15_vgpr16
	s_cbranch_execnz .LBB70_82
	s_branch .LBB70_135
.LBB70_8:
                                        ; implicit-def: $vgpr9
.LBB70_9:
	ds_read_b32 v9, v17
.LBB70_10:
	v_mov_b32_e32 v10, 0
	ds_read_b32 v10, v10 offset:20
	s_waitcnt lgkmcnt(0)
	v_mul_f32_e32 v9, v9, v10
	v_mov_b32_e32 v16, v8
	v_mov_b32_e32 v15, v7
	;; [unrolled: 1-line block ×8, first 2 shown]
.LBB70_11:
	s_or_b64 exec, exec, s[0:1]
	v_cmp_lt_u32_e64 s[0:1], 4, v0
	ds_write_b32 v17, v14
	s_waitcnt lgkmcnt(0)
	; wave barrier
	s_waitcnt lgkmcnt(0)
	s_and_saveexec_b64 s[4:5], s[0:1]
	s_cbranch_execz .LBB70_17
; %bb.12:
	s_andn2_b64 vcc, exec, s[14:15]
	s_cbranch_vccnz .LBB70_14
; %bb.13:
	v_cmp_eq_u32_e32 vcc, 1, v0
	v_cndmask_b32_e32 v9, v10, v11, vcc
	v_cmp_eq_u32_e32 vcc, 2, v0
	v_cndmask_b32_e32 v9, v9, v12, vcc
	;; [unrolled: 2-line block ×4, first 2 shown]
	ds_read_b32 v14, v17
	v_cmp_eq_u32_e32 vcc, 5, v0
	v_cndmask_b32_e32 v9, v9, v15, vcc
	v_cmp_eq_u32_e32 vcc, 6, v0
	v_cndmask_b32_e32 v9, v9, v16, vcc
	s_waitcnt lgkmcnt(0)
	v_mul_f32_e32 v9, v9, v14
	s_cbranch_execz .LBB70_15
	s_branch .LBB70_16
.LBB70_14:
                                        ; implicit-def: $vgpr9
.LBB70_15:
	ds_read_b32 v9, v17
.LBB70_16:
	v_mov_b32_e32 v14, 0
	ds_read2_b32 v[32:33], v14 offset0:4 offset1:13
	s_waitcnt lgkmcnt(0)
	v_fma_f32 v14, v15, v33, v9
	v_cndmask_b32_e64 v9, v9, v14, s[2:3]
	v_mul_f32_e32 v14, v9, v32
.LBB70_17:
	s_or_b64 exec, exec, s[4:5]
	v_cmp_lt_u32_e64 s[2:3], 3, v0
	ds_write_b32 v17, v13
	s_waitcnt lgkmcnt(0)
	; wave barrier
	s_waitcnt lgkmcnt(0)
	s_and_saveexec_b64 s[4:5], s[2:3]
	s_cbranch_execz .LBB70_33
; %bb.18:
	s_andn2_b64 vcc, exec, s[14:15]
	s_cbranch_vccnz .LBB70_20
; %bb.19:
	v_cmp_eq_u32_e32 vcc, 1, v0
	v_cndmask_b32_e32 v9, v10, v11, vcc
	v_cmp_eq_u32_e32 vcc, 2, v0
	v_cndmask_b32_e32 v9, v9, v12, vcc
	v_cmp_eq_u32_e32 vcc, 3, v0
	ds_read_b32 v32, v17
	v_cndmask_b32_e32 v9, v9, v13, vcc
	v_cmp_eq_u32_e32 vcc, 4, v0
	v_cndmask_b32_e32 v9, v9, v14, vcc
	v_cmp_eq_u32_e32 vcc, 5, v0
	;; [unrolled: 2-line block ×3, first 2 shown]
	v_cndmask_b32_e32 v9, v9, v16, vcc
	s_waitcnt lgkmcnt(0)
	v_mul_f32_e32 v33, v9, v32
	s_cbranch_execz .LBB70_21
	s_branch .LBB70_22
.LBB70_20:
                                        ; implicit-def: $vgpr33
.LBB70_21:
	ds_read_b32 v33, v17
.LBB70_22:
	s_and_saveexec_b64 s[6:7], s[0:1]
	s_cbranch_execz .LBB70_32
; %bb.23:
	v_add_u32_e32 v32, -5, v0
	v_add_u32_e32 v9, -4, v0
	v_cmp_lt_u32_e32 vcc, 6, v32
	v_mov_b32_e32 v34, 4
	s_and_saveexec_b64 s[0:1], vcc
	s_cbranch_execz .LBB70_27
; %bb.24:
	v_and_b32_e32 v32, -8, v9
	v_sub_u32_e32 v32, 0, v32
	s_mov_b64 s[8:9], 5
	s_mov_b32 s12, 48
	s_mov_b64 s[10:11], 0
.LBB70_25:                              ; =>This Inner Loop Header: Depth=1
	s_add_i32 s13, s8, -1
	s_cmp_eq_u32 s13, 1
	s_cselect_b64 vcc, -1, 0
	s_cmp_eq_u32 s13, 2
	v_cndmask_b32_e32 v42, v10, v11, vcc
	s_cselect_b64 vcc, -1, 0
	s_cmp_eq_u32 s13, 3
	v_mov_b32_e32 v38, s12
	v_cndmask_b32_e32 v42, v42, v12, vcc
	s_cselect_b64 vcc, -1, 0
	s_cmp_eq_u32 s13, 4
	ds_read_b128 v[34:37], v38
	ds_read_b128 v[38:41], v38 offset:16
	v_cndmask_b32_e32 v42, v42, v13, vcc
	s_cselect_b64 vcc, -1, 0
	s_cmp_eq_u32 s13, 5
	v_cndmask_b32_e32 v42, v42, v14, vcc
	s_cselect_b64 vcc, -1, 0
	s_cmp_eq_u32 s13, 6
	;; [unrolled: 3-line block ×4, first 2 shown]
	s_waitcnt lgkmcnt(1)
	v_fmac_f32_e32 v33, v42, v34
	v_cndmask_b32_e32 v34, v10, v11, vcc
	s_cselect_b64 vcc, -1, 0
	s_cmp_eq_u32 s8, 3
	v_cndmask_b32_e32 v34, v34, v12, vcc
	s_cselect_b64 vcc, -1, 0
	s_cmp_eq_u32 s8, 4
	v_cndmask_b32_e32 v34, v34, v13, vcc
	s_cselect_b64 vcc, -1, 0
	s_cmp_eq_u32 s8, 5
	v_cndmask_b32_e32 v34, v34, v14, vcc
	s_cselect_b64 vcc, -1, 0
	s_cmp_eq_u32 s8, 6
	v_cndmask_b32_e32 v34, v34, v15, vcc
	s_cselect_b64 vcc, -1, 0
	s_add_i32 s13, s8, 1
	s_cmp_eq_u32 s13, 1
	v_cndmask_b32_e32 v34, v34, v16, vcc
	s_cselect_b64 vcc, -1, 0
	s_cmp_eq_u32 s13, 2
	v_fmac_f32_e32 v33, v34, v35
	v_cndmask_b32_e32 v34, v10, v11, vcc
	s_cselect_b64 vcc, -1, 0
	s_cmp_eq_u32 s13, 3
	v_cndmask_b32_e32 v34, v34, v12, vcc
	s_cselect_b64 vcc, -1, 0
	s_cmp_eq_u32 s13, 4
	v_cndmask_b32_e32 v34, v34, v13, vcc
	s_cselect_b64 vcc, -1, 0
	s_cmp_eq_u32 s13, 5
	v_cndmask_b32_e32 v34, v34, v14, vcc
	s_cselect_b64 vcc, -1, 0
	s_cmp_eq_u32 s13, 6
	v_cndmask_b32_e32 v34, v34, v15, vcc
	s_cselect_b64 vcc, -1, 0
	s_add_i32 s13, s8, 2
	s_cmp_eq_u32 s13, 1
	v_cndmask_b32_e32 v34, v34, v16, vcc
	s_cselect_b64 vcc, -1, 0
	s_cmp_eq_u32 s13, 2
	;; [unrolled: 20-line block ×4, first 2 shown]
	s_waitcnt lgkmcnt(0)
	v_fmac_f32_e32 v33, v34, v38
	v_cndmask_b32_e32 v34, v10, v11, vcc
	s_cselect_b64 vcc, -1, 0
	s_cmp_eq_u32 s13, 3
	v_cndmask_b32_e32 v34, v34, v12, vcc
	s_cselect_b64 vcc, -1, 0
	s_cmp_eq_u32 s13, 4
	;; [unrolled: 3-line block ×4, first 2 shown]
	v_cndmask_b32_e32 v34, v34, v15, vcc
	s_cselect_b64 vcc, -1, 0
	s_add_i32 s13, s8, 5
	s_cmp_eq_u32 s13, 1
	v_cndmask_b32_e32 v34, v34, v16, vcc
	s_cselect_b64 vcc, -1, 0
	s_cmp_eq_u32 s13, 2
	v_fmac_f32_e32 v33, v34, v39
	v_cndmask_b32_e32 v34, v10, v11, vcc
	s_cselect_b64 vcc, -1, 0
	s_cmp_eq_u32 s13, 3
	v_cndmask_b32_e32 v34, v34, v12, vcc
	s_cselect_b64 vcc, -1, 0
	s_cmp_eq_u32 s13, 4
	;; [unrolled: 3-line block ×4, first 2 shown]
	v_cndmask_b32_e32 v34, v34, v15, vcc
	s_cselect_b64 vcc, -1, 0
	s_add_i32 s13, s8, 6
	s_cmp_eq_u32 s13, 1
	v_cndmask_b32_e32 v34, v34, v16, vcc
	s_cselect_b64 vcc, -1, 0
	s_cmp_eq_u32 s13, 2
	v_fmac_f32_e32 v33, v34, v40
	v_cndmask_b32_e32 v34, v10, v11, vcc
	s_cselect_b64 vcc, -1, 0
	s_cmp_eq_u32 s13, 3
	v_cndmask_b32_e32 v34, v34, v12, vcc
	s_cselect_b64 vcc, -1, 0
	s_cmp_eq_u32 s13, 4
	;; [unrolled: 3-line block ×4, first 2 shown]
	v_cndmask_b32_e32 v34, v34, v15, vcc
	s_cselect_b64 vcc, -1, 0
	v_cndmask_b32_e32 v34, v34, v16, vcc
	s_add_u32 s8, s8, 8
	v_fmac_f32_e32 v33, v34, v41
	v_add_u32_e32 v34, s8, v32
	s_addc_u32 s9, s9, 0
	s_add_i32 s12, s12, 32
	s_add_i32 s13, s8, -1
	v_cmp_eq_u32_e32 vcc, 5, v34
	s_or_b64 s[10:11], vcc, s[10:11]
	v_mov_b32_e32 v34, s13
	s_andn2_b64 exec, exec, s[10:11]
	s_cbranch_execnz .LBB70_25
; %bb.26:
	s_or_b64 exec, exec, s[10:11]
.LBB70_27:
	s_or_b64 exec, exec, s[0:1]
	v_and_b32_e32 v32, 7, v9
	v_cmp_ne_u32_e32 vcc, 0, v32
	s_and_saveexec_b64 s[8:9], vcc
	s_cbranch_execz .LBB70_31
; %bb.28:
	v_lshl_add_u32 v35, v34, 2, 32
	v_mov_b32_e32 v9, 0
	s_mov_b64 s[10:11], 0
.LBB70_29:                              ; =>This Inner Loop Header: Depth=1
	v_cmp_eq_u32_e32 vcc, 1, v34
	v_cndmask_b32_e32 v36, v10, v11, vcc
	v_add_u32_e32 v32, -1, v32
	v_cmp_eq_u32_e32 vcc, 2, v34
	ds_read_b32 v37, v35
	v_cndmask_b32_e32 v36, v36, v12, vcc
	v_cmp_eq_u32_e32 vcc, 0, v32
	v_cmp_eq_u32_e64 s[0:1], 3, v34
	v_cndmask_b32_e64 v36, v36, v13, s[0:1]
	s_or_b64 s[10:11], vcc, s[10:11]
	v_cmp_eq_u32_e32 vcc, 4, v34
	v_cndmask_b32_e32 v36, v36, v14, vcc
	v_cmp_eq_u32_e32 vcc, 5, v34
	v_cndmask_b32_e32 v36, v36, v15, vcc
	v_cmp_eq_u32_e32 vcc, 6, v34
	v_add_co_u32_e64 v34, s[0:1], 1, v34
	v_cndmask_b32_e32 v36, v36, v16, vcc
	v_add_u32_e32 v35, 4, v35
	v_addc_co_u32_e64 v9, s[0:1], 0, v9, s[0:1]
	s_waitcnt lgkmcnt(0)
	v_fmac_f32_e32 v33, v36, v37
	s_andn2_b64 exec, exec, s[10:11]
	s_cbranch_execnz .LBB70_29
; %bb.30:
	s_or_b64 exec, exec, s[10:11]
.LBB70_31:
	s_or_b64 exec, exec, s[8:9]
.LBB70_32:
	s_or_b64 exec, exec, s[6:7]
	v_mov_b32_e32 v9, 0
	ds_read_b32 v9, v9 offset:12
	s_waitcnt lgkmcnt(0)
	v_mul_f32_e32 v13, v33, v9
.LBB70_33:
	s_or_b64 exec, exec, s[4:5]
	v_cmp_lt_u32_e64 s[0:1], 2, v0
	ds_write_b32 v17, v12
	s_waitcnt lgkmcnt(0)
	; wave barrier
	s_waitcnt lgkmcnt(0)
	s_and_saveexec_b64 s[4:5], s[0:1]
	s_cbranch_execz .LBB70_49
; %bb.34:
	s_andn2_b64 vcc, exec, s[14:15]
	s_cbranch_vccnz .LBB70_36
; %bb.35:
	v_cmp_eq_u32_e32 vcc, 1, v0
	v_cndmask_b32_e32 v9, v10, v11, vcc
	v_cmp_eq_u32_e32 vcc, 2, v0
	v_cndmask_b32_e32 v9, v9, v12, vcc
	v_cmp_eq_u32_e32 vcc, 3, v0
	ds_read_b32 v32, v17
	v_cndmask_b32_e32 v9, v9, v13, vcc
	v_cmp_eq_u32_e32 vcc, 4, v0
	v_cndmask_b32_e32 v9, v9, v14, vcc
	v_cmp_eq_u32_e32 vcc, 5, v0
	;; [unrolled: 2-line block ×3, first 2 shown]
	v_cndmask_b32_e32 v9, v9, v16, vcc
	s_waitcnt lgkmcnt(0)
	v_mul_f32_e32 v33, v9, v32
	s_cbranch_execz .LBB70_37
	s_branch .LBB70_38
.LBB70_36:
                                        ; implicit-def: $vgpr33
.LBB70_37:
	ds_read_b32 v33, v17
.LBB70_38:
	s_and_saveexec_b64 s[6:7], s[2:3]
	s_cbranch_execz .LBB70_48
; %bb.39:
	v_add_u32_e32 v32, -4, v0
	v_add_u32_e32 v9, -3, v0
	v_cmp_lt_u32_e32 vcc, 6, v32
	v_mov_b32_e32 v34, 3
	s_and_saveexec_b64 s[2:3], vcc
	s_cbranch_execz .LBB70_43
; %bb.40:
	v_and_b32_e32 v32, -8, v9
	v_sub_u32_e32 v32, 0, v32
	s_mov_b64 s[8:9], 10
	s_mov_b32 s12, 44
	s_mov_b64 s[10:11], 0
.LBB70_41:                              ; =>This Inner Loop Header: Depth=1
	s_add_i32 s13, s8, -7
	s_cmp_eq_u32 s13, 1
	s_cselect_b64 vcc, -1, 0
	s_cmp_eq_u32 s13, 2
	v_cndmask_b32_e32 v42, v10, v11, vcc
	s_cselect_b64 vcc, -1, 0
	s_cmp_eq_u32 s13, 3
	v_cndmask_b32_e32 v42, v42, v12, vcc
	;; [unrolled: 3-line block ×4, first 2 shown]
	s_cselect_b64 vcc, -1, 0
	s_cmp_eq_u32 s13, 6
	v_mov_b32_e32 v40, s12
	v_cndmask_b32_e32 v42, v42, v15, vcc
	s_cselect_b64 vcc, -1, 0
	s_add_i32 s13, s8, -6
	ds_read2_b32 v[34:35], v40 offset1:1
	ds_read2_b32 v[36:37], v40 offset0:2 offset1:3
	ds_read2_b32 v[38:39], v40 offset0:4 offset1:5
	;; [unrolled: 1-line block ×3, first 2 shown]
	s_cmp_eq_u32 s13, 1
	v_cndmask_b32_e32 v42, v42, v16, vcc
	s_cselect_b64 vcc, -1, 0
	s_cmp_eq_u32 s13, 2
	s_waitcnt lgkmcnt(3)
	v_fmac_f32_e32 v33, v42, v34
	v_cndmask_b32_e32 v34, v10, v11, vcc
	s_cselect_b64 vcc, -1, 0
	s_cmp_eq_u32 s13, 3
	v_cndmask_b32_e32 v34, v34, v12, vcc
	s_cselect_b64 vcc, -1, 0
	s_cmp_eq_u32 s13, 4
	v_cndmask_b32_e32 v34, v34, v13, vcc
	s_cselect_b64 vcc, -1, 0
	s_cmp_eq_u32 s13, 5
	v_cndmask_b32_e32 v34, v34, v14, vcc
	s_cselect_b64 vcc, -1, 0
	s_cmp_eq_u32 s13, 6
	v_cndmask_b32_e32 v34, v34, v15, vcc
	s_cselect_b64 vcc, -1, 0
	s_add_i32 s13, s8, -5
	s_cmp_eq_u32 s13, 1
	v_cndmask_b32_e32 v34, v34, v16, vcc
	s_cselect_b64 vcc, -1, 0
	s_cmp_eq_u32 s13, 2
	v_fmac_f32_e32 v33, v34, v35
	v_cndmask_b32_e32 v34, v10, v11, vcc
	s_cselect_b64 vcc, -1, 0
	s_cmp_eq_u32 s13, 3
	v_cndmask_b32_e32 v34, v34, v12, vcc
	s_cselect_b64 vcc, -1, 0
	s_cmp_eq_u32 s13, 4
	;; [unrolled: 3-line block ×4, first 2 shown]
	v_cndmask_b32_e32 v34, v34, v15, vcc
	s_cselect_b64 vcc, -1, 0
	s_add_i32 s13, s8, -4
	s_cmp_eq_u32 s13, 1
	v_cndmask_b32_e32 v34, v34, v16, vcc
	s_cselect_b64 vcc, -1, 0
	s_cmp_eq_u32 s13, 2
	s_waitcnt lgkmcnt(2)
	v_fmac_f32_e32 v33, v34, v36
	v_cndmask_b32_e32 v34, v10, v11, vcc
	s_cselect_b64 vcc, -1, 0
	s_cmp_eq_u32 s13, 3
	v_cndmask_b32_e32 v34, v34, v12, vcc
	s_cselect_b64 vcc, -1, 0
	s_cmp_eq_u32 s13, 4
	;; [unrolled: 3-line block ×4, first 2 shown]
	v_cndmask_b32_e32 v34, v34, v15, vcc
	s_cselect_b64 vcc, -1, 0
	s_add_i32 s13, s8, -3
	s_cmp_eq_u32 s13, 1
	v_cndmask_b32_e32 v34, v34, v16, vcc
	s_cselect_b64 vcc, -1, 0
	s_cmp_eq_u32 s13, 2
	v_fmac_f32_e32 v33, v34, v37
	v_cndmask_b32_e32 v34, v10, v11, vcc
	s_cselect_b64 vcc, -1, 0
	s_cmp_eq_u32 s13, 3
	v_cndmask_b32_e32 v34, v34, v12, vcc
	s_cselect_b64 vcc, -1, 0
	s_cmp_eq_u32 s13, 4
	;; [unrolled: 3-line block ×4, first 2 shown]
	v_cndmask_b32_e32 v34, v34, v15, vcc
	s_cselect_b64 vcc, -1, 0
	s_add_i32 s13, s8, -2
	s_cmp_eq_u32 s13, 1
	v_cndmask_b32_e32 v34, v34, v16, vcc
	s_cselect_b64 vcc, -1, 0
	s_cmp_eq_u32 s13, 2
	s_waitcnt lgkmcnt(1)
	v_fmac_f32_e32 v33, v34, v38
	v_cndmask_b32_e32 v34, v10, v11, vcc
	s_cselect_b64 vcc, -1, 0
	s_cmp_eq_u32 s13, 3
	v_cndmask_b32_e32 v34, v34, v12, vcc
	s_cselect_b64 vcc, -1, 0
	s_cmp_eq_u32 s13, 4
	;; [unrolled: 3-line block ×4, first 2 shown]
	v_cndmask_b32_e32 v34, v34, v15, vcc
	s_cselect_b64 vcc, -1, 0
	s_add_i32 s13, s8, -1
	s_cmp_eq_u32 s13, 1
	v_cndmask_b32_e32 v34, v34, v16, vcc
	s_cselect_b64 vcc, -1, 0
	s_cmp_eq_u32 s13, 2
	v_fmac_f32_e32 v33, v34, v39
	v_cndmask_b32_e32 v34, v10, v11, vcc
	s_cselect_b64 vcc, -1, 0
	s_cmp_eq_u32 s13, 3
	v_cndmask_b32_e32 v34, v34, v12, vcc
	s_cselect_b64 vcc, -1, 0
	s_cmp_eq_u32 s13, 4
	;; [unrolled: 3-line block ×6, first 2 shown]
	s_waitcnt lgkmcnt(0)
	v_fmac_f32_e32 v33, v34, v40
	v_cndmask_b32_e32 v34, v10, v11, vcc
	s_cselect_b64 vcc, -1, 0
	s_cmp_eq_u32 s8, 3
	v_cndmask_b32_e32 v34, v34, v12, vcc
	s_cselect_b64 vcc, -1, 0
	s_cmp_eq_u32 s8, 4
	;; [unrolled: 3-line block ×4, first 2 shown]
	v_cndmask_b32_e32 v34, v34, v15, vcc
	s_cselect_b64 vcc, -1, 0
	v_cndmask_b32_e32 v34, v34, v16, vcc
	s_add_u32 s8, s8, 8
	v_fmac_f32_e32 v33, v34, v41
	v_add_u32_e32 v34, s8, v32
	s_addc_u32 s9, s9, 0
	s_add_i32 s12, s12, 32
	s_add_i32 s13, s8, -7
	v_cmp_eq_u32_e32 vcc, 10, v34
	s_or_b64 s[10:11], vcc, s[10:11]
	v_mov_b32_e32 v34, s13
	s_andn2_b64 exec, exec, s[10:11]
	s_cbranch_execnz .LBB70_41
; %bb.42:
	s_or_b64 exec, exec, s[10:11]
.LBB70_43:
	s_or_b64 exec, exec, s[2:3]
	v_and_b32_e32 v32, 7, v9
	v_cmp_ne_u32_e32 vcc, 0, v32
	s_and_saveexec_b64 s[8:9], vcc
	s_cbranch_execz .LBB70_47
; %bb.44:
	v_lshl_add_u32 v35, v34, 2, 32
	v_mov_b32_e32 v9, 0
	s_mov_b64 s[10:11], 0
.LBB70_45:                              ; =>This Inner Loop Header: Depth=1
	v_cmp_eq_u32_e32 vcc, 1, v34
	v_cndmask_b32_e32 v36, v10, v11, vcc
	v_add_u32_e32 v32, -1, v32
	v_cmp_eq_u32_e32 vcc, 2, v34
	ds_read_b32 v37, v35
	v_cndmask_b32_e32 v36, v36, v12, vcc
	v_cmp_eq_u32_e32 vcc, 0, v32
	v_cmp_eq_u32_e64 s[2:3], 3, v34
	v_cndmask_b32_e64 v36, v36, v13, s[2:3]
	s_or_b64 s[10:11], vcc, s[10:11]
	v_cmp_eq_u32_e32 vcc, 4, v34
	v_cndmask_b32_e32 v36, v36, v14, vcc
	v_cmp_eq_u32_e32 vcc, 5, v34
	v_cndmask_b32_e32 v36, v36, v15, vcc
	v_cmp_eq_u32_e32 vcc, 6, v34
	v_add_co_u32_e64 v34, s[2:3], 1, v34
	v_cndmask_b32_e32 v36, v36, v16, vcc
	v_add_u32_e32 v35, 4, v35
	v_addc_co_u32_e64 v9, s[2:3], 0, v9, s[2:3]
	s_waitcnt lgkmcnt(0)
	v_fmac_f32_e32 v33, v36, v37
	s_andn2_b64 exec, exec, s[10:11]
	s_cbranch_execnz .LBB70_45
; %bb.46:
	s_or_b64 exec, exec, s[10:11]
.LBB70_47:
	s_or_b64 exec, exec, s[8:9]
.LBB70_48:
	s_or_b64 exec, exec, s[6:7]
	v_mov_b32_e32 v9, 0
	ds_read_b32 v9, v9 offset:8
	s_waitcnt lgkmcnt(0)
	v_mul_f32_e32 v12, v33, v9
.LBB70_49:
	s_or_b64 exec, exec, s[4:5]
	v_cmp_lt_u32_e64 s[2:3], 1, v0
	ds_write_b32 v17, v11
	s_waitcnt lgkmcnt(0)
	; wave barrier
	s_waitcnt lgkmcnt(0)
	s_and_saveexec_b64 s[4:5], s[2:3]
	s_cbranch_execz .LBB70_65
; %bb.50:
	s_andn2_b64 vcc, exec, s[14:15]
	s_cbranch_vccnz .LBB70_52
; %bb.51:
	v_cmp_eq_u32_e32 vcc, 1, v0
	v_cndmask_b32_e32 v9, v10, v11, vcc
	v_cmp_eq_u32_e32 vcc, 2, v0
	v_cndmask_b32_e32 v9, v9, v12, vcc
	v_cmp_eq_u32_e32 vcc, 3, v0
	ds_read_b32 v32, v17
	v_cndmask_b32_e32 v9, v9, v13, vcc
	v_cmp_eq_u32_e32 vcc, 4, v0
	v_cndmask_b32_e32 v9, v9, v14, vcc
	v_cmp_eq_u32_e32 vcc, 5, v0
	v_cndmask_b32_e32 v9, v9, v15, vcc
	v_cmp_eq_u32_e32 vcc, 6, v0
	v_cndmask_b32_e32 v9, v9, v16, vcc
	s_waitcnt lgkmcnt(0)
	v_mul_f32_e32 v33, v9, v32
	s_cbranch_execz .LBB70_53
	s_branch .LBB70_54
.LBB70_52:
                                        ; implicit-def: $vgpr33
.LBB70_53:
	ds_read_b32 v33, v17
.LBB70_54:
	s_and_saveexec_b64 s[6:7], s[0:1]
	s_cbranch_execz .LBB70_64
; %bb.55:
	v_add_u32_e32 v32, -3, v0
	v_add_u32_e32 v9, -2, v0
	v_cmp_lt_u32_e32 vcc, 6, v32
	v_mov_b32_e32 v34, 2
	s_and_saveexec_b64 s[0:1], vcc
	s_cbranch_execz .LBB70_59
; %bb.56:
	v_and_b32_e32 v32, -8, v9
	v_sub_u32_e32 v32, 0, v32
	s_mov_b64 s[8:9], 9
	s_mov_b32 s12, 40
	s_mov_b64 s[10:11], 0
.LBB70_57:                              ; =>This Inner Loop Header: Depth=1
	s_add_i32 s13, s8, -7
	s_cmp_eq_u32 s13, 1
	s_cselect_b64 vcc, -1, 0
	s_cmp_eq_u32 s13, 2
	v_cndmask_b32_e32 v42, v10, v11, vcc
	s_cselect_b64 vcc, -1, 0
	s_cmp_eq_u32 s13, 3
	v_cndmask_b32_e32 v42, v42, v12, vcc
	s_cselect_b64 vcc, -1, 0
	s_cmp_eq_u32 s13, 4
	v_mov_b32_e32 v38, s12
	v_cndmask_b32_e32 v42, v42, v13, vcc
	s_cselect_b64 vcc, -1, 0
	s_cmp_eq_u32 s13, 5
	ds_read2_b64 v[34:37], v38 offset1:1
	ds_read2_b64 v[38:41], v38 offset0:2 offset1:3
	v_cndmask_b32_e32 v42, v42, v14, vcc
	s_cselect_b64 vcc, -1, 0
	s_cmp_eq_u32 s13, 6
	v_cndmask_b32_e32 v42, v42, v15, vcc
	s_cselect_b64 vcc, -1, 0
	s_add_i32 s13, s8, -6
	s_cmp_eq_u32 s13, 1
	v_cndmask_b32_e32 v42, v42, v16, vcc
	s_cselect_b64 vcc, -1, 0
	s_cmp_eq_u32 s13, 2
	s_waitcnt lgkmcnt(1)
	v_fmac_f32_e32 v33, v42, v34
	v_cndmask_b32_e32 v34, v10, v11, vcc
	s_cselect_b64 vcc, -1, 0
	s_cmp_eq_u32 s13, 3
	v_cndmask_b32_e32 v34, v34, v12, vcc
	s_cselect_b64 vcc, -1, 0
	s_cmp_eq_u32 s13, 4
	v_cndmask_b32_e32 v34, v34, v13, vcc
	s_cselect_b64 vcc, -1, 0
	s_cmp_eq_u32 s13, 5
	v_cndmask_b32_e32 v34, v34, v14, vcc
	s_cselect_b64 vcc, -1, 0
	s_cmp_eq_u32 s13, 6
	v_cndmask_b32_e32 v34, v34, v15, vcc
	s_cselect_b64 vcc, -1, 0
	s_add_i32 s13, s8, -5
	s_cmp_eq_u32 s13, 1
	v_cndmask_b32_e32 v34, v34, v16, vcc
	s_cselect_b64 vcc, -1, 0
	s_cmp_eq_u32 s13, 2
	v_fmac_f32_e32 v33, v34, v35
	v_cndmask_b32_e32 v34, v10, v11, vcc
	s_cselect_b64 vcc, -1, 0
	s_cmp_eq_u32 s13, 3
	v_cndmask_b32_e32 v34, v34, v12, vcc
	s_cselect_b64 vcc, -1, 0
	s_cmp_eq_u32 s13, 4
	v_cndmask_b32_e32 v34, v34, v13, vcc
	s_cselect_b64 vcc, -1, 0
	s_cmp_eq_u32 s13, 5
	v_cndmask_b32_e32 v34, v34, v14, vcc
	s_cselect_b64 vcc, -1, 0
	s_cmp_eq_u32 s13, 6
	v_cndmask_b32_e32 v34, v34, v15, vcc
	s_cselect_b64 vcc, -1, 0
	s_add_i32 s13, s8, -4
	s_cmp_eq_u32 s13, 1
	v_cndmask_b32_e32 v34, v34, v16, vcc
	s_cselect_b64 vcc, -1, 0
	s_cmp_eq_u32 s13, 2
	;; [unrolled: 20-line block ×4, first 2 shown]
	s_waitcnt lgkmcnt(0)
	v_fmac_f32_e32 v33, v34, v38
	v_cndmask_b32_e32 v34, v10, v11, vcc
	s_cselect_b64 vcc, -1, 0
	s_cmp_eq_u32 s13, 3
	v_cndmask_b32_e32 v34, v34, v12, vcc
	s_cselect_b64 vcc, -1, 0
	s_cmp_eq_u32 s13, 4
	;; [unrolled: 3-line block ×4, first 2 shown]
	v_cndmask_b32_e32 v34, v34, v15, vcc
	s_cselect_b64 vcc, -1, 0
	s_add_i32 s13, s8, -1
	s_cmp_eq_u32 s13, 1
	v_cndmask_b32_e32 v34, v34, v16, vcc
	s_cselect_b64 vcc, -1, 0
	s_cmp_eq_u32 s13, 2
	v_fmac_f32_e32 v33, v34, v39
	v_cndmask_b32_e32 v34, v10, v11, vcc
	s_cselect_b64 vcc, -1, 0
	s_cmp_eq_u32 s13, 3
	v_cndmask_b32_e32 v34, v34, v12, vcc
	s_cselect_b64 vcc, -1, 0
	s_cmp_eq_u32 s13, 4
	;; [unrolled: 3-line block ×6, first 2 shown]
	v_fmac_f32_e32 v33, v34, v40
	v_cndmask_b32_e32 v34, v10, v11, vcc
	s_cselect_b64 vcc, -1, 0
	s_cmp_eq_u32 s8, 3
	v_cndmask_b32_e32 v34, v34, v12, vcc
	s_cselect_b64 vcc, -1, 0
	s_cmp_eq_u32 s8, 4
	;; [unrolled: 3-line block ×4, first 2 shown]
	v_cndmask_b32_e32 v34, v34, v15, vcc
	s_cselect_b64 vcc, -1, 0
	v_cndmask_b32_e32 v34, v34, v16, vcc
	s_add_u32 s8, s8, 8
	v_fmac_f32_e32 v33, v34, v41
	v_add_u32_e32 v34, s8, v32
	s_addc_u32 s9, s9, 0
	s_add_i32 s12, s12, 32
	s_add_i32 s13, s8, -7
	v_cmp_eq_u32_e32 vcc, 9, v34
	s_or_b64 s[10:11], vcc, s[10:11]
	v_mov_b32_e32 v34, s13
	s_andn2_b64 exec, exec, s[10:11]
	s_cbranch_execnz .LBB70_57
; %bb.58:
	s_or_b64 exec, exec, s[10:11]
.LBB70_59:
	s_or_b64 exec, exec, s[0:1]
	v_and_b32_e32 v32, 7, v9
	v_cmp_ne_u32_e32 vcc, 0, v32
	s_and_saveexec_b64 s[8:9], vcc
	s_cbranch_execz .LBB70_63
; %bb.60:
	v_lshl_add_u32 v35, v34, 2, 32
	v_mov_b32_e32 v9, 0
	s_mov_b64 s[10:11], 0
.LBB70_61:                              ; =>This Inner Loop Header: Depth=1
	v_cmp_eq_u32_e32 vcc, 1, v34
	v_cndmask_b32_e32 v36, v10, v11, vcc
	v_add_u32_e32 v32, -1, v32
	v_cmp_eq_u32_e32 vcc, 2, v34
	ds_read_b32 v37, v35
	v_cndmask_b32_e32 v36, v36, v12, vcc
	v_cmp_eq_u32_e32 vcc, 0, v32
	v_cmp_eq_u32_e64 s[0:1], 3, v34
	v_cndmask_b32_e64 v36, v36, v13, s[0:1]
	s_or_b64 s[10:11], vcc, s[10:11]
	v_cmp_eq_u32_e32 vcc, 4, v34
	v_cndmask_b32_e32 v36, v36, v14, vcc
	v_cmp_eq_u32_e32 vcc, 5, v34
	v_cndmask_b32_e32 v36, v36, v15, vcc
	v_cmp_eq_u32_e32 vcc, 6, v34
	v_add_co_u32_e64 v34, s[0:1], 1, v34
	v_cndmask_b32_e32 v36, v36, v16, vcc
	v_add_u32_e32 v35, 4, v35
	v_addc_co_u32_e64 v9, s[0:1], 0, v9, s[0:1]
	s_waitcnt lgkmcnt(0)
	v_fmac_f32_e32 v33, v36, v37
	s_andn2_b64 exec, exec, s[10:11]
	s_cbranch_execnz .LBB70_61
; %bb.62:
	s_or_b64 exec, exec, s[10:11]
.LBB70_63:
	s_or_b64 exec, exec, s[8:9]
.LBB70_64:
	s_or_b64 exec, exec, s[6:7]
	v_mov_b32_e32 v9, 0
	ds_read_b32 v9, v9 offset:4
	s_waitcnt lgkmcnt(0)
	v_mul_f32_e32 v11, v33, v9
.LBB70_65:
	s_or_b64 exec, exec, s[4:5]
	v_cmp_ne_u32_e32 vcc, 0, v0
	ds_write_b32 v17, v10
	s_waitcnt lgkmcnt(0)
	; wave barrier
	s_waitcnt lgkmcnt(0)
	s_and_saveexec_b64 s[4:5], vcc
	s_cbranch_execz .LBB70_81
; %bb.66:
	s_andn2_b64 vcc, exec, s[14:15]
	s_cbranch_vccnz .LBB70_68
; %bb.67:
	v_cmp_eq_u32_e32 vcc, 1, v0
	v_cndmask_b32_e32 v9, v10, v11, vcc
	v_cmp_eq_u32_e32 vcc, 2, v0
	v_cndmask_b32_e32 v9, v9, v12, vcc
	v_cmp_eq_u32_e32 vcc, 3, v0
	ds_read_b32 v32, v17
	v_cndmask_b32_e32 v9, v9, v13, vcc
	v_cmp_eq_u32_e32 vcc, 4, v0
	v_cndmask_b32_e32 v9, v9, v14, vcc
	v_cmp_eq_u32_e32 vcc, 5, v0
	;; [unrolled: 2-line block ×3, first 2 shown]
	v_cndmask_b32_e32 v9, v9, v16, vcc
	s_waitcnt lgkmcnt(0)
	v_mul_f32_e32 v33, v9, v32
	s_cbranch_execz .LBB70_69
	s_branch .LBB70_70
.LBB70_68:
                                        ; implicit-def: $vgpr33
.LBB70_69:
	ds_read_b32 v33, v17
.LBB70_70:
	s_and_saveexec_b64 s[6:7], s[2:3]
	s_cbranch_execz .LBB70_80
; %bb.71:
	v_add_u32_e32 v32, -2, v0
	v_add_u32_e32 v9, -1, v0
	v_cmp_lt_u32_e32 vcc, 6, v32
	v_mov_b32_e32 v34, 1
	s_and_saveexec_b64 s[0:1], vcc
	s_cbranch_execz .LBB70_75
; %bb.72:
	v_and_b32_e32 v32, -8, v9
	v_sub_u32_e32 v32, 0, v32
	s_mov_b64 s[2:3], 8
	s_mov_b32 s10, 36
	s_mov_b64 s[8:9], 0
.LBB70_73:                              ; =>This Inner Loop Header: Depth=1
	s_add_i32 s11, s2, -7
	s_cmp_eq_u32 s11, 1
	s_cselect_b64 vcc, -1, 0
	s_cmp_eq_u32 s11, 2
	v_cndmask_b32_e32 v42, v10, v11, vcc
	s_cselect_b64 vcc, -1, 0
	s_cmp_eq_u32 s11, 3
	v_cndmask_b32_e32 v42, v42, v12, vcc
	;; [unrolled: 3-line block ×4, first 2 shown]
	s_cselect_b64 vcc, -1, 0
	s_cmp_eq_u32 s11, 6
	v_mov_b32_e32 v40, s10
	v_cndmask_b32_e32 v42, v42, v15, vcc
	s_cselect_b64 vcc, -1, 0
	s_add_i32 s11, s2, -6
	ds_read2_b32 v[34:35], v40 offset1:1
	ds_read2_b32 v[36:37], v40 offset0:2 offset1:3
	ds_read2_b32 v[38:39], v40 offset0:4 offset1:5
	;; [unrolled: 1-line block ×3, first 2 shown]
	s_cmp_eq_u32 s11, 1
	v_cndmask_b32_e32 v42, v42, v16, vcc
	s_cselect_b64 vcc, -1, 0
	s_cmp_eq_u32 s11, 2
	s_waitcnt lgkmcnt(3)
	v_fmac_f32_e32 v33, v42, v34
	v_cndmask_b32_e32 v34, v10, v11, vcc
	s_cselect_b64 vcc, -1, 0
	s_cmp_eq_u32 s11, 3
	v_cndmask_b32_e32 v34, v34, v12, vcc
	s_cselect_b64 vcc, -1, 0
	s_cmp_eq_u32 s11, 4
	;; [unrolled: 3-line block ×4, first 2 shown]
	v_cndmask_b32_e32 v34, v34, v15, vcc
	s_cselect_b64 vcc, -1, 0
	s_add_i32 s11, s2, -5
	s_cmp_eq_u32 s11, 1
	v_cndmask_b32_e32 v34, v34, v16, vcc
	s_cselect_b64 vcc, -1, 0
	s_cmp_eq_u32 s11, 2
	v_fmac_f32_e32 v33, v34, v35
	v_cndmask_b32_e32 v34, v10, v11, vcc
	s_cselect_b64 vcc, -1, 0
	s_cmp_eq_u32 s11, 3
	v_cndmask_b32_e32 v34, v34, v12, vcc
	s_cselect_b64 vcc, -1, 0
	s_cmp_eq_u32 s11, 4
	;; [unrolled: 3-line block ×4, first 2 shown]
	v_cndmask_b32_e32 v34, v34, v15, vcc
	s_cselect_b64 vcc, -1, 0
	s_add_i32 s11, s2, -4
	s_cmp_eq_u32 s11, 1
	v_cndmask_b32_e32 v34, v34, v16, vcc
	s_cselect_b64 vcc, -1, 0
	s_cmp_eq_u32 s11, 2
	s_waitcnt lgkmcnt(2)
	v_fmac_f32_e32 v33, v34, v36
	v_cndmask_b32_e32 v34, v10, v11, vcc
	s_cselect_b64 vcc, -1, 0
	s_cmp_eq_u32 s11, 3
	v_cndmask_b32_e32 v34, v34, v12, vcc
	s_cselect_b64 vcc, -1, 0
	s_cmp_eq_u32 s11, 4
	;; [unrolled: 3-line block ×4, first 2 shown]
	v_cndmask_b32_e32 v34, v34, v15, vcc
	s_cselect_b64 vcc, -1, 0
	s_add_i32 s11, s2, -3
	s_cmp_eq_u32 s11, 1
	v_cndmask_b32_e32 v34, v34, v16, vcc
	s_cselect_b64 vcc, -1, 0
	s_cmp_eq_u32 s11, 2
	v_fmac_f32_e32 v33, v34, v37
	v_cndmask_b32_e32 v34, v10, v11, vcc
	s_cselect_b64 vcc, -1, 0
	s_cmp_eq_u32 s11, 3
	v_cndmask_b32_e32 v34, v34, v12, vcc
	s_cselect_b64 vcc, -1, 0
	s_cmp_eq_u32 s11, 4
	;; [unrolled: 3-line block ×4, first 2 shown]
	v_cndmask_b32_e32 v34, v34, v15, vcc
	s_cselect_b64 vcc, -1, 0
	s_add_i32 s11, s2, -2
	s_cmp_eq_u32 s11, 1
	v_cndmask_b32_e32 v34, v34, v16, vcc
	s_cselect_b64 vcc, -1, 0
	s_cmp_eq_u32 s11, 2
	s_waitcnt lgkmcnt(1)
	v_fmac_f32_e32 v33, v34, v38
	v_cndmask_b32_e32 v34, v10, v11, vcc
	s_cselect_b64 vcc, -1, 0
	s_cmp_eq_u32 s11, 3
	v_cndmask_b32_e32 v34, v34, v12, vcc
	s_cselect_b64 vcc, -1, 0
	s_cmp_eq_u32 s11, 4
	;; [unrolled: 3-line block ×4, first 2 shown]
	v_cndmask_b32_e32 v34, v34, v15, vcc
	s_cselect_b64 vcc, -1, 0
	s_add_i32 s11, s2, -1
	s_cmp_eq_u32 s11, 1
	v_cndmask_b32_e32 v34, v34, v16, vcc
	s_cselect_b64 vcc, -1, 0
	s_cmp_eq_u32 s11, 2
	v_fmac_f32_e32 v33, v34, v39
	v_cndmask_b32_e32 v34, v10, v11, vcc
	s_cselect_b64 vcc, -1, 0
	s_cmp_eq_u32 s11, 3
	v_cndmask_b32_e32 v34, v34, v12, vcc
	s_cselect_b64 vcc, -1, 0
	s_cmp_eq_u32 s11, 4
	v_cndmask_b32_e32 v34, v34, v13, vcc
	s_cselect_b64 vcc, -1, 0
	s_cmp_eq_u32 s11, 5
	v_cndmask_b32_e32 v34, v34, v14, vcc
	s_cselect_b64 vcc, -1, 0
	s_cmp_eq_u32 s11, 6
	v_cndmask_b32_e32 v34, v34, v15, vcc
	s_cselect_b64 vcc, -1, 0
	s_cmp_eq_u32 s2, 1
	v_cndmask_b32_e32 v34, v34, v16, vcc
	s_cselect_b64 vcc, -1, 0
	s_cmp_eq_u32 s2, 2
	s_waitcnt lgkmcnt(0)
	v_fmac_f32_e32 v33, v34, v40
	v_cndmask_b32_e32 v34, v10, v11, vcc
	s_cselect_b64 vcc, -1, 0
	s_cmp_eq_u32 s2, 3
	v_cndmask_b32_e32 v34, v34, v12, vcc
	s_cselect_b64 vcc, -1, 0
	s_cmp_eq_u32 s2, 4
	;; [unrolled: 3-line block ×4, first 2 shown]
	v_cndmask_b32_e32 v34, v34, v15, vcc
	s_cselect_b64 vcc, -1, 0
	v_cndmask_b32_e32 v34, v34, v16, vcc
	s_add_u32 s2, s2, 8
	v_fmac_f32_e32 v33, v34, v41
	v_add_u32_e32 v34, s2, v32
	s_addc_u32 s3, s3, 0
	s_add_i32 s10, s10, 32
	s_add_i32 s11, s2, -7
	v_cmp_eq_u32_e32 vcc, 8, v34
	s_or_b64 s[8:9], vcc, s[8:9]
	v_mov_b32_e32 v34, s11
	s_andn2_b64 exec, exec, s[8:9]
	s_cbranch_execnz .LBB70_73
; %bb.74:
	s_or_b64 exec, exec, s[8:9]
.LBB70_75:
	s_or_b64 exec, exec, s[0:1]
	v_and_b32_e32 v32, 7, v9
	v_cmp_ne_u32_e32 vcc, 0, v32
	s_and_saveexec_b64 s[2:3], vcc
	s_cbranch_execz .LBB70_79
; %bb.76:
	v_lshl_add_u32 v35, v34, 2, 32
	v_mov_b32_e32 v9, 0
	s_mov_b64 s[8:9], 0
.LBB70_77:                              ; =>This Inner Loop Header: Depth=1
	v_cmp_eq_u32_e32 vcc, 1, v34
	v_cndmask_b32_e32 v36, v10, v11, vcc
	v_add_u32_e32 v32, -1, v32
	v_cmp_eq_u32_e32 vcc, 2, v34
	ds_read_b32 v37, v35
	v_cndmask_b32_e32 v36, v36, v12, vcc
	v_cmp_eq_u32_e32 vcc, 0, v32
	v_cmp_eq_u32_e64 s[0:1], 3, v34
	v_cndmask_b32_e64 v36, v36, v13, s[0:1]
	s_or_b64 s[8:9], vcc, s[8:9]
	v_cmp_eq_u32_e32 vcc, 4, v34
	v_cndmask_b32_e32 v36, v36, v14, vcc
	v_cmp_eq_u32_e32 vcc, 5, v34
	v_cndmask_b32_e32 v36, v36, v15, vcc
	v_cmp_eq_u32_e32 vcc, 6, v34
	v_add_co_u32_e64 v34, s[0:1], 1, v34
	v_cndmask_b32_e32 v36, v36, v16, vcc
	v_add_u32_e32 v35, 4, v35
	v_addc_co_u32_e64 v9, s[0:1], 0, v9, s[0:1]
	s_waitcnt lgkmcnt(0)
	v_fmac_f32_e32 v33, v36, v37
	s_andn2_b64 exec, exec, s[8:9]
	s_cbranch_execnz .LBB70_77
; %bb.78:
	s_or_b64 exec, exec, s[8:9]
.LBB70_79:
	s_or_b64 exec, exec, s[2:3]
.LBB70_80:
	s_or_b64 exec, exec, s[6:7]
	v_mov_b32_e32 v9, 0
	ds_read_b32 v9, v9
	s_waitcnt lgkmcnt(0)
	v_mul_f32_e32 v10, v33, v9
.LBB70_81:
	s_or_b64 exec, exec, s[4:5]
	s_branch .LBB70_135
.LBB70_82:
	v_cmp_eq_u32_e64 s[2:3], 0, v0
	s_waitcnt vmcnt(6)
	ds_write_b32 v17, v3
	s_waitcnt lgkmcnt(0)
	; wave barrier
	s_waitcnt lgkmcnt(0)
	s_and_saveexec_b64 s[0:1], s[2:3]
	s_cbranch_execz .LBB70_88
; %bb.83:
	s_and_b64 vcc, exec, s[14:15]
	s_cbranch_vccz .LBB70_85
; %bb.84:
	v_cmp_eq_u32_e32 vcc, 1, v0
	s_waitcnt vmcnt(1)
	v_cndmask_b32_e32 v3, v2, v3, vcc
	v_cmp_eq_u32_e32 vcc, 2, v0
	v_cndmask_b32_e32 v3, v3, v4, vcc
	v_cmp_eq_u32_e32 vcc, 3, v0
	ds_read_b32 v9, v17
	v_cndmask_b32_e32 v3, v3, v5, vcc
	v_cmp_eq_u32_e32 vcc, 4, v0
	v_cndmask_b32_e32 v3, v3, v6, vcc
	v_cmp_eq_u32_e32 vcc, 5, v0
	;; [unrolled: 2-line block ×3, first 2 shown]
	s_waitcnt vmcnt(0)
	v_cndmask_b32_e32 v3, v3, v8, vcc
	s_waitcnt lgkmcnt(0)
	v_mul_f32_e32 v3, v3, v9
	s_cbranch_execz .LBB70_86
	s_branch .LBB70_87
.LBB70_85:
                                        ; implicit-def: $vgpr3
.LBB70_86:
	ds_read_b32 v3, v17
.LBB70_87:
	v_mov_b32_e32 v9, 0
	ds_read_b32 v9, v9 offset:4
	s_waitcnt lgkmcnt(0)
	v_mul_f32_e32 v3, v3, v9
.LBB70_88:
	s_or_b64 exec, exec, s[0:1]
	v_cndmask_b32_e64 v10, 0, 1, s[14:15]
	v_add_u32_e32 v9, 1, v0
	v_cmp_gt_u32_e32 vcc, 2, v0
	v_cmp_ne_u32_e64 s[0:1], 1, v10
	s_waitcnt vmcnt(5)
	ds_write_b32 v17, v4
	s_waitcnt lgkmcnt(0)
	; wave barrier
	s_waitcnt lgkmcnt(0)
	s_and_saveexec_b64 s[4:5], vcc
	s_cbranch_execz .LBB70_96
; %bb.89:
	s_and_b64 vcc, exec, s[0:1]
	s_cbranch_vccnz .LBB70_91
; %bb.90:
	v_cmp_eq_u32_e32 vcc, 1, v0
	s_waitcnt vmcnt(1)
	v_cndmask_b32_e32 v10, v2, v3, vcc
	v_cmp_eq_u32_e32 vcc, 2, v0
	v_cndmask_b32_e32 v10, v10, v4, vcc
	v_cmp_eq_u32_e32 vcc, 3, v0
	ds_read_b32 v11, v17
	v_cndmask_b32_e32 v10, v10, v5, vcc
	v_cmp_eq_u32_e32 vcc, 4, v0
	v_cndmask_b32_e32 v10, v10, v6, vcc
	v_cmp_eq_u32_e32 vcc, 5, v0
	;; [unrolled: 2-line block ×3, first 2 shown]
	s_waitcnt vmcnt(0)
	v_cndmask_b32_e32 v10, v10, v8, vcc
	s_waitcnt lgkmcnt(0)
	v_mul_f32_e32 v10, v10, v11
	s_cbranch_execz .LBB70_92
	s_branch .LBB70_93
.LBB70_91:
                                        ; implicit-def: $vgpr10
.LBB70_92:
	ds_read_b32 v10, v17
.LBB70_93:
	s_and_saveexec_b64 s[6:7], s[2:3]
	s_cbranch_execz .LBB70_95
; %bb.94:
	v_cmp_eq_u32_e32 vcc, 1, v9
	s_waitcnt vmcnt(1)
	v_cndmask_b32_e32 v11, v2, v3, vcc
	v_cmp_eq_u32_e32 vcc, 2, v9
	v_cndmask_b32_e32 v4, v11, v4, vcc
	v_cmp_eq_u32_e32 vcc, 3, v9
	ds_read_b32 v11, v17 offset:4
	v_cndmask_b32_e32 v4, v4, v5, vcc
	v_cmp_eq_u32_e32 vcc, 4, v9
	v_cndmask_b32_e32 v4, v4, v6, vcc
	v_cmp_eq_u32_e32 vcc, 5, v9
	;; [unrolled: 2-line block ×3, first 2 shown]
	s_waitcnt vmcnt(0)
	v_cndmask_b32_e32 v4, v4, v8, vcc
	s_waitcnt lgkmcnt(0)
	v_fmac_f32_e32 v10, v4, v11
.LBB70_95:
	s_or_b64 exec, exec, s[6:7]
	v_mov_b32_e32 v4, 0
	ds_read_b32 v4, v4 offset:8
	s_waitcnt lgkmcnt(0)
	v_mul_f32_e32 v4, v10, v4
.LBB70_96:
	s_or_b64 exec, exec, s[4:5]
	v_cmp_gt_u32_e32 vcc, 3, v0
	s_waitcnt vmcnt(4)
	ds_write_b32 v17, v5
	s_waitcnt lgkmcnt(0)
	; wave barrier
	s_waitcnt lgkmcnt(0)
	s_and_saveexec_b64 s[4:5], vcc
	s_cbranch_execz .LBB70_104
; %bb.97:
	s_and_b64 vcc, exec, s[0:1]
	s_cbranch_vccnz .LBB70_99
; %bb.98:
	v_cmp_eq_u32_e32 vcc, 1, v0
	s_waitcnt vmcnt(1)
	v_cndmask_b32_e32 v10, v2, v3, vcc
	v_cmp_eq_u32_e32 vcc, 2, v0
	v_cndmask_b32_e32 v10, v10, v4, vcc
	v_cmp_eq_u32_e32 vcc, 3, v0
	ds_read_b32 v11, v17
	v_cndmask_b32_e32 v10, v10, v5, vcc
	v_cmp_eq_u32_e32 vcc, 4, v0
	v_cndmask_b32_e32 v10, v10, v6, vcc
	v_cmp_eq_u32_e32 vcc, 5, v0
	;; [unrolled: 2-line block ×3, first 2 shown]
	s_waitcnt vmcnt(0)
	v_cndmask_b32_e32 v10, v10, v8, vcc
	s_waitcnt lgkmcnt(0)
	v_mul_f32_e32 v10, v10, v11
	s_cbranch_execz .LBB70_100
	s_branch .LBB70_101
.LBB70_99:
                                        ; implicit-def: $vgpr10
.LBB70_100:
	ds_read_b32 v10, v17
.LBB70_101:
	v_cmp_ne_u32_e32 vcc, 2, v0
	s_and_saveexec_b64 s[6:7], vcc
	s_cbranch_execz .LBB70_103
; %bb.102:
	v_cmp_eq_u32_e32 vcc, 1, v9
	s_waitcnt vmcnt(1)
	v_cndmask_b32_e32 v11, v2, v3, vcc
	v_cmp_eq_u32_e32 vcc, 2, v9
	v_cndmask_b32_e32 v11, v11, v4, vcc
	v_cmp_eq_u32_e32 vcc, 3, v9
	v_cndmask_b32_e32 v5, v11, v5, vcc
	v_mov_b32_e32 v11, 0
	v_cmp_eq_u32_e32 vcc, 4, v9
	ds_read_b32 v12, v17 offset:4
	ds_read_b32 v11, v11 offset:40
	v_cndmask_b32_e32 v5, v5, v6, vcc
	v_cmp_eq_u32_e32 vcc, 5, v9
	v_cndmask_b32_e32 v5, v5, v7, vcc
	v_cmp_eq_u32_e32 vcc, 6, v9
	s_waitcnt vmcnt(0)
	v_cndmask_b32_e32 v5, v5, v8, vcc
	s_waitcnt lgkmcnt(1)
	v_fmac_f32_e32 v10, v5, v12
	s_waitcnt lgkmcnt(0)
	v_fma_f32 v5, v4, v11, v10
	v_cndmask_b32_e64 v10, v10, v5, s[2:3]
.LBB70_103:
	s_or_b64 exec, exec, s[6:7]
	v_mov_b32_e32 v5, 0
	ds_read_b32 v5, v5 offset:12
	s_waitcnt lgkmcnt(0)
	v_mul_f32_e32 v5, v10, v5
.LBB70_104:
	s_or_b64 exec, exec, s[4:5]
	v_cmp_gt_u32_e32 vcc, 4, v0
	s_waitcnt vmcnt(3)
	ds_write_b32 v17, v6
	s_waitcnt lgkmcnt(0)
	; wave barrier
	s_waitcnt lgkmcnt(0)
	s_and_saveexec_b64 s[4:5], vcc
	s_cbranch_execz .LBB70_114
; %bb.105:
	s_and_b64 vcc, exec, s[0:1]
	s_cbranch_vccnz .LBB70_107
; %bb.106:
	v_cmp_eq_u32_e32 vcc, 1, v0
	s_waitcnt vmcnt(1)
	v_cndmask_b32_e32 v9, v2, v3, vcc
	v_cmp_eq_u32_e32 vcc, 2, v0
	v_cndmask_b32_e32 v9, v9, v4, vcc
	v_cmp_eq_u32_e32 vcc, 3, v0
	ds_read_b32 v10, v17
	v_cndmask_b32_e32 v9, v9, v5, vcc
	v_cmp_eq_u32_e32 vcc, 4, v0
	v_cndmask_b32_e32 v9, v9, v6, vcc
	v_cmp_eq_u32_e32 vcc, 5, v0
	;; [unrolled: 2-line block ×3, first 2 shown]
	s_waitcnt vmcnt(0)
	v_cndmask_b32_e32 v9, v9, v8, vcc
	s_waitcnt lgkmcnt(0)
	v_mul_f32_e32 v9, v9, v10
	s_cbranch_execz .LBB70_108
	s_branch .LBB70_109
.LBB70_107:
                                        ; implicit-def: $vgpr9
.LBB70_108:
	ds_read_b32 v9, v17
.LBB70_109:
	v_cmp_ne_u32_e32 vcc, 3, v0
	s_and_saveexec_b64 s[6:7], vcc
	s_cbranch_execz .LBB70_113
; %bb.110:
	v_lshl_add_u32 v12, v0, 2, 36
	s_mov_b64 s[8:9], 0
	v_pk_mov_b32 v[10:11], v[0:1], v[0:1] op_sel:[0,1]
.LBB70_111:                             ; =>This Inner Loop Header: Depth=1
	v_add_co_u32_e32 v10, vcc, 1, v10
	v_addc_co_u32_e32 v11, vcc, 0, v11, vcc
	v_cmp_eq_u32_e32 vcc, 1, v10
	s_waitcnt vmcnt(1)
	v_cndmask_b32_e32 v14, v2, v3, vcc
	v_cmp_lt_u32_e32 vcc, 2, v10
	v_cmp_eq_u32_e64 s[2:3], 2, v10
	ds_read_b32 v13, v12
	v_cndmask_b32_e64 v14, v14, v4, s[2:3]
	s_or_b64 s[8:9], vcc, s[8:9]
	v_cmp_eq_u32_e32 vcc, 3, v10
	v_cndmask_b32_e32 v14, v14, v5, vcc
	v_cmp_eq_u32_e32 vcc, 4, v10
	v_cndmask_b32_e32 v14, v14, v6, vcc
	;; [unrolled: 2-line block ×3, first 2 shown]
	v_cmp_eq_u32_e32 vcc, 6, v10
	s_waitcnt vmcnt(0)
	v_cndmask_b32_e32 v14, v14, v8, vcc
	v_add_u32_e32 v12, 4, v12
	s_waitcnt lgkmcnt(0)
	v_fmac_f32_e32 v9, v14, v13
	s_andn2_b64 exec, exec, s[8:9]
	s_cbranch_execnz .LBB70_111
; %bb.112:
	s_or_b64 exec, exec, s[8:9]
.LBB70_113:
	s_or_b64 exec, exec, s[6:7]
	v_mov_b32_e32 v6, 0
	ds_read_b32 v6, v6 offset:16
	s_waitcnt lgkmcnt(0)
	v_mul_f32_e32 v6, v9, v6
.LBB70_114:
	s_or_b64 exec, exec, s[4:5]
	v_cmp_gt_u32_e64 s[2:3], 5, v0
	s_waitcnt vmcnt(2)
	ds_write_b32 v17, v7
	s_waitcnt lgkmcnt(0)
	; wave barrier
	s_waitcnt lgkmcnt(0)
	s_and_saveexec_b64 s[6:7], s[2:3]
	s_cbranch_execz .LBB70_124
; %bb.115:
	s_and_b64 vcc, exec, s[0:1]
	s_cbranch_vccnz .LBB70_117
; %bb.116:
	v_cmp_eq_u32_e32 vcc, 1, v0
	s_waitcnt vmcnt(1)
	v_cndmask_b32_e32 v9, v2, v3, vcc
	v_cmp_eq_u32_e32 vcc, 2, v0
	v_cndmask_b32_e32 v9, v9, v4, vcc
	v_cmp_eq_u32_e32 vcc, 3, v0
	ds_read_b32 v10, v17
	v_cndmask_b32_e32 v9, v9, v5, vcc
	v_cmp_eq_u32_e32 vcc, 4, v0
	v_cndmask_b32_e32 v9, v9, v6, vcc
	v_cmp_eq_u32_e32 vcc, 5, v0
	;; [unrolled: 2-line block ×3, first 2 shown]
	s_waitcnt vmcnt(0)
	v_cndmask_b32_e32 v9, v9, v8, vcc
	s_waitcnt lgkmcnt(0)
	v_mul_f32_e32 v9, v9, v10
	s_cbranch_execz .LBB70_118
	s_branch .LBB70_119
.LBB70_117:
                                        ; implicit-def: $vgpr9
.LBB70_118:
	ds_read_b32 v9, v17
.LBB70_119:
	v_cmp_ne_u32_e32 vcc, 4, v0
	s_and_saveexec_b64 s[8:9], vcc
	s_cbranch_execz .LBB70_123
; %bb.120:
	v_lshl_add_u32 v12, v0, 2, 36
	s_mov_b64 s[10:11], 0
	v_pk_mov_b32 v[10:11], v[0:1], v[0:1] op_sel:[0,1]
.LBB70_121:                             ; =>This Inner Loop Header: Depth=1
	v_add_co_u32_e32 v10, vcc, 1, v10
	v_addc_co_u32_e32 v11, vcc, 0, v11, vcc
	v_cmp_eq_u32_e32 vcc, 1, v10
	s_waitcnt vmcnt(1)
	v_cndmask_b32_e32 v14, v2, v3, vcc
	v_cmp_lt_u32_e32 vcc, 3, v10
	v_cmp_eq_u32_e64 s[4:5], 2, v10
	ds_read_b32 v13, v12
	v_cndmask_b32_e64 v14, v14, v4, s[4:5]
	s_or_b64 s[10:11], vcc, s[10:11]
	v_cmp_eq_u32_e32 vcc, 3, v10
	v_cndmask_b32_e32 v14, v14, v5, vcc
	v_cmp_eq_u32_e32 vcc, 4, v10
	v_cndmask_b32_e32 v14, v14, v6, vcc
	;; [unrolled: 2-line block ×3, first 2 shown]
	v_cmp_eq_u32_e32 vcc, 6, v10
	s_waitcnt vmcnt(0)
	v_cndmask_b32_e32 v14, v14, v8, vcc
	v_add_u32_e32 v12, 4, v12
	s_waitcnt lgkmcnt(0)
	v_fmac_f32_e32 v9, v14, v13
	s_andn2_b64 exec, exec, s[10:11]
	s_cbranch_execnz .LBB70_121
; %bb.122:
	s_or_b64 exec, exec, s[10:11]
.LBB70_123:
	s_or_b64 exec, exec, s[8:9]
	v_mov_b32_e32 v7, 0
	ds_read_b32 v7, v7 offset:20
	s_waitcnt lgkmcnt(0)
	v_mul_f32_e32 v7, v9, v7
.LBB70_124:
	s_or_b64 exec, exec, s[6:7]
	v_cmp_ne_u32_e32 vcc, 6, v0
	s_waitcnt vmcnt(0)
	ds_write_b32 v17, v8
	s_waitcnt lgkmcnt(0)
	; wave barrier
	s_waitcnt lgkmcnt(0)
	s_and_saveexec_b64 s[4:5], vcc
	s_cbranch_execz .LBB70_134
; %bb.125:
	s_and_b64 vcc, exec, s[0:1]
	s_cbranch_vccnz .LBB70_127
; %bb.126:
	v_cmp_eq_u32_e32 vcc, 1, v0
	v_cndmask_b32_e32 v9, v2, v3, vcc
	v_cmp_eq_u32_e32 vcc, 2, v0
	v_cndmask_b32_e32 v9, v9, v4, vcc
	v_cmp_eq_u32_e32 vcc, 3, v0
	ds_read_b32 v10, v17
	v_cndmask_b32_e32 v9, v9, v5, vcc
	v_cmp_eq_u32_e32 vcc, 4, v0
	v_cndmask_b32_e32 v9, v9, v6, vcc
	v_cmp_eq_u32_e32 vcc, 5, v0
	;; [unrolled: 2-line block ×3, first 2 shown]
	v_cndmask_b32_e32 v9, v9, v8, vcc
	s_waitcnt lgkmcnt(0)
	v_mul_f32_e32 v9, v9, v10
	s_cbranch_execz .LBB70_128
	s_branch .LBB70_129
.LBB70_127:
                                        ; implicit-def: $vgpr9
.LBB70_128:
	ds_read_b32 v9, v17
.LBB70_129:
	s_and_saveexec_b64 s[6:7], s[2:3]
	s_cbranch_execz .LBB70_133
; %bb.130:
	v_lshl_add_u32 v10, v0, 2, 36
	s_mov_b64 s[2:3], 0
.LBB70_131:                             ; =>This Inner Loop Header: Depth=1
	v_add_co_u32_e32 v0, vcc, 1, v0
	v_addc_co_u32_e32 v1, vcc, 0, v1, vcc
	v_cmp_eq_u32_e32 vcc, 1, v0
	v_cndmask_b32_e32 v12, v2, v3, vcc
	v_cmp_lt_u32_e32 vcc, 4, v0
	v_cmp_eq_u32_e64 s[0:1], 2, v0
	ds_read_b32 v11, v10
	v_cndmask_b32_e64 v12, v12, v4, s[0:1]
	s_or_b64 s[2:3], vcc, s[2:3]
	v_cmp_eq_u32_e32 vcc, 3, v0
	v_cndmask_b32_e32 v12, v12, v5, vcc
	v_cmp_eq_u32_e32 vcc, 4, v0
	v_cndmask_b32_e32 v12, v12, v6, vcc
	;; [unrolled: 2-line block ×4, first 2 shown]
	v_add_u32_e32 v10, 4, v10
	s_waitcnt lgkmcnt(0)
	v_fmac_f32_e32 v9, v12, v11
	s_andn2_b64 exec, exec, s[2:3]
	s_cbranch_execnz .LBB70_131
; %bb.132:
	s_or_b64 exec, exec, s[2:3]
.LBB70_133:
	s_or_b64 exec, exec, s[6:7]
	v_mov_b32_e32 v0, 0
	ds_read_b32 v0, v0 offset:24
	s_waitcnt lgkmcnt(0)
	v_mul_f32_e32 v8, v9, v0
.LBB70_134:
	s_or_b64 exec, exec, s[4:5]
	v_mov_b32_e32 v16, v8
	v_mov_b32_e32 v15, v7
	;; [unrolled: 1-line block ×7, first 2 shown]
.LBB70_135:
	global_store_dword v[18:19], v10, off
	global_store_dword v[20:21], v11, off
	;; [unrolled: 1-line block ×7, first 2 shown]
.LBB70_136:
	s_endpgm
	.section	.rodata,"a",@progbits
	.p2align	6, 0x0
	.amdhsa_kernel _ZN9rocsolver6v33100L18trti2_kernel_smallILi7EfPKPfEEv13rocblas_fill_17rocblas_diagonal_T1_iil
		.amdhsa_group_segment_fixed_size 60
		.amdhsa_private_segment_fixed_size 0
		.amdhsa_kernarg_size 32
		.amdhsa_user_sgpr_count 6
		.amdhsa_user_sgpr_private_segment_buffer 1
		.amdhsa_user_sgpr_dispatch_ptr 0
		.amdhsa_user_sgpr_queue_ptr 0
		.amdhsa_user_sgpr_kernarg_segment_ptr 1
		.amdhsa_user_sgpr_dispatch_id 0
		.amdhsa_user_sgpr_flat_scratch_init 0
		.amdhsa_user_sgpr_kernarg_preload_length 0
		.amdhsa_user_sgpr_kernarg_preload_offset 0
		.amdhsa_user_sgpr_private_segment_size 0
		.amdhsa_uses_dynamic_stack 0
		.amdhsa_system_sgpr_private_segment_wavefront_offset 0
		.amdhsa_system_sgpr_workgroup_id_x 1
		.amdhsa_system_sgpr_workgroup_id_y 0
		.amdhsa_system_sgpr_workgroup_id_z 0
		.amdhsa_system_sgpr_workgroup_info 0
		.amdhsa_system_vgpr_workitem_id 0
		.amdhsa_next_free_vgpr 43
		.amdhsa_next_free_sgpr 20
		.amdhsa_accum_offset 44
		.amdhsa_reserve_vcc 1
		.amdhsa_reserve_flat_scratch 0
		.amdhsa_float_round_mode_32 0
		.amdhsa_float_round_mode_16_64 0
		.amdhsa_float_denorm_mode_32 3
		.amdhsa_float_denorm_mode_16_64 3
		.amdhsa_dx10_clamp 1
		.amdhsa_ieee_mode 1
		.amdhsa_fp16_overflow 0
		.amdhsa_tg_split 0
		.amdhsa_exception_fp_ieee_invalid_op 0
		.amdhsa_exception_fp_denorm_src 0
		.amdhsa_exception_fp_ieee_div_zero 0
		.amdhsa_exception_fp_ieee_overflow 0
		.amdhsa_exception_fp_ieee_underflow 0
		.amdhsa_exception_fp_ieee_inexact 0
		.amdhsa_exception_int_div_zero 0
	.end_amdhsa_kernel
	.section	.text._ZN9rocsolver6v33100L18trti2_kernel_smallILi7EfPKPfEEv13rocblas_fill_17rocblas_diagonal_T1_iil,"axG",@progbits,_ZN9rocsolver6v33100L18trti2_kernel_smallILi7EfPKPfEEv13rocblas_fill_17rocblas_diagonal_T1_iil,comdat
.Lfunc_end70:
	.size	_ZN9rocsolver6v33100L18trti2_kernel_smallILi7EfPKPfEEv13rocblas_fill_17rocblas_diagonal_T1_iil, .Lfunc_end70-_ZN9rocsolver6v33100L18trti2_kernel_smallILi7EfPKPfEEv13rocblas_fill_17rocblas_diagonal_T1_iil
                                        ; -- End function
	.section	.AMDGPU.csdata,"",@progbits
; Kernel info:
; codeLenInByte = 6924
; NumSgprs: 24
; NumVgprs: 43
; NumAgprs: 0
; TotalNumVgprs: 43
; ScratchSize: 0
; MemoryBound: 0
; FloatMode: 240
; IeeeMode: 1
; LDSByteSize: 60 bytes/workgroup (compile time only)
; SGPRBlocks: 2
; VGPRBlocks: 5
; NumSGPRsForWavesPerEU: 24
; NumVGPRsForWavesPerEU: 43
; AccumOffset: 44
; Occupancy: 8
; WaveLimiterHint : 1
; COMPUTE_PGM_RSRC2:SCRATCH_EN: 0
; COMPUTE_PGM_RSRC2:USER_SGPR: 6
; COMPUTE_PGM_RSRC2:TRAP_HANDLER: 0
; COMPUTE_PGM_RSRC2:TGID_X_EN: 1
; COMPUTE_PGM_RSRC2:TGID_Y_EN: 0
; COMPUTE_PGM_RSRC2:TGID_Z_EN: 0
; COMPUTE_PGM_RSRC2:TIDIG_COMP_CNT: 0
; COMPUTE_PGM_RSRC3_GFX90A:ACCUM_OFFSET: 10
; COMPUTE_PGM_RSRC3_GFX90A:TG_SPLIT: 0
	.section	.text._ZN9rocsolver6v33100L18trti2_kernel_smallILi8EfPKPfEEv13rocblas_fill_17rocblas_diagonal_T1_iil,"axG",@progbits,_ZN9rocsolver6v33100L18trti2_kernel_smallILi8EfPKPfEEv13rocblas_fill_17rocblas_diagonal_T1_iil,comdat
	.globl	_ZN9rocsolver6v33100L18trti2_kernel_smallILi8EfPKPfEEv13rocblas_fill_17rocblas_diagonal_T1_iil ; -- Begin function _ZN9rocsolver6v33100L18trti2_kernel_smallILi8EfPKPfEEv13rocblas_fill_17rocblas_diagonal_T1_iil
	.p2align	8
	.type	_ZN9rocsolver6v33100L18trti2_kernel_smallILi8EfPKPfEEv13rocblas_fill_17rocblas_diagonal_T1_iil,@function
_ZN9rocsolver6v33100L18trti2_kernel_smallILi8EfPKPfEEv13rocblas_fill_17rocblas_diagonal_T1_iil: ; @_ZN9rocsolver6v33100L18trti2_kernel_smallILi8EfPKPfEEv13rocblas_fill_17rocblas_diagonal_T1_iil
; %bb.0:
	v_cmp_gt_u32_e32 vcc, 8, v0
	s_and_saveexec_b64 s[0:1], vcc
	s_cbranch_execz .LBB71_162
; %bb.1:
	s_load_dwordx2 s[0:1], s[4:5], 0x10
	s_load_dwordx4 s[16:19], s[4:5], 0x0
	s_ashr_i32 s7, s6, 31
	s_lshl_b64 s[2:3], s[6:7], 3
	v_lshlrev_b32_e32 v10, 2, v0
	s_waitcnt lgkmcnt(0)
	s_ashr_i32 s5, s0, 31
	s_add_u32 s2, s18, s2
	s_addc_u32 s3, s19, s3
	s_load_dwordx2 s[2:3], s[2:3], 0x0
	s_mov_b32 s4, s0
	s_lshl_b64 s[4:5], s[4:5], 2
	v_mov_b32_e32 v11, -1.0
	s_waitcnt lgkmcnt(0)
	s_add_u32 s2, s2, s4
	s_addc_u32 s3, s3, s5
	v_mov_b32_e32 v1, s3
	v_add_co_u32_e32 v18, vcc, s2, v10
	s_ashr_i32 s5, s1, 31
	s_mov_b32 s4, s1
	s_add_i32 s0, s1, s1
	v_addc_co_u32_e32 v19, vcc, 0, v1, vcc
	s_lshl_b64 s[4:5], s[4:5], 2
	v_add_u32_e32 v2, s0, v0
	v_mov_b32_e32 v1, s5
	v_add_co_u32_e32 v20, vcc, s4, v18
	v_ashrrev_i32_e32 v3, 31, v2
	v_addc_co_u32_e32 v21, vcc, v19, v1, vcc
	v_lshlrev_b64 v[4:5], 2, v[2:3]
	v_add_u32_e32 v2, s1, v2
	v_mov_b32_e32 v1, s3
	v_add_co_u32_e32 v22, vcc, s2, v4
	v_ashrrev_i32_e32 v3, 31, v2
	v_addc_co_u32_e32 v23, vcc, v1, v5, vcc
	v_lshlrev_b64 v[4:5], 2, v[2:3]
	v_add_u32_e32 v2, s1, v2
	v_add_co_u32_e32 v24, vcc, s2, v4
	v_ashrrev_i32_e32 v3, 31, v2
	v_addc_co_u32_e32 v25, vcc, v1, v5, vcc
	v_lshlrev_b64 v[4:5], 2, v[2:3]
	v_add_u32_e32 v2, s1, v2
	;; [unrolled: 5-line block ×3, first 2 shown]
	v_add_co_u32_e32 v28, vcc, s2, v4
	v_ashrrev_i32_e32 v3, 31, v2
	v_addc_co_u32_e32 v29, vcc, v1, v5, vcc
	v_lshlrev_b64 v[4:5], 2, v[2:3]
	v_add_co_u32_e32 v30, vcc, s2, v4
	v_addc_co_u32_e32 v31, vcc, v1, v5, vcc
	global_load_dword v3, v[20:21], off
	global_load_dword v4, v[22:23], off
	;; [unrolled: 1-line block ×6, first 2 shown]
	v_add_u32_e32 v12, s1, v2
	v_ashrrev_i32_e32 v13, 31, v12
	v_lshlrev_b64 v[12:13], 2, v[12:13]
	v_add_co_u32_e32 v32, vcc, s2, v12
	v_addc_co_u32_e32 v33, vcc, v1, v13, vcc
	global_load_dword v2, v10, s[2:3]
	global_load_dword v9, v[32:33], off
	s_cmpk_lg_i32 s17, 0x84
	v_mov_b32_e32 v1, 0
	s_cselect_b64 s[18:19], -1, 0
	s_cmpk_eq_i32 s17, 0x84
	v_cmp_eq_u32_e64 s[0:1], 0, v0
	s_cbranch_scc1 .LBB71_3
; %bb.2:
	v_cmp_eq_u32_e64 s[2:3], 1, v0
	s_waitcnt vmcnt(1)
	v_cndmask_b32_e64 v11, v2, v3, s[2:3]
	v_cmp_eq_u32_e64 s[4:5], 2, v0
	v_cndmask_b32_e64 v11, v11, v4, s[4:5]
	v_cmp_eq_u32_e64 s[6:7], 3, v0
	;; [unrolled: 2-line block ×6, first 2 shown]
	s_waitcnt vmcnt(0)
	v_cndmask_b32_e64 v11, v11, v9, s[14:15]
	v_div_scale_f32 v12, s[20:21], v11, v11, 1.0
	v_rcp_f32_e32 v13, v12
	v_fma_f32 v14, -v12, v13, 1.0
	v_fmac_f32_e32 v13, v14, v13
	v_div_scale_f32 v14, vcc, 1.0, v11, 1.0
	v_mul_f32_e32 v15, v14, v13
	v_fma_f32 v16, -v12, v15, v14
	v_fmac_f32_e32 v15, v16, v13
	v_fma_f32 v12, -v12, v15, v14
	v_div_fmas_f32 v12, v12, v13, v15
	v_div_fixup_f32 v11, v12, v11, 1.0
	v_cndmask_b32_e64 v9, v9, v11, s[14:15]
	v_cndmask_b32_e64 v8, v8, v11, s[12:13]
	;; [unrolled: 1-line block ×8, first 2 shown]
	v_xor_b32_e32 v11, 0x80000000, v11
.LBB71_3:
	s_cmpk_eq_i32 s16, 0x79
	v_add_u32_e32 v37, 32, v10
	ds_write_b32 v10, v11
	s_cbranch_scc1 .LBB71_7
; %bb.4:
	s_waitcnt vmcnt(0)
	v_pk_mov_b32 v[16:17], v[8:9], v[8:9] op_sel:[0,1]
	v_cmp_eq_u32_e64 s[0:1], 7, v0
	v_pk_mov_b32 v[14:15], v[6:7], v[6:7] op_sel:[0,1]
	v_pk_mov_b32 v[12:13], v[4:5], v[4:5] op_sel:[0,1]
	;; [unrolled: 1-line block ×3, first 2 shown]
	ds_write_b32 v37, v8
	s_waitcnt lgkmcnt(0)
	; wave barrier
	s_waitcnt lgkmcnt(0)
	s_and_saveexec_b64 s[2:3], s[0:1]
	s_cbranch_execz .LBB71_11
; %bb.5:
	s_and_b64 vcc, exec, s[18:19]
	s_cbranch_vccz .LBB71_8
; %bb.6:
	v_cmp_eq_u32_e32 vcc, 1, v0
	v_cndmask_b32_e32 v10, v2, v3, vcc
	v_cmp_eq_u32_e32 vcc, 2, v0
	v_cndmask_b32_e32 v10, v10, v4, vcc
	;; [unrolled: 2-line block ×3, first 2 shown]
	v_cmp_eq_u32_e32 vcc, 4, v0
	ds_read_b32 v11, v37
	v_cndmask_b32_e32 v10, v10, v6, vcc
	v_cmp_eq_u32_e32 vcc, 5, v0
	v_cndmask_b32_e32 v10, v10, v7, vcc
	v_cmp_eq_u32_e32 vcc, 6, v0
	v_cndmask_b32_e32 v10, v10, v8, vcc
	v_cmp_eq_u32_e32 vcc, 7, v0
	v_cndmask_b32_e32 v10, v10, v9, vcc
	s_waitcnt lgkmcnt(0)
	v_mul_f32_e32 v10, v10, v11
	s_cbranch_execz .LBB71_9
	s_branch .LBB71_10
.LBB71_7:
                                        ; implicit-def: $vgpr10_vgpr11_vgpr12_vgpr13_vgpr14_vgpr15_vgpr16_vgpr17
	s_cbranch_execnz .LBB71_98
	s_branch .LBB71_161
.LBB71_8:
                                        ; implicit-def: $vgpr10
.LBB71_9:
	ds_read_b32 v10, v37
.LBB71_10:
	v_mov_b32_e32 v11, 0
	ds_read_b32 v11, v11 offset:24
	s_waitcnt lgkmcnt(0)
	v_mul_f32_e32 v34, v10, v11
	v_pk_mov_b32 v[16:17], v[8:9], v[8:9] op_sel:[0,1]
	v_pk_mov_b32 v[14:15], v[6:7], v[6:7] op_sel:[0,1]
	;; [unrolled: 1-line block ×4, first 2 shown]
	v_mov_b32_e32 v16, v34
.LBB71_11:
	s_or_b64 exec, exec, s[2:3]
	v_cmp_lt_u32_e64 s[2:3], 5, v0
	ds_write_b32 v37, v15
	s_waitcnt lgkmcnt(0)
	; wave barrier
	s_waitcnt lgkmcnt(0)
	s_and_saveexec_b64 s[4:5], s[2:3]
	s_cbranch_execz .LBB71_17
; %bb.12:
	s_andn2_b64 vcc, exec, s[18:19]
	s_cbranch_vccnz .LBB71_14
; %bb.13:
	v_cmp_eq_u32_e32 vcc, 1, v0
	v_cndmask_b32_e32 v34, v10, v11, vcc
	v_cmp_eq_u32_e32 vcc, 2, v0
	v_cndmask_b32_e32 v34, v34, v12, vcc
	v_cmp_eq_u32_e32 vcc, 3, v0
	v_cndmask_b32_e32 v34, v34, v13, vcc
	v_cmp_eq_u32_e32 vcc, 4, v0
	v_cndmask_b32_e32 v34, v34, v14, vcc
	v_cmp_eq_u32_e32 vcc, 5, v0
	v_cndmask_b32_e32 v15, v34, v15, vcc
	ds_read_b32 v34, v37
	v_cmp_eq_u32_e32 vcc, 6, v0
	v_cndmask_b32_e32 v15, v15, v16, vcc
	v_cmp_eq_u32_e32 vcc, 7, v0
	v_cndmask_b32_e32 v15, v15, v17, vcc
	s_waitcnt lgkmcnt(0)
	v_mul_f32_e32 v15, v15, v34
	s_cbranch_execz .LBB71_15
	s_branch .LBB71_16
.LBB71_14:
                                        ; implicit-def: $vgpr15
.LBB71_15:
	ds_read_b32 v15, v37
.LBB71_16:
	v_mov_b32_e32 v34, 0
	ds_read2_b32 v[34:35], v34 offset0:5 offset1:14
	s_waitcnt lgkmcnt(0)
	v_fma_f32 v35, v16, v35, v15
	v_cndmask_b32_e64 v15, v15, v35, s[0:1]
	v_mul_f32_e32 v15, v15, v34
.LBB71_17:
	s_or_b64 exec, exec, s[4:5]
	v_cmp_lt_u32_e64 s[0:1], 4, v0
	ds_write_b32 v37, v14
	s_waitcnt lgkmcnt(0)
	; wave barrier
	s_waitcnt lgkmcnt(0)
	s_and_saveexec_b64 s[4:5], s[0:1]
	s_cbranch_execz .LBB71_33
; %bb.18:
	s_andn2_b64 vcc, exec, s[18:19]
	s_cbranch_vccnz .LBB71_20
; %bb.19:
	v_cmp_eq_u32_e32 vcc, 1, v0
	v_cndmask_b32_e32 v34, v10, v11, vcc
	v_cmp_eq_u32_e32 vcc, 2, v0
	v_cndmask_b32_e32 v34, v34, v12, vcc
	;; [unrolled: 2-line block ×3, first 2 shown]
	v_cmp_eq_u32_e32 vcc, 4, v0
	ds_read_b32 v35, v37
	v_cndmask_b32_e32 v34, v34, v14, vcc
	v_cmp_eq_u32_e32 vcc, 5, v0
	v_cndmask_b32_e32 v34, v34, v15, vcc
	v_cmp_eq_u32_e32 vcc, 6, v0
	v_cndmask_b32_e32 v34, v34, v16, vcc
	v_cmp_eq_u32_e32 vcc, 7, v0
	v_cndmask_b32_e32 v34, v34, v17, vcc
	s_waitcnt lgkmcnt(0)
	v_mul_f32_e32 v38, v34, v35
	s_cbranch_execz .LBB71_21
	s_branch .LBB71_22
.LBB71_20:
                                        ; implicit-def: $vgpr38
.LBB71_21:
	ds_read_b32 v38, v37
.LBB71_22:
	s_and_saveexec_b64 s[6:7], s[2:3]
	s_cbranch_execz .LBB71_32
; %bb.23:
	v_add_u32_e32 v34, -6, v0
	v_add_u32_e32 v35, -5, v0
	v_cmp_lt_u32_e32 vcc, 6, v34
	v_mov_b32_e32 v36, 5
	s_and_saveexec_b64 s[2:3], vcc
	s_cbranch_execz .LBB71_27
; %bb.24:
	v_and_b32_e32 v34, -8, v35
	v_sub_u32_e32 v34, 0, v34
	s_mov_b64 s[8:9], 12
	s_mov_b32 s12, 52
	s_mov_b64 s[10:11], 0
.LBB71_25:                              ; =>This Inner Loop Header: Depth=1
	s_add_i32 s13, s8, -7
	s_cmp_eq_u32 s13, 1
	v_mov_b32_e32 v36, s12
	s_cselect_b64 vcc, -1, 0
	s_cmp_eq_u32 s13, 2
	ds_read2_b32 v[40:41], v36 offset1:1
	ds_read2_b32 v[42:43], v36 offset0:2 offset1:3
	ds_read2_b32 v[44:45], v36 offset0:4 offset1:5
	;; [unrolled: 1-line block ×3, first 2 shown]
	v_cndmask_b32_e32 v36, v10, v11, vcc
	s_cselect_b64 vcc, -1, 0
	s_cmp_eq_u32 s13, 3
	v_cndmask_b32_e32 v36, v36, v12, vcc
	s_cselect_b64 vcc, -1, 0
	s_cmp_eq_u32 s13, 4
	v_cndmask_b32_e32 v36, v36, v13, vcc
	s_cselect_b64 vcc, -1, 0
	s_cmp_eq_u32 s13, 5
	v_cndmask_b32_e32 v36, v36, v14, vcc
	s_cselect_b64 vcc, -1, 0
	s_cmp_eq_u32 s13, 6
	v_cndmask_b32_e32 v36, v36, v15, vcc
	s_cselect_b64 vcc, -1, 0
	s_cmp_eq_u32 s13, 7
	v_cndmask_b32_e32 v36, v36, v16, vcc
	s_cselect_b64 vcc, -1, 0
	s_add_i32 s13, s8, -6
	s_cmp_eq_u32 s13, 1
	v_cndmask_b32_e32 v36, v36, v17, vcc
	s_cselect_b64 vcc, -1, 0
	s_cmp_eq_u32 s13, 2
	s_waitcnt lgkmcnt(3)
	v_fmac_f32_e32 v38, v36, v40
	v_cndmask_b32_e32 v36, v10, v11, vcc
	s_cselect_b64 vcc, -1, 0
	s_cmp_eq_u32 s13, 3
	v_cndmask_b32_e32 v36, v36, v12, vcc
	s_cselect_b64 vcc, -1, 0
	s_cmp_eq_u32 s13, 4
	v_cndmask_b32_e32 v36, v36, v13, vcc
	s_cselect_b64 vcc, -1, 0
	s_cmp_eq_u32 s13, 5
	v_cndmask_b32_e32 v36, v36, v14, vcc
	s_cselect_b64 vcc, -1, 0
	s_cmp_eq_u32 s13, 6
	v_cndmask_b32_e32 v36, v36, v15, vcc
	s_cselect_b64 vcc, -1, 0
	s_cmp_eq_u32 s13, 7
	v_cndmask_b32_e32 v36, v36, v16, vcc
	s_cselect_b64 vcc, -1, 0
	s_add_i32 s13, s8, -5
	s_cmp_eq_u32 s13, 1
	v_cndmask_b32_e32 v36, v36, v17, vcc
	s_cselect_b64 vcc, -1, 0
	s_cmp_eq_u32 s13, 2
	v_fmac_f32_e32 v38, v36, v41
	v_cndmask_b32_e32 v36, v10, v11, vcc
	s_cselect_b64 vcc, -1, 0
	s_cmp_eq_u32 s13, 3
	v_cndmask_b32_e32 v36, v36, v12, vcc
	s_cselect_b64 vcc, -1, 0
	s_cmp_eq_u32 s13, 4
	v_cndmask_b32_e32 v36, v36, v13, vcc
	s_cselect_b64 vcc, -1, 0
	s_cmp_eq_u32 s13, 5
	v_cndmask_b32_e32 v36, v36, v14, vcc
	s_cselect_b64 vcc, -1, 0
	s_cmp_eq_u32 s13, 6
	v_cndmask_b32_e32 v36, v36, v15, vcc
	s_cselect_b64 vcc, -1, 0
	s_cmp_eq_u32 s13, 7
	v_cndmask_b32_e32 v36, v36, v16, vcc
	s_cselect_b64 vcc, -1, 0
	s_add_i32 s13, s8, -4
	s_cmp_eq_u32 s13, 1
	v_cndmask_b32_e32 v36, v36, v17, vcc
	s_cselect_b64 vcc, -1, 0
	s_cmp_eq_u32 s13, 2
	s_waitcnt lgkmcnt(2)
	v_fmac_f32_e32 v38, v36, v42
	v_cndmask_b32_e32 v36, v10, v11, vcc
	s_cselect_b64 vcc, -1, 0
	s_cmp_eq_u32 s13, 3
	v_cndmask_b32_e32 v36, v36, v12, vcc
	s_cselect_b64 vcc, -1, 0
	s_cmp_eq_u32 s13, 4
	v_cndmask_b32_e32 v36, v36, v13, vcc
	s_cselect_b64 vcc, -1, 0
	s_cmp_eq_u32 s13, 5
	v_cndmask_b32_e32 v36, v36, v14, vcc
	s_cselect_b64 vcc, -1, 0
	s_cmp_eq_u32 s13, 6
	v_cndmask_b32_e32 v36, v36, v15, vcc
	s_cselect_b64 vcc, -1, 0
	s_cmp_eq_u32 s13, 7
	v_cndmask_b32_e32 v36, v36, v16, vcc
	s_cselect_b64 vcc, -1, 0
	s_add_i32 s13, s8, -3
	s_cmp_eq_u32 s13, 1
	v_cndmask_b32_e32 v36, v36, v17, vcc
	s_cselect_b64 vcc, -1, 0
	s_cmp_eq_u32 s13, 2
	v_fmac_f32_e32 v38, v36, v43
	;; [unrolled: 47-line block ×3, first 2 shown]
	v_cndmask_b32_e32 v36, v10, v11, vcc
	s_cselect_b64 vcc, -1, 0
	s_cmp_eq_u32 s13, 3
	v_cndmask_b32_e32 v36, v36, v12, vcc
	s_cselect_b64 vcc, -1, 0
	s_cmp_eq_u32 s13, 4
	;; [unrolled: 3-line block ×7, first 2 shown]
	s_waitcnt lgkmcnt(0)
	v_fmac_f32_e32 v38, v36, v46
	v_cndmask_b32_e32 v36, v10, v11, vcc
	s_cselect_b64 vcc, -1, 0
	s_cmp_eq_u32 s8, 3
	v_cndmask_b32_e32 v36, v36, v12, vcc
	s_cselect_b64 vcc, -1, 0
	s_cmp_eq_u32 s8, 4
	;; [unrolled: 3-line block ×5, first 2 shown]
	v_cndmask_b32_e32 v36, v36, v16, vcc
	s_cselect_b64 vcc, -1, 0
	v_cndmask_b32_e32 v36, v36, v17, vcc
	s_add_u32 s8, s8, 8
	v_fmac_f32_e32 v38, v36, v47
	v_add_u32_e32 v36, s8, v34
	s_addc_u32 s9, s9, 0
	s_add_i32 s12, s12, 32
	s_add_i32 s13, s8, -7
	v_cmp_eq_u32_e32 vcc, 12, v36
	s_or_b64 s[10:11], vcc, s[10:11]
	v_mov_b32_e32 v36, s13
	s_andn2_b64 exec, exec, s[10:11]
	s_cbranch_execnz .LBB71_25
; %bb.26:
	s_or_b64 exec, exec, s[10:11]
.LBB71_27:
	s_or_b64 exec, exec, s[2:3]
	v_and_b32_e32 v34, 7, v35
	v_cmp_ne_u32_e32 vcc, 0, v34
	s_and_saveexec_b64 s[8:9], vcc
	s_cbranch_execz .LBB71_31
; %bb.28:
	v_lshl_add_u32 v39, v36, 2, 32
	v_mov_b32_e32 v35, 0
	s_mov_b64 s[10:11], 0
.LBB71_29:                              ; =>This Inner Loop Header: Depth=1
	v_cmp_eq_u32_e32 vcc, 1, v36
	v_cndmask_b32_e32 v40, v10, v11, vcc
	v_add_u32_e32 v34, -1, v34
	v_cmp_eq_u32_e32 vcc, 2, v36
	v_cndmask_b32_e32 v40, v40, v12, vcc
	v_cmp_eq_u32_e32 vcc, 0, v34
	v_cmp_eq_u32_e64 s[2:3], 3, v36
	ds_read_b32 v41, v39
	v_cndmask_b32_e64 v40, v40, v13, s[2:3]
	s_or_b64 s[10:11], vcc, s[10:11]
	v_cmp_eq_u32_e32 vcc, 4, v36
	v_cndmask_b32_e32 v40, v40, v14, vcc
	v_cmp_eq_u32_e32 vcc, 5, v36
	v_cndmask_b32_e32 v40, v40, v15, vcc
	;; [unrolled: 2-line block ×3, first 2 shown]
	v_cmp_eq_u32_e32 vcc, 7, v36
	v_add_co_u32_e64 v36, s[2:3], 1, v36
	v_cndmask_b32_e32 v40, v40, v17, vcc
	v_add_u32_e32 v39, 4, v39
	v_addc_co_u32_e64 v35, s[2:3], 0, v35, s[2:3]
	s_waitcnt lgkmcnt(0)
	v_fmac_f32_e32 v38, v40, v41
	s_andn2_b64 exec, exec, s[10:11]
	s_cbranch_execnz .LBB71_29
; %bb.30:
	s_or_b64 exec, exec, s[10:11]
.LBB71_31:
	s_or_b64 exec, exec, s[8:9]
.LBB71_32:
	s_or_b64 exec, exec, s[6:7]
	v_mov_b32_e32 v14, 0
	ds_read_b32 v14, v14 offset:16
	s_waitcnt lgkmcnt(0)
	v_mul_f32_e32 v14, v38, v14
.LBB71_33:
	s_or_b64 exec, exec, s[4:5]
	v_cmp_lt_u32_e64 s[2:3], 3, v0
	ds_write_b32 v37, v13
	s_waitcnt lgkmcnt(0)
	; wave barrier
	s_waitcnt lgkmcnt(0)
	s_and_saveexec_b64 s[4:5], s[2:3]
	s_cbranch_execz .LBB71_49
; %bb.34:
	s_andn2_b64 vcc, exec, s[18:19]
	s_cbranch_vccnz .LBB71_36
; %bb.35:
	v_cmp_eq_u32_e32 vcc, 1, v0
	v_cndmask_b32_e32 v34, v10, v11, vcc
	v_cmp_eq_u32_e32 vcc, 2, v0
	v_cndmask_b32_e32 v34, v34, v12, vcc
	;; [unrolled: 2-line block ×3, first 2 shown]
	v_cmp_eq_u32_e32 vcc, 4, v0
	ds_read_b32 v35, v37
	v_cndmask_b32_e32 v34, v34, v14, vcc
	v_cmp_eq_u32_e32 vcc, 5, v0
	v_cndmask_b32_e32 v34, v34, v15, vcc
	v_cmp_eq_u32_e32 vcc, 6, v0
	;; [unrolled: 2-line block ×3, first 2 shown]
	v_cndmask_b32_e32 v34, v34, v17, vcc
	s_waitcnt lgkmcnt(0)
	v_mul_f32_e32 v38, v34, v35
	s_cbranch_execz .LBB71_37
	s_branch .LBB71_38
.LBB71_36:
                                        ; implicit-def: $vgpr38
.LBB71_37:
	ds_read_b32 v38, v37
.LBB71_38:
	s_and_saveexec_b64 s[6:7], s[0:1]
	s_cbranch_execz .LBB71_48
; %bb.39:
	v_add_u32_e32 v34, -5, v0
	v_add_u32_e32 v35, -4, v0
	v_cmp_lt_u32_e32 vcc, 6, v34
	v_mov_b32_e32 v36, 4
	s_and_saveexec_b64 s[0:1], vcc
	s_cbranch_execz .LBB71_43
; %bb.40:
	v_and_b32_e32 v34, -8, v35
	v_sub_u32_e32 v34, 0, v34
	s_mov_b64 s[8:9], 5
	s_mov_b32 s12, 48
	s_mov_b64 s[10:11], 0
.LBB71_41:                              ; =>This Inner Loop Header: Depth=1
	s_add_i32 s13, s8, -1
	s_cmp_eq_u32 s13, 1
	v_mov_b32_e32 v36, s12
	s_cselect_b64 vcc, -1, 0
	s_cmp_eq_u32 s13, 2
	ds_read_b128 v[40:43], v36
	ds_read_b128 v[44:47], v36 offset:16
	v_cndmask_b32_e32 v36, v10, v11, vcc
	s_cselect_b64 vcc, -1, 0
	s_cmp_eq_u32 s13, 3
	v_cndmask_b32_e32 v36, v36, v12, vcc
	s_cselect_b64 vcc, -1, 0
	s_cmp_eq_u32 s13, 4
	;; [unrolled: 3-line block ×7, first 2 shown]
	s_waitcnt lgkmcnt(1)
	v_fmac_f32_e32 v38, v36, v40
	v_cndmask_b32_e32 v36, v10, v11, vcc
	s_cselect_b64 vcc, -1, 0
	s_cmp_eq_u32 s8, 3
	v_cndmask_b32_e32 v36, v36, v12, vcc
	s_cselect_b64 vcc, -1, 0
	s_cmp_eq_u32 s8, 4
	v_cndmask_b32_e32 v36, v36, v13, vcc
	s_cselect_b64 vcc, -1, 0
	s_cmp_eq_u32 s8, 5
	v_cndmask_b32_e32 v36, v36, v14, vcc
	s_cselect_b64 vcc, -1, 0
	s_cmp_eq_u32 s8, 6
	v_cndmask_b32_e32 v36, v36, v15, vcc
	s_cselect_b64 vcc, -1, 0
	s_cmp_eq_u32 s8, 7
	v_cndmask_b32_e32 v36, v36, v16, vcc
	s_cselect_b64 vcc, -1, 0
	s_add_i32 s13, s8, 1
	s_cmp_eq_u32 s13, 1
	v_cndmask_b32_e32 v36, v36, v17, vcc
	s_cselect_b64 vcc, -1, 0
	s_cmp_eq_u32 s13, 2
	v_fmac_f32_e32 v38, v36, v41
	v_cndmask_b32_e32 v36, v10, v11, vcc
	s_cselect_b64 vcc, -1, 0
	s_cmp_eq_u32 s13, 3
	v_cndmask_b32_e32 v36, v36, v12, vcc
	s_cselect_b64 vcc, -1, 0
	s_cmp_eq_u32 s13, 4
	v_cndmask_b32_e32 v36, v36, v13, vcc
	s_cselect_b64 vcc, -1, 0
	s_cmp_eq_u32 s13, 5
	v_cndmask_b32_e32 v36, v36, v14, vcc
	s_cselect_b64 vcc, -1, 0
	s_cmp_eq_u32 s13, 6
	v_cndmask_b32_e32 v36, v36, v15, vcc
	s_cselect_b64 vcc, -1, 0
	s_cmp_eq_u32 s13, 7
	v_cndmask_b32_e32 v36, v36, v16, vcc
	s_cselect_b64 vcc, -1, 0
	s_add_i32 s13, s8, 2
	s_cmp_eq_u32 s13, 1
	v_cndmask_b32_e32 v36, v36, v17, vcc
	s_cselect_b64 vcc, -1, 0
	s_cmp_eq_u32 s13, 2
	;; [unrolled: 23-line block ×4, first 2 shown]
	s_waitcnt lgkmcnt(0)
	v_fmac_f32_e32 v38, v36, v44
	v_cndmask_b32_e32 v36, v10, v11, vcc
	s_cselect_b64 vcc, -1, 0
	s_cmp_eq_u32 s13, 3
	v_cndmask_b32_e32 v36, v36, v12, vcc
	s_cselect_b64 vcc, -1, 0
	s_cmp_eq_u32 s13, 4
	v_cndmask_b32_e32 v36, v36, v13, vcc
	s_cselect_b64 vcc, -1, 0
	s_cmp_eq_u32 s13, 5
	v_cndmask_b32_e32 v36, v36, v14, vcc
	s_cselect_b64 vcc, -1, 0
	s_cmp_eq_u32 s13, 6
	v_cndmask_b32_e32 v36, v36, v15, vcc
	s_cselect_b64 vcc, -1, 0
	s_cmp_eq_u32 s13, 7
	v_cndmask_b32_e32 v36, v36, v16, vcc
	s_cselect_b64 vcc, -1, 0
	s_add_i32 s13, s8, 5
	s_cmp_eq_u32 s13, 1
	v_cndmask_b32_e32 v36, v36, v17, vcc
	s_cselect_b64 vcc, -1, 0
	s_cmp_eq_u32 s13, 2
	v_fmac_f32_e32 v38, v36, v45
	v_cndmask_b32_e32 v36, v10, v11, vcc
	s_cselect_b64 vcc, -1, 0
	s_cmp_eq_u32 s13, 3
	v_cndmask_b32_e32 v36, v36, v12, vcc
	s_cselect_b64 vcc, -1, 0
	s_cmp_eq_u32 s13, 4
	;; [unrolled: 3-line block ×5, first 2 shown]
	v_cndmask_b32_e32 v36, v36, v16, vcc
	s_cselect_b64 vcc, -1, 0
	s_add_i32 s13, s8, 6
	s_cmp_eq_u32 s13, 1
	v_cndmask_b32_e32 v36, v36, v17, vcc
	s_cselect_b64 vcc, -1, 0
	s_cmp_eq_u32 s13, 2
	v_fmac_f32_e32 v38, v36, v46
	v_cndmask_b32_e32 v36, v10, v11, vcc
	s_cselect_b64 vcc, -1, 0
	s_cmp_eq_u32 s13, 3
	v_cndmask_b32_e32 v36, v36, v12, vcc
	s_cselect_b64 vcc, -1, 0
	s_cmp_eq_u32 s13, 4
	;; [unrolled: 3-line block ×5, first 2 shown]
	v_cndmask_b32_e32 v36, v36, v16, vcc
	s_cselect_b64 vcc, -1, 0
	v_cndmask_b32_e32 v36, v36, v17, vcc
	s_add_u32 s8, s8, 8
	v_fmac_f32_e32 v38, v36, v47
	v_add_u32_e32 v36, s8, v34
	s_addc_u32 s9, s9, 0
	s_add_i32 s12, s12, 32
	s_add_i32 s13, s8, -1
	v_cmp_eq_u32_e32 vcc, 5, v36
	s_or_b64 s[10:11], vcc, s[10:11]
	v_mov_b32_e32 v36, s13
	s_andn2_b64 exec, exec, s[10:11]
	s_cbranch_execnz .LBB71_41
; %bb.42:
	s_or_b64 exec, exec, s[10:11]
.LBB71_43:
	s_or_b64 exec, exec, s[0:1]
	v_and_b32_e32 v34, 7, v35
	v_cmp_ne_u32_e32 vcc, 0, v34
	s_and_saveexec_b64 s[8:9], vcc
	s_cbranch_execz .LBB71_47
; %bb.44:
	v_lshl_add_u32 v39, v36, 2, 32
	v_mov_b32_e32 v35, 0
	s_mov_b64 s[10:11], 0
.LBB71_45:                              ; =>This Inner Loop Header: Depth=1
	v_cmp_eq_u32_e32 vcc, 1, v36
	v_cndmask_b32_e32 v40, v10, v11, vcc
	v_add_u32_e32 v34, -1, v34
	v_cmp_eq_u32_e32 vcc, 2, v36
	v_cndmask_b32_e32 v40, v40, v12, vcc
	v_cmp_eq_u32_e32 vcc, 0, v34
	v_cmp_eq_u32_e64 s[0:1], 3, v36
	ds_read_b32 v41, v39
	v_cndmask_b32_e64 v40, v40, v13, s[0:1]
	s_or_b64 s[10:11], vcc, s[10:11]
	v_cmp_eq_u32_e32 vcc, 4, v36
	v_cndmask_b32_e32 v40, v40, v14, vcc
	v_cmp_eq_u32_e32 vcc, 5, v36
	v_cndmask_b32_e32 v40, v40, v15, vcc
	;; [unrolled: 2-line block ×3, first 2 shown]
	v_cmp_eq_u32_e32 vcc, 7, v36
	v_add_co_u32_e64 v36, s[0:1], 1, v36
	v_cndmask_b32_e32 v40, v40, v17, vcc
	v_add_u32_e32 v39, 4, v39
	v_addc_co_u32_e64 v35, s[0:1], 0, v35, s[0:1]
	s_waitcnt lgkmcnt(0)
	v_fmac_f32_e32 v38, v40, v41
	s_andn2_b64 exec, exec, s[10:11]
	s_cbranch_execnz .LBB71_45
; %bb.46:
	s_or_b64 exec, exec, s[10:11]
.LBB71_47:
	s_or_b64 exec, exec, s[8:9]
.LBB71_48:
	s_or_b64 exec, exec, s[6:7]
	v_mov_b32_e32 v13, 0
	ds_read_b32 v13, v13 offset:12
	s_waitcnt lgkmcnt(0)
	v_mul_f32_e32 v13, v38, v13
.LBB71_49:
	s_or_b64 exec, exec, s[4:5]
	v_cmp_lt_u32_e64 s[0:1], 2, v0
	ds_write_b32 v37, v12
	s_waitcnt lgkmcnt(0)
	; wave barrier
	s_waitcnt lgkmcnt(0)
	s_and_saveexec_b64 s[4:5], s[0:1]
	s_cbranch_execz .LBB71_65
; %bb.50:
	s_andn2_b64 vcc, exec, s[18:19]
	s_cbranch_vccnz .LBB71_52
; %bb.51:
	v_cmp_eq_u32_e32 vcc, 1, v0
	v_cndmask_b32_e32 v34, v10, v11, vcc
	v_cmp_eq_u32_e32 vcc, 2, v0
	v_cndmask_b32_e32 v34, v34, v12, vcc
	;; [unrolled: 2-line block ×3, first 2 shown]
	v_cmp_eq_u32_e32 vcc, 4, v0
	ds_read_b32 v35, v37
	v_cndmask_b32_e32 v34, v34, v14, vcc
	v_cmp_eq_u32_e32 vcc, 5, v0
	v_cndmask_b32_e32 v34, v34, v15, vcc
	v_cmp_eq_u32_e32 vcc, 6, v0
	;; [unrolled: 2-line block ×3, first 2 shown]
	v_cndmask_b32_e32 v34, v34, v17, vcc
	s_waitcnt lgkmcnt(0)
	v_mul_f32_e32 v38, v34, v35
	s_cbranch_execz .LBB71_53
	s_branch .LBB71_54
.LBB71_52:
                                        ; implicit-def: $vgpr38
.LBB71_53:
	ds_read_b32 v38, v37
.LBB71_54:
	s_and_saveexec_b64 s[6:7], s[2:3]
	s_cbranch_execz .LBB71_64
; %bb.55:
	v_add_u32_e32 v34, -4, v0
	v_add_u32_e32 v35, -3, v0
	v_cmp_lt_u32_e32 vcc, 6, v34
	v_mov_b32_e32 v36, 3
	s_and_saveexec_b64 s[2:3], vcc
	s_cbranch_execz .LBB71_59
; %bb.56:
	v_and_b32_e32 v34, -8, v35
	v_sub_u32_e32 v34, 0, v34
	s_mov_b64 s[8:9], 10
	s_mov_b32 s12, 44
	s_mov_b64 s[10:11], 0
.LBB71_57:                              ; =>This Inner Loop Header: Depth=1
	s_add_i32 s13, s8, -7
	s_cmp_eq_u32 s13, 1
	v_mov_b32_e32 v36, s12
	s_cselect_b64 vcc, -1, 0
	s_cmp_eq_u32 s13, 2
	ds_read2_b32 v[40:41], v36 offset1:1
	ds_read2_b32 v[42:43], v36 offset0:2 offset1:3
	ds_read2_b32 v[44:45], v36 offset0:4 offset1:5
	;; [unrolled: 1-line block ×3, first 2 shown]
	v_cndmask_b32_e32 v36, v10, v11, vcc
	s_cselect_b64 vcc, -1, 0
	s_cmp_eq_u32 s13, 3
	v_cndmask_b32_e32 v36, v36, v12, vcc
	s_cselect_b64 vcc, -1, 0
	s_cmp_eq_u32 s13, 4
	v_cndmask_b32_e32 v36, v36, v13, vcc
	s_cselect_b64 vcc, -1, 0
	s_cmp_eq_u32 s13, 5
	v_cndmask_b32_e32 v36, v36, v14, vcc
	s_cselect_b64 vcc, -1, 0
	s_cmp_eq_u32 s13, 6
	v_cndmask_b32_e32 v36, v36, v15, vcc
	s_cselect_b64 vcc, -1, 0
	s_cmp_eq_u32 s13, 7
	v_cndmask_b32_e32 v36, v36, v16, vcc
	s_cselect_b64 vcc, -1, 0
	s_add_i32 s13, s8, -6
	s_cmp_eq_u32 s13, 1
	v_cndmask_b32_e32 v36, v36, v17, vcc
	s_cselect_b64 vcc, -1, 0
	s_cmp_eq_u32 s13, 2
	s_waitcnt lgkmcnt(3)
	v_fmac_f32_e32 v38, v36, v40
	v_cndmask_b32_e32 v36, v10, v11, vcc
	s_cselect_b64 vcc, -1, 0
	s_cmp_eq_u32 s13, 3
	v_cndmask_b32_e32 v36, v36, v12, vcc
	s_cselect_b64 vcc, -1, 0
	s_cmp_eq_u32 s13, 4
	v_cndmask_b32_e32 v36, v36, v13, vcc
	s_cselect_b64 vcc, -1, 0
	s_cmp_eq_u32 s13, 5
	v_cndmask_b32_e32 v36, v36, v14, vcc
	s_cselect_b64 vcc, -1, 0
	s_cmp_eq_u32 s13, 6
	v_cndmask_b32_e32 v36, v36, v15, vcc
	s_cselect_b64 vcc, -1, 0
	s_cmp_eq_u32 s13, 7
	v_cndmask_b32_e32 v36, v36, v16, vcc
	s_cselect_b64 vcc, -1, 0
	s_add_i32 s13, s8, -5
	s_cmp_eq_u32 s13, 1
	v_cndmask_b32_e32 v36, v36, v17, vcc
	s_cselect_b64 vcc, -1, 0
	s_cmp_eq_u32 s13, 2
	v_fmac_f32_e32 v38, v36, v41
	v_cndmask_b32_e32 v36, v10, v11, vcc
	s_cselect_b64 vcc, -1, 0
	s_cmp_eq_u32 s13, 3
	v_cndmask_b32_e32 v36, v36, v12, vcc
	s_cselect_b64 vcc, -1, 0
	s_cmp_eq_u32 s13, 4
	v_cndmask_b32_e32 v36, v36, v13, vcc
	s_cselect_b64 vcc, -1, 0
	s_cmp_eq_u32 s13, 5
	v_cndmask_b32_e32 v36, v36, v14, vcc
	s_cselect_b64 vcc, -1, 0
	s_cmp_eq_u32 s13, 6
	v_cndmask_b32_e32 v36, v36, v15, vcc
	s_cselect_b64 vcc, -1, 0
	s_cmp_eq_u32 s13, 7
	v_cndmask_b32_e32 v36, v36, v16, vcc
	s_cselect_b64 vcc, -1, 0
	s_add_i32 s13, s8, -4
	s_cmp_eq_u32 s13, 1
	v_cndmask_b32_e32 v36, v36, v17, vcc
	s_cselect_b64 vcc, -1, 0
	s_cmp_eq_u32 s13, 2
	s_waitcnt lgkmcnt(2)
	v_fmac_f32_e32 v38, v36, v42
	v_cndmask_b32_e32 v36, v10, v11, vcc
	s_cselect_b64 vcc, -1, 0
	s_cmp_eq_u32 s13, 3
	v_cndmask_b32_e32 v36, v36, v12, vcc
	s_cselect_b64 vcc, -1, 0
	s_cmp_eq_u32 s13, 4
	v_cndmask_b32_e32 v36, v36, v13, vcc
	s_cselect_b64 vcc, -1, 0
	s_cmp_eq_u32 s13, 5
	v_cndmask_b32_e32 v36, v36, v14, vcc
	s_cselect_b64 vcc, -1, 0
	s_cmp_eq_u32 s13, 6
	v_cndmask_b32_e32 v36, v36, v15, vcc
	s_cselect_b64 vcc, -1, 0
	s_cmp_eq_u32 s13, 7
	v_cndmask_b32_e32 v36, v36, v16, vcc
	s_cselect_b64 vcc, -1, 0
	s_add_i32 s13, s8, -3
	s_cmp_eq_u32 s13, 1
	v_cndmask_b32_e32 v36, v36, v17, vcc
	s_cselect_b64 vcc, -1, 0
	s_cmp_eq_u32 s13, 2
	v_fmac_f32_e32 v38, v36, v43
	;; [unrolled: 47-line block ×3, first 2 shown]
	v_cndmask_b32_e32 v36, v10, v11, vcc
	s_cselect_b64 vcc, -1, 0
	s_cmp_eq_u32 s13, 3
	v_cndmask_b32_e32 v36, v36, v12, vcc
	s_cselect_b64 vcc, -1, 0
	s_cmp_eq_u32 s13, 4
	;; [unrolled: 3-line block ×7, first 2 shown]
	s_waitcnt lgkmcnt(0)
	v_fmac_f32_e32 v38, v36, v46
	v_cndmask_b32_e32 v36, v10, v11, vcc
	s_cselect_b64 vcc, -1, 0
	s_cmp_eq_u32 s8, 3
	v_cndmask_b32_e32 v36, v36, v12, vcc
	s_cselect_b64 vcc, -1, 0
	s_cmp_eq_u32 s8, 4
	;; [unrolled: 3-line block ×5, first 2 shown]
	v_cndmask_b32_e32 v36, v36, v16, vcc
	s_cselect_b64 vcc, -1, 0
	v_cndmask_b32_e32 v36, v36, v17, vcc
	s_add_u32 s8, s8, 8
	v_fmac_f32_e32 v38, v36, v47
	v_add_u32_e32 v36, s8, v34
	s_addc_u32 s9, s9, 0
	s_add_i32 s12, s12, 32
	s_add_i32 s13, s8, -7
	v_cmp_eq_u32_e32 vcc, 10, v36
	s_or_b64 s[10:11], vcc, s[10:11]
	v_mov_b32_e32 v36, s13
	s_andn2_b64 exec, exec, s[10:11]
	s_cbranch_execnz .LBB71_57
; %bb.58:
	s_or_b64 exec, exec, s[10:11]
.LBB71_59:
	s_or_b64 exec, exec, s[2:3]
	v_and_b32_e32 v34, 7, v35
	v_cmp_ne_u32_e32 vcc, 0, v34
	s_and_saveexec_b64 s[8:9], vcc
	s_cbranch_execz .LBB71_63
; %bb.60:
	v_lshl_add_u32 v39, v36, 2, 32
	v_mov_b32_e32 v35, 0
	s_mov_b64 s[10:11], 0
.LBB71_61:                              ; =>This Inner Loop Header: Depth=1
	v_cmp_eq_u32_e32 vcc, 1, v36
	v_cndmask_b32_e32 v40, v10, v11, vcc
	v_add_u32_e32 v34, -1, v34
	v_cmp_eq_u32_e32 vcc, 2, v36
	v_cndmask_b32_e32 v40, v40, v12, vcc
	v_cmp_eq_u32_e32 vcc, 0, v34
	v_cmp_eq_u32_e64 s[2:3], 3, v36
	ds_read_b32 v41, v39
	v_cndmask_b32_e64 v40, v40, v13, s[2:3]
	s_or_b64 s[10:11], vcc, s[10:11]
	v_cmp_eq_u32_e32 vcc, 4, v36
	v_cndmask_b32_e32 v40, v40, v14, vcc
	v_cmp_eq_u32_e32 vcc, 5, v36
	v_cndmask_b32_e32 v40, v40, v15, vcc
	;; [unrolled: 2-line block ×3, first 2 shown]
	v_cmp_eq_u32_e32 vcc, 7, v36
	v_add_co_u32_e64 v36, s[2:3], 1, v36
	v_cndmask_b32_e32 v40, v40, v17, vcc
	v_add_u32_e32 v39, 4, v39
	v_addc_co_u32_e64 v35, s[2:3], 0, v35, s[2:3]
	s_waitcnt lgkmcnt(0)
	v_fmac_f32_e32 v38, v40, v41
	s_andn2_b64 exec, exec, s[10:11]
	s_cbranch_execnz .LBB71_61
; %bb.62:
	s_or_b64 exec, exec, s[10:11]
.LBB71_63:
	s_or_b64 exec, exec, s[8:9]
.LBB71_64:
	s_or_b64 exec, exec, s[6:7]
	v_mov_b32_e32 v12, 0
	ds_read_b32 v12, v12 offset:8
	s_waitcnt lgkmcnt(0)
	v_mul_f32_e32 v12, v38, v12
.LBB71_65:
	s_or_b64 exec, exec, s[4:5]
	v_cmp_lt_u32_e64 s[2:3], 1, v0
	ds_write_b32 v37, v11
	s_waitcnt lgkmcnt(0)
	; wave barrier
	s_waitcnt lgkmcnt(0)
	s_and_saveexec_b64 s[4:5], s[2:3]
	s_cbranch_execz .LBB71_81
; %bb.66:
	s_andn2_b64 vcc, exec, s[18:19]
	s_cbranch_vccnz .LBB71_68
; %bb.67:
	v_cmp_eq_u32_e32 vcc, 1, v0
	v_cndmask_b32_e32 v34, v10, v11, vcc
	v_cmp_eq_u32_e32 vcc, 2, v0
	v_cndmask_b32_e32 v34, v34, v12, vcc
	;; [unrolled: 2-line block ×3, first 2 shown]
	v_cmp_eq_u32_e32 vcc, 4, v0
	ds_read_b32 v35, v37
	v_cndmask_b32_e32 v34, v34, v14, vcc
	v_cmp_eq_u32_e32 vcc, 5, v0
	v_cndmask_b32_e32 v34, v34, v15, vcc
	v_cmp_eq_u32_e32 vcc, 6, v0
	;; [unrolled: 2-line block ×3, first 2 shown]
	v_cndmask_b32_e32 v34, v34, v17, vcc
	s_waitcnt lgkmcnt(0)
	v_mul_f32_e32 v38, v34, v35
	s_cbranch_execz .LBB71_69
	s_branch .LBB71_70
.LBB71_68:
                                        ; implicit-def: $vgpr38
.LBB71_69:
	ds_read_b32 v38, v37
.LBB71_70:
	s_and_saveexec_b64 s[6:7], s[0:1]
	s_cbranch_execz .LBB71_80
; %bb.71:
	v_add_u32_e32 v34, -3, v0
	v_add_u32_e32 v35, -2, v0
	v_cmp_lt_u32_e32 vcc, 6, v34
	v_mov_b32_e32 v36, 2
	s_and_saveexec_b64 s[0:1], vcc
	s_cbranch_execz .LBB71_75
; %bb.72:
	v_and_b32_e32 v34, -8, v35
	v_sub_u32_e32 v34, 0, v34
	s_mov_b64 s[8:9], 9
	s_mov_b32 s12, 40
	s_mov_b64 s[10:11], 0
.LBB71_73:                              ; =>This Inner Loop Header: Depth=1
	s_add_i32 s13, s8, -7
	s_cmp_eq_u32 s13, 1
	v_mov_b32_e32 v36, s12
	s_cselect_b64 vcc, -1, 0
	s_cmp_eq_u32 s13, 2
	ds_read2_b64 v[40:43], v36 offset1:1
	ds_read2_b64 v[44:47], v36 offset0:2 offset1:3
	v_cndmask_b32_e32 v36, v10, v11, vcc
	s_cselect_b64 vcc, -1, 0
	s_cmp_eq_u32 s13, 3
	v_cndmask_b32_e32 v36, v36, v12, vcc
	s_cselect_b64 vcc, -1, 0
	s_cmp_eq_u32 s13, 4
	;; [unrolled: 3-line block ×5, first 2 shown]
	v_cndmask_b32_e32 v36, v36, v16, vcc
	s_cselect_b64 vcc, -1, 0
	s_add_i32 s13, s8, -6
	s_cmp_eq_u32 s13, 1
	v_cndmask_b32_e32 v36, v36, v17, vcc
	s_cselect_b64 vcc, -1, 0
	s_cmp_eq_u32 s13, 2
	s_waitcnt lgkmcnt(1)
	v_fmac_f32_e32 v38, v36, v40
	v_cndmask_b32_e32 v36, v10, v11, vcc
	s_cselect_b64 vcc, -1, 0
	s_cmp_eq_u32 s13, 3
	v_cndmask_b32_e32 v36, v36, v12, vcc
	s_cselect_b64 vcc, -1, 0
	s_cmp_eq_u32 s13, 4
	v_cndmask_b32_e32 v36, v36, v13, vcc
	s_cselect_b64 vcc, -1, 0
	s_cmp_eq_u32 s13, 5
	v_cndmask_b32_e32 v36, v36, v14, vcc
	s_cselect_b64 vcc, -1, 0
	s_cmp_eq_u32 s13, 6
	v_cndmask_b32_e32 v36, v36, v15, vcc
	s_cselect_b64 vcc, -1, 0
	s_cmp_eq_u32 s13, 7
	v_cndmask_b32_e32 v36, v36, v16, vcc
	s_cselect_b64 vcc, -1, 0
	s_add_i32 s13, s8, -5
	s_cmp_eq_u32 s13, 1
	v_cndmask_b32_e32 v36, v36, v17, vcc
	s_cselect_b64 vcc, -1, 0
	s_cmp_eq_u32 s13, 2
	v_fmac_f32_e32 v38, v36, v41
	v_cndmask_b32_e32 v36, v10, v11, vcc
	s_cselect_b64 vcc, -1, 0
	s_cmp_eq_u32 s13, 3
	v_cndmask_b32_e32 v36, v36, v12, vcc
	s_cselect_b64 vcc, -1, 0
	s_cmp_eq_u32 s13, 4
	v_cndmask_b32_e32 v36, v36, v13, vcc
	s_cselect_b64 vcc, -1, 0
	s_cmp_eq_u32 s13, 5
	v_cndmask_b32_e32 v36, v36, v14, vcc
	s_cselect_b64 vcc, -1, 0
	s_cmp_eq_u32 s13, 6
	v_cndmask_b32_e32 v36, v36, v15, vcc
	s_cselect_b64 vcc, -1, 0
	s_cmp_eq_u32 s13, 7
	v_cndmask_b32_e32 v36, v36, v16, vcc
	s_cselect_b64 vcc, -1, 0
	s_add_i32 s13, s8, -4
	s_cmp_eq_u32 s13, 1
	v_cndmask_b32_e32 v36, v36, v17, vcc
	s_cselect_b64 vcc, -1, 0
	s_cmp_eq_u32 s13, 2
	;; [unrolled: 23-line block ×4, first 2 shown]
	s_waitcnt lgkmcnt(0)
	v_fmac_f32_e32 v38, v36, v44
	v_cndmask_b32_e32 v36, v10, v11, vcc
	s_cselect_b64 vcc, -1, 0
	s_cmp_eq_u32 s13, 3
	v_cndmask_b32_e32 v36, v36, v12, vcc
	s_cselect_b64 vcc, -1, 0
	s_cmp_eq_u32 s13, 4
	;; [unrolled: 3-line block ×5, first 2 shown]
	v_cndmask_b32_e32 v36, v36, v16, vcc
	s_cselect_b64 vcc, -1, 0
	s_add_i32 s13, s8, -1
	s_cmp_eq_u32 s13, 1
	v_cndmask_b32_e32 v36, v36, v17, vcc
	s_cselect_b64 vcc, -1, 0
	s_cmp_eq_u32 s13, 2
	v_fmac_f32_e32 v38, v36, v45
	v_cndmask_b32_e32 v36, v10, v11, vcc
	s_cselect_b64 vcc, -1, 0
	s_cmp_eq_u32 s13, 3
	v_cndmask_b32_e32 v36, v36, v12, vcc
	s_cselect_b64 vcc, -1, 0
	s_cmp_eq_u32 s13, 4
	;; [unrolled: 3-line block ×7, first 2 shown]
	v_fmac_f32_e32 v38, v36, v46
	v_cndmask_b32_e32 v36, v10, v11, vcc
	s_cselect_b64 vcc, -1, 0
	s_cmp_eq_u32 s8, 3
	v_cndmask_b32_e32 v36, v36, v12, vcc
	s_cselect_b64 vcc, -1, 0
	s_cmp_eq_u32 s8, 4
	;; [unrolled: 3-line block ×5, first 2 shown]
	v_cndmask_b32_e32 v36, v36, v16, vcc
	s_cselect_b64 vcc, -1, 0
	v_cndmask_b32_e32 v36, v36, v17, vcc
	s_add_u32 s8, s8, 8
	v_fmac_f32_e32 v38, v36, v47
	v_add_u32_e32 v36, s8, v34
	s_addc_u32 s9, s9, 0
	s_add_i32 s12, s12, 32
	s_add_i32 s13, s8, -7
	v_cmp_eq_u32_e32 vcc, 9, v36
	s_or_b64 s[10:11], vcc, s[10:11]
	v_mov_b32_e32 v36, s13
	s_andn2_b64 exec, exec, s[10:11]
	s_cbranch_execnz .LBB71_73
; %bb.74:
	s_or_b64 exec, exec, s[10:11]
.LBB71_75:
	s_or_b64 exec, exec, s[0:1]
	v_and_b32_e32 v34, 7, v35
	v_cmp_ne_u32_e32 vcc, 0, v34
	s_and_saveexec_b64 s[8:9], vcc
	s_cbranch_execz .LBB71_79
; %bb.76:
	v_lshl_add_u32 v39, v36, 2, 32
	v_mov_b32_e32 v35, 0
	s_mov_b64 s[10:11], 0
.LBB71_77:                              ; =>This Inner Loop Header: Depth=1
	v_cmp_eq_u32_e32 vcc, 1, v36
	v_cndmask_b32_e32 v40, v10, v11, vcc
	v_add_u32_e32 v34, -1, v34
	v_cmp_eq_u32_e32 vcc, 2, v36
	v_cndmask_b32_e32 v40, v40, v12, vcc
	v_cmp_eq_u32_e32 vcc, 0, v34
	v_cmp_eq_u32_e64 s[0:1], 3, v36
	ds_read_b32 v41, v39
	v_cndmask_b32_e64 v40, v40, v13, s[0:1]
	s_or_b64 s[10:11], vcc, s[10:11]
	v_cmp_eq_u32_e32 vcc, 4, v36
	v_cndmask_b32_e32 v40, v40, v14, vcc
	v_cmp_eq_u32_e32 vcc, 5, v36
	v_cndmask_b32_e32 v40, v40, v15, vcc
	v_cmp_eq_u32_e32 vcc, 6, v36
	v_cndmask_b32_e32 v40, v40, v16, vcc
	v_cmp_eq_u32_e32 vcc, 7, v36
	v_add_co_u32_e64 v36, s[0:1], 1, v36
	v_cndmask_b32_e32 v40, v40, v17, vcc
	v_add_u32_e32 v39, 4, v39
	v_addc_co_u32_e64 v35, s[0:1], 0, v35, s[0:1]
	s_waitcnt lgkmcnt(0)
	v_fmac_f32_e32 v38, v40, v41
	s_andn2_b64 exec, exec, s[10:11]
	s_cbranch_execnz .LBB71_77
; %bb.78:
	s_or_b64 exec, exec, s[10:11]
.LBB71_79:
	s_or_b64 exec, exec, s[8:9]
.LBB71_80:
	s_or_b64 exec, exec, s[6:7]
	v_mov_b32_e32 v11, 0
	ds_read_b32 v11, v11 offset:4
	s_waitcnt lgkmcnt(0)
	v_mul_f32_e32 v11, v38, v11
.LBB71_81:
	s_or_b64 exec, exec, s[4:5]
	v_cmp_ne_u32_e32 vcc, 0, v0
	ds_write_b32 v37, v10
	s_waitcnt lgkmcnt(0)
	; wave barrier
	s_waitcnt lgkmcnt(0)
	s_and_saveexec_b64 s[4:5], vcc
	s_cbranch_execz .LBB71_97
; %bb.82:
	s_andn2_b64 vcc, exec, s[18:19]
	s_cbranch_vccnz .LBB71_84
; %bb.83:
	v_cmp_eq_u32_e32 vcc, 1, v0
	v_cndmask_b32_e32 v34, v10, v11, vcc
	v_cmp_eq_u32_e32 vcc, 2, v0
	v_cndmask_b32_e32 v34, v34, v12, vcc
	;; [unrolled: 2-line block ×3, first 2 shown]
	v_cmp_eq_u32_e32 vcc, 4, v0
	ds_read_b32 v35, v37
	v_cndmask_b32_e32 v34, v34, v14, vcc
	v_cmp_eq_u32_e32 vcc, 5, v0
	v_cndmask_b32_e32 v34, v34, v15, vcc
	v_cmp_eq_u32_e32 vcc, 6, v0
	;; [unrolled: 2-line block ×3, first 2 shown]
	v_cndmask_b32_e32 v34, v34, v17, vcc
	s_waitcnt lgkmcnt(0)
	v_mul_f32_e32 v38, v34, v35
	s_cbranch_execz .LBB71_85
	s_branch .LBB71_86
.LBB71_84:
                                        ; implicit-def: $vgpr38
.LBB71_85:
	ds_read_b32 v38, v37
.LBB71_86:
	s_and_saveexec_b64 s[6:7], s[2:3]
	s_cbranch_execz .LBB71_96
; %bb.87:
	v_add_u32_e32 v34, -2, v0
	v_add_u32_e32 v35, -1, v0
	v_cmp_lt_u32_e32 vcc, 6, v34
	v_mov_b32_e32 v36, 1
	s_and_saveexec_b64 s[0:1], vcc
	s_cbranch_execz .LBB71_91
; %bb.88:
	v_and_b32_e32 v34, -8, v35
	v_sub_u32_e32 v34, 0, v34
	s_mov_b64 s[2:3], 8
	s_mov_b32 s10, 36
	s_mov_b64 s[8:9], 0
.LBB71_89:                              ; =>This Inner Loop Header: Depth=1
	s_add_i32 s11, s2, -7
	s_cmp_eq_u32 s11, 1
	v_mov_b32_e32 v36, s10
	s_cselect_b64 vcc, -1, 0
	s_cmp_eq_u32 s11, 2
	ds_read2_b32 v[40:41], v36 offset1:1
	ds_read2_b32 v[42:43], v36 offset0:2 offset1:3
	ds_read2_b32 v[44:45], v36 offset0:4 offset1:5
	ds_read2_b32 v[46:47], v36 offset0:6 offset1:7
	v_cndmask_b32_e32 v36, v10, v11, vcc
	s_cselect_b64 vcc, -1, 0
	s_cmp_eq_u32 s11, 3
	v_cndmask_b32_e32 v36, v36, v12, vcc
	s_cselect_b64 vcc, -1, 0
	s_cmp_eq_u32 s11, 4
	v_cndmask_b32_e32 v36, v36, v13, vcc
	s_cselect_b64 vcc, -1, 0
	s_cmp_eq_u32 s11, 5
	v_cndmask_b32_e32 v36, v36, v14, vcc
	s_cselect_b64 vcc, -1, 0
	s_cmp_eq_u32 s11, 6
	v_cndmask_b32_e32 v36, v36, v15, vcc
	s_cselect_b64 vcc, -1, 0
	s_cmp_eq_u32 s11, 7
	v_cndmask_b32_e32 v36, v36, v16, vcc
	s_cselect_b64 vcc, -1, 0
	s_add_i32 s11, s2, -6
	s_cmp_eq_u32 s11, 1
	v_cndmask_b32_e32 v36, v36, v17, vcc
	s_cselect_b64 vcc, -1, 0
	s_cmp_eq_u32 s11, 2
	s_waitcnt lgkmcnt(3)
	v_fmac_f32_e32 v38, v36, v40
	v_cndmask_b32_e32 v36, v10, v11, vcc
	s_cselect_b64 vcc, -1, 0
	s_cmp_eq_u32 s11, 3
	v_cndmask_b32_e32 v36, v36, v12, vcc
	s_cselect_b64 vcc, -1, 0
	s_cmp_eq_u32 s11, 4
	v_cndmask_b32_e32 v36, v36, v13, vcc
	s_cselect_b64 vcc, -1, 0
	s_cmp_eq_u32 s11, 5
	v_cndmask_b32_e32 v36, v36, v14, vcc
	s_cselect_b64 vcc, -1, 0
	s_cmp_eq_u32 s11, 6
	v_cndmask_b32_e32 v36, v36, v15, vcc
	s_cselect_b64 vcc, -1, 0
	s_cmp_eq_u32 s11, 7
	v_cndmask_b32_e32 v36, v36, v16, vcc
	s_cselect_b64 vcc, -1, 0
	s_add_i32 s11, s2, -5
	s_cmp_eq_u32 s11, 1
	v_cndmask_b32_e32 v36, v36, v17, vcc
	s_cselect_b64 vcc, -1, 0
	s_cmp_eq_u32 s11, 2
	v_fmac_f32_e32 v38, v36, v41
	v_cndmask_b32_e32 v36, v10, v11, vcc
	s_cselect_b64 vcc, -1, 0
	s_cmp_eq_u32 s11, 3
	v_cndmask_b32_e32 v36, v36, v12, vcc
	s_cselect_b64 vcc, -1, 0
	s_cmp_eq_u32 s11, 4
	v_cndmask_b32_e32 v36, v36, v13, vcc
	s_cselect_b64 vcc, -1, 0
	s_cmp_eq_u32 s11, 5
	v_cndmask_b32_e32 v36, v36, v14, vcc
	s_cselect_b64 vcc, -1, 0
	s_cmp_eq_u32 s11, 6
	v_cndmask_b32_e32 v36, v36, v15, vcc
	s_cselect_b64 vcc, -1, 0
	s_cmp_eq_u32 s11, 7
	v_cndmask_b32_e32 v36, v36, v16, vcc
	s_cselect_b64 vcc, -1, 0
	s_add_i32 s11, s2, -4
	s_cmp_eq_u32 s11, 1
	v_cndmask_b32_e32 v36, v36, v17, vcc
	s_cselect_b64 vcc, -1, 0
	s_cmp_eq_u32 s11, 2
	s_waitcnt lgkmcnt(2)
	v_fmac_f32_e32 v38, v36, v42
	v_cndmask_b32_e32 v36, v10, v11, vcc
	s_cselect_b64 vcc, -1, 0
	s_cmp_eq_u32 s11, 3
	v_cndmask_b32_e32 v36, v36, v12, vcc
	s_cselect_b64 vcc, -1, 0
	s_cmp_eq_u32 s11, 4
	v_cndmask_b32_e32 v36, v36, v13, vcc
	s_cselect_b64 vcc, -1, 0
	s_cmp_eq_u32 s11, 5
	v_cndmask_b32_e32 v36, v36, v14, vcc
	s_cselect_b64 vcc, -1, 0
	s_cmp_eq_u32 s11, 6
	v_cndmask_b32_e32 v36, v36, v15, vcc
	s_cselect_b64 vcc, -1, 0
	s_cmp_eq_u32 s11, 7
	v_cndmask_b32_e32 v36, v36, v16, vcc
	s_cselect_b64 vcc, -1, 0
	s_add_i32 s11, s2, -3
	s_cmp_eq_u32 s11, 1
	v_cndmask_b32_e32 v36, v36, v17, vcc
	s_cselect_b64 vcc, -1, 0
	s_cmp_eq_u32 s11, 2
	v_fmac_f32_e32 v38, v36, v43
	;; [unrolled: 47-line block ×3, first 2 shown]
	v_cndmask_b32_e32 v36, v10, v11, vcc
	s_cselect_b64 vcc, -1, 0
	s_cmp_eq_u32 s11, 3
	v_cndmask_b32_e32 v36, v36, v12, vcc
	s_cselect_b64 vcc, -1, 0
	s_cmp_eq_u32 s11, 4
	;; [unrolled: 3-line block ×7, first 2 shown]
	s_waitcnt lgkmcnt(0)
	v_fmac_f32_e32 v38, v36, v46
	v_cndmask_b32_e32 v36, v10, v11, vcc
	s_cselect_b64 vcc, -1, 0
	s_cmp_eq_u32 s2, 3
	v_cndmask_b32_e32 v36, v36, v12, vcc
	s_cselect_b64 vcc, -1, 0
	s_cmp_eq_u32 s2, 4
	v_cndmask_b32_e32 v36, v36, v13, vcc
	s_cselect_b64 vcc, -1, 0
	s_cmp_eq_u32 s2, 5
	v_cndmask_b32_e32 v36, v36, v14, vcc
	s_cselect_b64 vcc, -1, 0
	s_cmp_eq_u32 s2, 6
	v_cndmask_b32_e32 v36, v36, v15, vcc
	s_cselect_b64 vcc, -1, 0
	s_cmp_eq_u32 s2, 7
	v_cndmask_b32_e32 v36, v36, v16, vcc
	s_cselect_b64 vcc, -1, 0
	v_cndmask_b32_e32 v36, v36, v17, vcc
	s_add_u32 s2, s2, 8
	v_fmac_f32_e32 v38, v36, v47
	v_add_u32_e32 v36, s2, v34
	s_addc_u32 s3, s3, 0
	s_add_i32 s10, s10, 32
	s_add_i32 s11, s2, -7
	v_cmp_eq_u32_e32 vcc, 8, v36
	s_or_b64 s[8:9], vcc, s[8:9]
	v_mov_b32_e32 v36, s11
	s_andn2_b64 exec, exec, s[8:9]
	s_cbranch_execnz .LBB71_89
; %bb.90:
	s_or_b64 exec, exec, s[8:9]
.LBB71_91:
	s_or_b64 exec, exec, s[0:1]
	v_and_b32_e32 v34, 7, v35
	v_cmp_ne_u32_e32 vcc, 0, v34
	s_and_saveexec_b64 s[2:3], vcc
	s_cbranch_execz .LBB71_95
; %bb.92:
	v_lshl_add_u32 v39, v36, 2, 32
	v_mov_b32_e32 v35, 0
	s_mov_b64 s[8:9], 0
.LBB71_93:                              ; =>This Inner Loop Header: Depth=1
	v_cmp_eq_u32_e32 vcc, 1, v36
	v_cndmask_b32_e32 v40, v10, v11, vcc
	v_add_u32_e32 v34, -1, v34
	v_cmp_eq_u32_e32 vcc, 2, v36
	v_cndmask_b32_e32 v40, v40, v12, vcc
	v_cmp_eq_u32_e32 vcc, 0, v34
	v_cmp_eq_u32_e64 s[0:1], 3, v36
	ds_read_b32 v41, v39
	v_cndmask_b32_e64 v40, v40, v13, s[0:1]
	s_or_b64 s[8:9], vcc, s[8:9]
	v_cmp_eq_u32_e32 vcc, 4, v36
	v_cndmask_b32_e32 v40, v40, v14, vcc
	v_cmp_eq_u32_e32 vcc, 5, v36
	v_cndmask_b32_e32 v40, v40, v15, vcc
	;; [unrolled: 2-line block ×3, first 2 shown]
	v_cmp_eq_u32_e32 vcc, 7, v36
	v_add_co_u32_e64 v36, s[0:1], 1, v36
	v_cndmask_b32_e32 v40, v40, v17, vcc
	v_add_u32_e32 v39, 4, v39
	v_addc_co_u32_e64 v35, s[0:1], 0, v35, s[0:1]
	s_waitcnt lgkmcnt(0)
	v_fmac_f32_e32 v38, v40, v41
	s_andn2_b64 exec, exec, s[8:9]
	s_cbranch_execnz .LBB71_93
; %bb.94:
	s_or_b64 exec, exec, s[8:9]
.LBB71_95:
	s_or_b64 exec, exec, s[2:3]
.LBB71_96:
	s_or_b64 exec, exec, s[6:7]
	v_mov_b32_e32 v10, 0
	ds_read_b32 v10, v10
	s_waitcnt lgkmcnt(0)
	v_mul_f32_e32 v10, v38, v10
.LBB71_97:
	s_or_b64 exec, exec, s[4:5]
	s_branch .LBB71_161
.LBB71_98:
	v_cmp_eq_u32_e64 s[2:3], 0, v0
	s_waitcnt vmcnt(7)
	ds_write_b32 v37, v3
	s_waitcnt lgkmcnt(0)
	; wave barrier
	s_waitcnt lgkmcnt(0)
	s_and_saveexec_b64 s[0:1], s[2:3]
	s_cbranch_execz .LBB71_104
; %bb.99:
	s_and_b64 vcc, exec, s[18:19]
	s_cbranch_vccz .LBB71_101
; %bb.100:
	v_cmp_eq_u32_e32 vcc, 1, v0
	s_waitcnt vmcnt(1)
	v_cndmask_b32_e32 v3, v2, v3, vcc
	v_cmp_eq_u32_e32 vcc, 2, v0
	v_cndmask_b32_e32 v3, v3, v4, vcc
	v_cmp_eq_u32_e32 vcc, 3, v0
	;; [unrolled: 2-line block ×3, first 2 shown]
	ds_read_b32 v10, v37
	v_cndmask_b32_e32 v3, v3, v6, vcc
	v_cmp_eq_u32_e32 vcc, 5, v0
	v_cndmask_b32_e32 v3, v3, v7, vcc
	v_cmp_eq_u32_e32 vcc, 6, v0
	;; [unrolled: 2-line block ×3, first 2 shown]
	s_waitcnt vmcnt(0)
	v_cndmask_b32_e32 v3, v3, v9, vcc
	s_waitcnt lgkmcnt(0)
	v_mul_f32_e32 v3, v3, v10
	s_cbranch_execz .LBB71_102
	s_branch .LBB71_103
.LBB71_101:
                                        ; implicit-def: $vgpr3
.LBB71_102:
	ds_read_b32 v3, v37
.LBB71_103:
	v_mov_b32_e32 v10, 0
	ds_read_b32 v10, v10 offset:4
	s_waitcnt lgkmcnt(0)
	v_mul_f32_e32 v3, v3, v10
.LBB71_104:
	s_or_b64 exec, exec, s[0:1]
	v_cndmask_b32_e64 v11, 0, 1, s[18:19]
	v_add_u32_e32 v10, 1, v0
	v_cmp_gt_u32_e32 vcc, 2, v0
	v_cmp_ne_u32_e64 s[0:1], 1, v11
	s_waitcnt vmcnt(6)
	ds_write_b32 v37, v4
	s_waitcnt lgkmcnt(0)
	; wave barrier
	s_waitcnt lgkmcnt(0)
	s_and_saveexec_b64 s[4:5], vcc
	s_cbranch_execz .LBB71_112
; %bb.105:
	s_and_b64 vcc, exec, s[0:1]
	s_cbranch_vccnz .LBB71_107
; %bb.106:
	v_cmp_eq_u32_e32 vcc, 1, v0
	s_waitcnt vmcnt(1)
	v_cndmask_b32_e32 v11, v2, v3, vcc
	v_cmp_eq_u32_e32 vcc, 2, v0
	v_cndmask_b32_e32 v11, v11, v4, vcc
	v_cmp_eq_u32_e32 vcc, 3, v0
	;; [unrolled: 2-line block ×3, first 2 shown]
	ds_read_b32 v12, v37
	v_cndmask_b32_e32 v11, v11, v6, vcc
	v_cmp_eq_u32_e32 vcc, 5, v0
	v_cndmask_b32_e32 v11, v11, v7, vcc
	v_cmp_eq_u32_e32 vcc, 6, v0
	;; [unrolled: 2-line block ×3, first 2 shown]
	s_waitcnt vmcnt(0)
	v_cndmask_b32_e32 v11, v11, v9, vcc
	s_waitcnt lgkmcnt(0)
	v_mul_f32_e32 v11, v11, v12
	s_cbranch_execz .LBB71_108
	s_branch .LBB71_109
.LBB71_107:
                                        ; implicit-def: $vgpr11
.LBB71_108:
	ds_read_b32 v11, v37
.LBB71_109:
	s_and_saveexec_b64 s[6:7], s[2:3]
	s_cbranch_execz .LBB71_111
; %bb.110:
	v_cmp_eq_u32_e32 vcc, 1, v10
	s_waitcnt vmcnt(1)
	v_cndmask_b32_e32 v12, v2, v3, vcc
	v_cmp_eq_u32_e32 vcc, 2, v10
	v_cndmask_b32_e32 v4, v12, v4, vcc
	v_cmp_eq_u32_e32 vcc, 3, v10
	v_cndmask_b32_e32 v4, v4, v5, vcc
	v_cmp_eq_u32_e32 vcc, 4, v10
	ds_read_b32 v12, v37 offset:4
	v_cndmask_b32_e32 v4, v4, v6, vcc
	v_cmp_eq_u32_e32 vcc, 5, v10
	v_cndmask_b32_e32 v4, v4, v7, vcc
	v_cmp_eq_u32_e32 vcc, 6, v10
	;; [unrolled: 2-line block ×3, first 2 shown]
	s_waitcnt vmcnt(0)
	v_cndmask_b32_e32 v4, v4, v9, vcc
	s_waitcnt lgkmcnt(0)
	v_fmac_f32_e32 v11, v4, v12
.LBB71_111:
	s_or_b64 exec, exec, s[6:7]
	v_mov_b32_e32 v4, 0
	ds_read_b32 v4, v4 offset:8
	s_waitcnt lgkmcnt(0)
	v_mul_f32_e32 v4, v11, v4
.LBB71_112:
	s_or_b64 exec, exec, s[4:5]
	v_cmp_gt_u32_e32 vcc, 3, v0
	s_waitcnt vmcnt(5)
	ds_write_b32 v37, v5
	s_waitcnt lgkmcnt(0)
	; wave barrier
	s_waitcnt lgkmcnt(0)
	s_and_saveexec_b64 s[4:5], vcc
	s_cbranch_execz .LBB71_120
; %bb.113:
	s_and_b64 vcc, exec, s[0:1]
	s_cbranch_vccnz .LBB71_115
; %bb.114:
	v_cmp_eq_u32_e32 vcc, 1, v0
	s_waitcnt vmcnt(1)
	v_cndmask_b32_e32 v11, v2, v3, vcc
	v_cmp_eq_u32_e32 vcc, 2, v0
	v_cndmask_b32_e32 v11, v11, v4, vcc
	v_cmp_eq_u32_e32 vcc, 3, v0
	;; [unrolled: 2-line block ×3, first 2 shown]
	ds_read_b32 v12, v37
	v_cndmask_b32_e32 v11, v11, v6, vcc
	v_cmp_eq_u32_e32 vcc, 5, v0
	v_cndmask_b32_e32 v11, v11, v7, vcc
	v_cmp_eq_u32_e32 vcc, 6, v0
	;; [unrolled: 2-line block ×3, first 2 shown]
	s_waitcnt vmcnt(0)
	v_cndmask_b32_e32 v11, v11, v9, vcc
	s_waitcnt lgkmcnt(0)
	v_mul_f32_e32 v11, v11, v12
	s_cbranch_execz .LBB71_116
	s_branch .LBB71_117
.LBB71_115:
                                        ; implicit-def: $vgpr11
.LBB71_116:
	ds_read_b32 v11, v37
.LBB71_117:
	v_cmp_ne_u32_e32 vcc, 2, v0
	s_and_saveexec_b64 s[6:7], vcc
	s_cbranch_execz .LBB71_119
; %bb.118:
	v_cmp_eq_u32_e32 vcc, 1, v10
	s_waitcnt vmcnt(1)
	v_cndmask_b32_e32 v12, v2, v3, vcc
	v_cmp_eq_u32_e32 vcc, 2, v10
	v_cndmask_b32_e32 v12, v12, v4, vcc
	v_cmp_eq_u32_e32 vcc, 3, v10
	;; [unrolled: 2-line block ×3, first 2 shown]
	v_mov_b32_e32 v12, 0
	v_cndmask_b32_e32 v5, v5, v6, vcc
	v_cmp_eq_u32_e32 vcc, 5, v10
	ds_read_b32 v13, v37 offset:4
	ds_read_b32 v12, v12 offset:40
	v_cndmask_b32_e32 v5, v5, v7, vcc
	v_cmp_eq_u32_e32 vcc, 6, v10
	v_cndmask_b32_e32 v5, v5, v8, vcc
	v_cmp_eq_u32_e32 vcc, 7, v10
	s_waitcnt vmcnt(0)
	v_cndmask_b32_e32 v5, v5, v9, vcc
	s_waitcnt lgkmcnt(1)
	v_fmac_f32_e32 v11, v5, v13
	s_waitcnt lgkmcnt(0)
	v_fma_f32 v5, v4, v12, v11
	v_cndmask_b32_e64 v11, v11, v5, s[2:3]
.LBB71_119:
	s_or_b64 exec, exec, s[6:7]
	v_mov_b32_e32 v5, 0
	ds_read_b32 v5, v5 offset:12
	s_waitcnt lgkmcnt(0)
	v_mul_f32_e32 v5, v11, v5
.LBB71_120:
	s_or_b64 exec, exec, s[4:5]
	v_cmp_gt_u32_e32 vcc, 4, v0
	s_waitcnt vmcnt(4)
	ds_write_b32 v37, v6
	s_waitcnt lgkmcnt(0)
	; wave barrier
	s_waitcnt lgkmcnt(0)
	s_and_saveexec_b64 s[4:5], vcc
	s_cbranch_execz .LBB71_130
; %bb.121:
	s_and_b64 vcc, exec, s[0:1]
	s_cbranch_vccnz .LBB71_123
; %bb.122:
	v_cmp_eq_u32_e32 vcc, 1, v0
	s_waitcnt vmcnt(1)
	v_cndmask_b32_e32 v10, v2, v3, vcc
	v_cmp_eq_u32_e32 vcc, 2, v0
	v_cndmask_b32_e32 v10, v10, v4, vcc
	v_cmp_eq_u32_e32 vcc, 3, v0
	;; [unrolled: 2-line block ×3, first 2 shown]
	ds_read_b32 v11, v37
	v_cndmask_b32_e32 v10, v10, v6, vcc
	v_cmp_eq_u32_e32 vcc, 5, v0
	v_cndmask_b32_e32 v10, v10, v7, vcc
	v_cmp_eq_u32_e32 vcc, 6, v0
	;; [unrolled: 2-line block ×3, first 2 shown]
	s_waitcnt vmcnt(0)
	v_cndmask_b32_e32 v10, v10, v9, vcc
	s_waitcnt lgkmcnt(0)
	v_mul_f32_e32 v12, v10, v11
	s_cbranch_execz .LBB71_124
	s_branch .LBB71_125
.LBB71_123:
                                        ; implicit-def: $vgpr12
.LBB71_124:
	ds_read_b32 v12, v37
.LBB71_125:
	v_cmp_ne_u32_e32 vcc, 3, v0
	s_and_saveexec_b64 s[6:7], vcc
	s_cbranch_execz .LBB71_129
; %bb.126:
	v_lshl_add_u32 v13, v0, 2, 36
	s_mov_b64 s[8:9], 0
	v_pk_mov_b32 v[10:11], v[0:1], v[0:1] op_sel:[0,1]
.LBB71_127:                             ; =>This Inner Loop Header: Depth=1
	v_add_co_u32_e32 v10, vcc, 1, v10
	v_addc_co_u32_e32 v11, vcc, 0, v11, vcc
	v_cmp_eq_u32_e32 vcc, 1, v10
	s_waitcnt vmcnt(1)
	v_cndmask_b32_e32 v15, v2, v3, vcc
	v_cmp_lt_u32_e32 vcc, 2, v10
	v_cmp_eq_u32_e64 s[2:3], 2, v10
	v_cndmask_b32_e64 v15, v15, v4, s[2:3]
	s_or_b64 s[8:9], vcc, s[8:9]
	v_cmp_eq_u32_e32 vcc, 3, v10
	ds_read_b32 v14, v13
	v_cndmask_b32_e32 v15, v15, v5, vcc
	v_cmp_eq_u32_e32 vcc, 4, v10
	v_cndmask_b32_e32 v15, v15, v6, vcc
	v_cmp_eq_u32_e32 vcc, 5, v10
	v_cndmask_b32_e32 v15, v15, v7, vcc
	v_cmp_eq_u32_e32 vcc, 6, v10
	v_cndmask_b32_e32 v15, v15, v8, vcc
	v_cmp_eq_u32_e32 vcc, 7, v10
	s_waitcnt vmcnt(0)
	v_cndmask_b32_e32 v15, v15, v9, vcc
	v_add_u32_e32 v13, 4, v13
	s_waitcnt lgkmcnt(0)
	v_fmac_f32_e32 v12, v15, v14
	s_andn2_b64 exec, exec, s[8:9]
	s_cbranch_execnz .LBB71_127
; %bb.128:
	s_or_b64 exec, exec, s[8:9]
.LBB71_129:
	s_or_b64 exec, exec, s[6:7]
	v_mov_b32_e32 v6, 0
	ds_read_b32 v6, v6 offset:16
	s_waitcnt lgkmcnt(0)
	v_mul_f32_e32 v6, v12, v6
.LBB71_130:
	s_or_b64 exec, exec, s[4:5]
	v_cmp_gt_u32_e32 vcc, 5, v0
	s_waitcnt vmcnt(3)
	ds_write_b32 v37, v7
	s_waitcnt lgkmcnt(0)
	; wave barrier
	s_waitcnt lgkmcnt(0)
	s_and_saveexec_b64 s[4:5], vcc
	s_cbranch_execz .LBB71_140
; %bb.131:
	s_and_b64 vcc, exec, s[0:1]
	s_cbranch_vccnz .LBB71_133
; %bb.132:
	v_cmp_eq_u32_e32 vcc, 1, v0
	s_waitcnt vmcnt(1)
	v_cndmask_b32_e32 v10, v2, v3, vcc
	v_cmp_eq_u32_e32 vcc, 2, v0
	v_cndmask_b32_e32 v10, v10, v4, vcc
	v_cmp_eq_u32_e32 vcc, 3, v0
	;; [unrolled: 2-line block ×3, first 2 shown]
	ds_read_b32 v11, v37
	v_cndmask_b32_e32 v10, v10, v6, vcc
	v_cmp_eq_u32_e32 vcc, 5, v0
	v_cndmask_b32_e32 v10, v10, v7, vcc
	v_cmp_eq_u32_e32 vcc, 6, v0
	;; [unrolled: 2-line block ×3, first 2 shown]
	s_waitcnt vmcnt(0)
	v_cndmask_b32_e32 v10, v10, v9, vcc
	s_waitcnt lgkmcnt(0)
	v_mul_f32_e32 v12, v10, v11
	s_cbranch_execz .LBB71_134
	s_branch .LBB71_135
.LBB71_133:
                                        ; implicit-def: $vgpr12
.LBB71_134:
	ds_read_b32 v12, v37
.LBB71_135:
	v_cmp_ne_u32_e32 vcc, 4, v0
	s_and_saveexec_b64 s[6:7], vcc
	s_cbranch_execz .LBB71_139
; %bb.136:
	v_lshl_add_u32 v13, v0, 2, 36
	s_mov_b64 s[8:9], 0
	v_pk_mov_b32 v[10:11], v[0:1], v[0:1] op_sel:[0,1]
.LBB71_137:                             ; =>This Inner Loop Header: Depth=1
	v_add_co_u32_e32 v10, vcc, 1, v10
	v_addc_co_u32_e32 v11, vcc, 0, v11, vcc
	v_cmp_eq_u32_e32 vcc, 1, v10
	s_waitcnt vmcnt(1)
	v_cndmask_b32_e32 v15, v2, v3, vcc
	v_cmp_lt_u32_e32 vcc, 3, v10
	v_cmp_eq_u32_e64 s[2:3], 2, v10
	v_cndmask_b32_e64 v15, v15, v4, s[2:3]
	s_or_b64 s[8:9], vcc, s[8:9]
	v_cmp_eq_u32_e32 vcc, 3, v10
	ds_read_b32 v14, v13
	v_cndmask_b32_e32 v15, v15, v5, vcc
	v_cmp_eq_u32_e32 vcc, 4, v10
	v_cndmask_b32_e32 v15, v15, v6, vcc
	v_cmp_eq_u32_e32 vcc, 5, v10
	;; [unrolled: 2-line block ×4, first 2 shown]
	s_waitcnt vmcnt(0)
	v_cndmask_b32_e32 v15, v15, v9, vcc
	v_add_u32_e32 v13, 4, v13
	s_waitcnt lgkmcnt(0)
	v_fmac_f32_e32 v12, v15, v14
	s_andn2_b64 exec, exec, s[8:9]
	s_cbranch_execnz .LBB71_137
; %bb.138:
	s_or_b64 exec, exec, s[8:9]
.LBB71_139:
	s_or_b64 exec, exec, s[6:7]
	v_mov_b32_e32 v7, 0
	ds_read_b32 v7, v7 offset:20
	s_waitcnt lgkmcnt(0)
	v_mul_f32_e32 v7, v12, v7
.LBB71_140:
	s_or_b64 exec, exec, s[4:5]
	v_cmp_gt_u32_e64 s[2:3], 6, v0
	s_waitcnt vmcnt(2)
	ds_write_b32 v37, v8
	s_waitcnt lgkmcnt(0)
	; wave barrier
	s_waitcnt lgkmcnt(0)
	s_and_saveexec_b64 s[6:7], s[2:3]
	s_cbranch_execz .LBB71_150
; %bb.141:
	s_and_b64 vcc, exec, s[0:1]
	s_cbranch_vccnz .LBB71_143
; %bb.142:
	v_cmp_eq_u32_e32 vcc, 1, v0
	s_waitcnt vmcnt(1)
	v_cndmask_b32_e32 v10, v2, v3, vcc
	v_cmp_eq_u32_e32 vcc, 2, v0
	v_cndmask_b32_e32 v10, v10, v4, vcc
	v_cmp_eq_u32_e32 vcc, 3, v0
	;; [unrolled: 2-line block ×3, first 2 shown]
	ds_read_b32 v11, v37
	v_cndmask_b32_e32 v10, v10, v6, vcc
	v_cmp_eq_u32_e32 vcc, 5, v0
	v_cndmask_b32_e32 v10, v10, v7, vcc
	v_cmp_eq_u32_e32 vcc, 6, v0
	;; [unrolled: 2-line block ×3, first 2 shown]
	s_waitcnt vmcnt(0)
	v_cndmask_b32_e32 v10, v10, v9, vcc
	s_waitcnt lgkmcnt(0)
	v_mul_f32_e32 v12, v10, v11
	s_cbranch_execz .LBB71_144
	s_branch .LBB71_145
.LBB71_143:
                                        ; implicit-def: $vgpr12
.LBB71_144:
	ds_read_b32 v12, v37
.LBB71_145:
	v_cmp_ne_u32_e32 vcc, 5, v0
	s_and_saveexec_b64 s[8:9], vcc
	s_cbranch_execz .LBB71_149
; %bb.146:
	v_lshl_add_u32 v13, v0, 2, 36
	s_mov_b64 s[10:11], 0
	v_pk_mov_b32 v[10:11], v[0:1], v[0:1] op_sel:[0,1]
.LBB71_147:                             ; =>This Inner Loop Header: Depth=1
	v_add_co_u32_e32 v10, vcc, 1, v10
	v_addc_co_u32_e32 v11, vcc, 0, v11, vcc
	v_cmp_eq_u32_e32 vcc, 1, v10
	s_waitcnt vmcnt(1)
	v_cndmask_b32_e32 v15, v2, v3, vcc
	v_cmp_lt_u32_e32 vcc, 4, v10
	v_cmp_eq_u32_e64 s[4:5], 2, v10
	v_cndmask_b32_e64 v15, v15, v4, s[4:5]
	s_or_b64 s[10:11], vcc, s[10:11]
	v_cmp_eq_u32_e32 vcc, 3, v10
	ds_read_b32 v14, v13
	v_cndmask_b32_e32 v15, v15, v5, vcc
	v_cmp_eq_u32_e32 vcc, 4, v10
	v_cndmask_b32_e32 v15, v15, v6, vcc
	v_cmp_eq_u32_e32 vcc, 5, v10
	;; [unrolled: 2-line block ×4, first 2 shown]
	s_waitcnt vmcnt(0)
	v_cndmask_b32_e32 v15, v15, v9, vcc
	v_add_u32_e32 v13, 4, v13
	s_waitcnt lgkmcnt(0)
	v_fmac_f32_e32 v12, v15, v14
	s_andn2_b64 exec, exec, s[10:11]
	s_cbranch_execnz .LBB71_147
; %bb.148:
	s_or_b64 exec, exec, s[10:11]
.LBB71_149:
	s_or_b64 exec, exec, s[8:9]
	v_mov_b32_e32 v8, 0
	ds_read_b32 v8, v8 offset:24
	s_waitcnt lgkmcnt(0)
	v_mul_f32_e32 v8, v12, v8
.LBB71_150:
	s_or_b64 exec, exec, s[6:7]
	v_cmp_ne_u32_e32 vcc, 7, v0
	s_waitcnt vmcnt(0)
	ds_write_b32 v37, v9
	s_waitcnt lgkmcnt(0)
	; wave barrier
	s_waitcnt lgkmcnt(0)
	s_and_saveexec_b64 s[4:5], vcc
	s_cbranch_execz .LBB71_160
; %bb.151:
	s_and_b64 vcc, exec, s[0:1]
	s_cbranch_vccnz .LBB71_153
; %bb.152:
	v_cmp_eq_u32_e32 vcc, 1, v0
	v_cndmask_b32_e32 v10, v2, v3, vcc
	v_cmp_eq_u32_e32 vcc, 2, v0
	v_cndmask_b32_e32 v10, v10, v4, vcc
	;; [unrolled: 2-line block ×3, first 2 shown]
	v_cmp_eq_u32_e32 vcc, 4, v0
	ds_read_b32 v11, v37
	v_cndmask_b32_e32 v10, v10, v6, vcc
	v_cmp_eq_u32_e32 vcc, 5, v0
	v_cndmask_b32_e32 v10, v10, v7, vcc
	v_cmp_eq_u32_e32 vcc, 6, v0
	;; [unrolled: 2-line block ×3, first 2 shown]
	v_cndmask_b32_e32 v10, v10, v9, vcc
	s_waitcnt lgkmcnt(0)
	v_mul_f32_e32 v10, v10, v11
	s_cbranch_execz .LBB71_154
	s_branch .LBB71_155
.LBB71_153:
                                        ; implicit-def: $vgpr10
.LBB71_154:
	ds_read_b32 v10, v37
.LBB71_155:
	s_and_saveexec_b64 s[6:7], s[2:3]
	s_cbranch_execz .LBB71_159
; %bb.156:
	v_lshl_add_u32 v11, v0, 2, 36
	s_mov_b64 s[2:3], 0
.LBB71_157:                             ; =>This Inner Loop Header: Depth=1
	v_add_co_u32_e32 v0, vcc, 1, v0
	v_addc_co_u32_e32 v1, vcc, 0, v1, vcc
	v_cmp_eq_u32_e32 vcc, 1, v0
	v_cndmask_b32_e32 v13, v2, v3, vcc
	v_cmp_lt_u32_e32 vcc, 5, v0
	v_cmp_eq_u32_e64 s[0:1], 2, v0
	v_cndmask_b32_e64 v13, v13, v4, s[0:1]
	s_or_b64 s[2:3], vcc, s[2:3]
	v_cmp_eq_u32_e32 vcc, 3, v0
	ds_read_b32 v12, v11
	v_cndmask_b32_e32 v13, v13, v5, vcc
	v_cmp_eq_u32_e32 vcc, 4, v0
	v_cndmask_b32_e32 v13, v13, v6, vcc
	v_cmp_eq_u32_e32 vcc, 5, v0
	;; [unrolled: 2-line block ×4, first 2 shown]
	v_cndmask_b32_e32 v13, v13, v9, vcc
	v_add_u32_e32 v11, 4, v11
	s_waitcnt lgkmcnt(0)
	v_fmac_f32_e32 v10, v13, v12
	s_andn2_b64 exec, exec, s[2:3]
	s_cbranch_execnz .LBB71_157
; %bb.158:
	s_or_b64 exec, exec, s[2:3]
.LBB71_159:
	s_or_b64 exec, exec, s[6:7]
	v_mov_b32_e32 v0, 0
	ds_read_b32 v0, v0 offset:28
	s_waitcnt lgkmcnt(0)
	v_mul_f32_e32 v9, v10, v0
.LBB71_160:
	s_or_b64 exec, exec, s[4:5]
	v_pk_mov_b32 v[16:17], v[8:9], v[8:9] op_sel:[0,1]
	v_pk_mov_b32 v[14:15], v[6:7], v[6:7] op_sel:[0,1]
	;; [unrolled: 1-line block ×4, first 2 shown]
.LBB71_161:
	global_store_dword v[18:19], v10, off
	global_store_dword v[20:21], v11, off
	;; [unrolled: 1-line block ×8, first 2 shown]
.LBB71_162:
	s_endpgm
	.section	.rodata,"a",@progbits
	.p2align	6, 0x0
	.amdhsa_kernel _ZN9rocsolver6v33100L18trti2_kernel_smallILi8EfPKPfEEv13rocblas_fill_17rocblas_diagonal_T1_iil
		.amdhsa_group_segment_fixed_size 64
		.amdhsa_private_segment_fixed_size 0
		.amdhsa_kernarg_size 32
		.amdhsa_user_sgpr_count 6
		.amdhsa_user_sgpr_private_segment_buffer 1
		.amdhsa_user_sgpr_dispatch_ptr 0
		.amdhsa_user_sgpr_queue_ptr 0
		.amdhsa_user_sgpr_kernarg_segment_ptr 1
		.amdhsa_user_sgpr_dispatch_id 0
		.amdhsa_user_sgpr_flat_scratch_init 0
		.amdhsa_user_sgpr_kernarg_preload_length 0
		.amdhsa_user_sgpr_kernarg_preload_offset 0
		.amdhsa_user_sgpr_private_segment_size 0
		.amdhsa_uses_dynamic_stack 0
		.amdhsa_system_sgpr_private_segment_wavefront_offset 0
		.amdhsa_system_sgpr_workgroup_id_x 1
		.amdhsa_system_sgpr_workgroup_id_y 0
		.amdhsa_system_sgpr_workgroup_id_z 0
		.amdhsa_system_sgpr_workgroup_info 0
		.amdhsa_system_vgpr_workitem_id 0
		.amdhsa_next_free_vgpr 48
		.amdhsa_next_free_sgpr 22
		.amdhsa_accum_offset 48
		.amdhsa_reserve_vcc 1
		.amdhsa_reserve_flat_scratch 0
		.amdhsa_float_round_mode_32 0
		.amdhsa_float_round_mode_16_64 0
		.amdhsa_float_denorm_mode_32 3
		.amdhsa_float_denorm_mode_16_64 3
		.amdhsa_dx10_clamp 1
		.amdhsa_ieee_mode 1
		.amdhsa_fp16_overflow 0
		.amdhsa_tg_split 0
		.amdhsa_exception_fp_ieee_invalid_op 0
		.amdhsa_exception_fp_denorm_src 0
		.amdhsa_exception_fp_ieee_div_zero 0
		.amdhsa_exception_fp_ieee_overflow 0
		.amdhsa_exception_fp_ieee_underflow 0
		.amdhsa_exception_fp_ieee_inexact 0
		.amdhsa_exception_int_div_zero 0
	.end_amdhsa_kernel
	.section	.text._ZN9rocsolver6v33100L18trti2_kernel_smallILi8EfPKPfEEv13rocblas_fill_17rocblas_diagonal_T1_iil,"axG",@progbits,_ZN9rocsolver6v33100L18trti2_kernel_smallILi8EfPKPfEEv13rocblas_fill_17rocblas_diagonal_T1_iil,comdat
.Lfunc_end71:
	.size	_ZN9rocsolver6v33100L18trti2_kernel_smallILi8EfPKPfEEv13rocblas_fill_17rocblas_diagonal_T1_iil, .Lfunc_end71-_ZN9rocsolver6v33100L18trti2_kernel_smallILi8EfPKPfEEv13rocblas_fill_17rocblas_diagonal_T1_iil
                                        ; -- End function
	.section	.AMDGPU.csdata,"",@progbits
; Kernel info:
; codeLenInByte = 9068
; NumSgprs: 26
; NumVgprs: 48
; NumAgprs: 0
; TotalNumVgprs: 48
; ScratchSize: 0
; MemoryBound: 0
; FloatMode: 240
; IeeeMode: 1
; LDSByteSize: 64 bytes/workgroup (compile time only)
; SGPRBlocks: 3
; VGPRBlocks: 5
; NumSGPRsForWavesPerEU: 26
; NumVGPRsForWavesPerEU: 48
; AccumOffset: 48
; Occupancy: 8
; WaveLimiterHint : 1
; COMPUTE_PGM_RSRC2:SCRATCH_EN: 0
; COMPUTE_PGM_RSRC2:USER_SGPR: 6
; COMPUTE_PGM_RSRC2:TRAP_HANDLER: 0
; COMPUTE_PGM_RSRC2:TGID_X_EN: 1
; COMPUTE_PGM_RSRC2:TGID_Y_EN: 0
; COMPUTE_PGM_RSRC2:TGID_Z_EN: 0
; COMPUTE_PGM_RSRC2:TIDIG_COMP_CNT: 0
; COMPUTE_PGM_RSRC3_GFX90A:ACCUM_OFFSET: 11
; COMPUTE_PGM_RSRC3_GFX90A:TG_SPLIT: 0
	.section	.text._ZN9rocsolver6v33100L18trti2_kernel_smallILi9EfPKPfEEv13rocblas_fill_17rocblas_diagonal_T1_iil,"axG",@progbits,_ZN9rocsolver6v33100L18trti2_kernel_smallILi9EfPKPfEEv13rocblas_fill_17rocblas_diagonal_T1_iil,comdat
	.globl	_ZN9rocsolver6v33100L18trti2_kernel_smallILi9EfPKPfEEv13rocblas_fill_17rocblas_diagonal_T1_iil ; -- Begin function _ZN9rocsolver6v33100L18trti2_kernel_smallILi9EfPKPfEEv13rocblas_fill_17rocblas_diagonal_T1_iil
	.p2align	8
	.type	_ZN9rocsolver6v33100L18trti2_kernel_smallILi9EfPKPfEEv13rocblas_fill_17rocblas_diagonal_T1_iil,@function
_ZN9rocsolver6v33100L18trti2_kernel_smallILi9EfPKPfEEv13rocblas_fill_17rocblas_diagonal_T1_iil: ; @_ZN9rocsolver6v33100L18trti2_kernel_smallILi9EfPKPfEEv13rocblas_fill_17rocblas_diagonal_T1_iil
; %bb.0:
	v_cmp_gt_u32_e32 vcc, 9, v0
	s_and_saveexec_b64 s[0:1], vcc
	s_cbranch_execz .LBB72_188
; %bb.1:
	s_load_dwordx2 s[0:1], s[4:5], 0x10
	s_load_dwordx4 s[20:23], s[4:5], 0x0
	s_ashr_i32 s7, s6, 31
	s_lshl_b64 s[2:3], s[6:7], 3
	v_lshlrev_b32_e32 v11, 2, v0
	s_waitcnt lgkmcnt(0)
	s_ashr_i32 s5, s0, 31
	s_add_u32 s2, s22, s2
	s_addc_u32 s3, s23, s3
	s_load_dwordx2 s[2:3], s[2:3], 0x0
	s_mov_b32 s4, s0
	s_lshl_b64 s[4:5], s[4:5], 2
	v_mov_b32_e32 v12, -1.0
	s_waitcnt lgkmcnt(0)
	s_add_u32 s2, s2, s4
	s_addc_u32 s3, s3, s5
	v_mov_b32_e32 v1, s3
	v_add_co_u32_e32 v22, vcc, s2, v11
	s_ashr_i32 s5, s1, 31
	s_mov_b32 s4, s1
	s_add_i32 s0, s1, s1
	v_addc_co_u32_e32 v23, vcc, 0, v1, vcc
	s_lshl_b64 s[4:5], s[4:5], 2
	v_add_u32_e32 v4, s0, v0
	v_mov_b32_e32 v1, s5
	v_add_co_u32_e32 v24, vcc, s4, v22
	v_ashrrev_i32_e32 v5, 31, v4
	v_addc_co_u32_e32 v25, vcc, v23, v1, vcc
	v_lshlrev_b64 v[6:7], 2, v[4:5]
	v_add_u32_e32 v4, s1, v4
	v_mov_b32_e32 v1, s3
	v_add_co_u32_e32 v26, vcc, s2, v6
	v_ashrrev_i32_e32 v5, 31, v4
	v_addc_co_u32_e32 v27, vcc, v1, v7, vcc
	v_lshlrev_b64 v[6:7], 2, v[4:5]
	v_add_u32_e32 v4, s1, v4
	v_add_co_u32_e32 v28, vcc, s2, v6
	v_ashrrev_i32_e32 v5, 31, v4
	v_addc_co_u32_e32 v29, vcc, v1, v7, vcc
	v_lshlrev_b64 v[6:7], 2, v[4:5]
	v_add_u32_e32 v4, s1, v4
	;; [unrolled: 5-line block ×5, first 2 shown]
	v_add_co_u32_e32 v36, vcc, s2, v6
	v_ashrrev_i32_e32 v5, 31, v4
	v_addc_co_u32_e32 v37, vcc, v1, v7, vcc
	v_lshlrev_b64 v[4:5], 2, v[4:5]
	v_add_co_u32_e32 v38, vcc, s2, v4
	global_load_dword v2, v11, s[2:3]
	v_addc_co_u32_e32 v39, vcc, v1, v5, vcc
	global_load_dword v3, v[24:25], off
	global_load_dword v4, v[26:27], off
	;; [unrolled: 1-line block ×8, first 2 shown]
	s_cmpk_lg_i32 s21, 0x84
	v_mov_b32_e32 v1, 0
	s_cselect_b64 s[18:19], -1, 0
	s_cmpk_eq_i32 s21, 0x84
	v_cmp_eq_u32_e64 s[0:1], 0, v0
	s_cbranch_scc1 .LBB72_3
; %bb.2:
	v_cmp_eq_u32_e64 s[2:3], 1, v0
	s_waitcnt vmcnt(7)
	v_cndmask_b32_e64 v12, v2, v3, s[2:3]
	v_cmp_eq_u32_e64 s[4:5], 2, v0
	s_waitcnt vmcnt(6)
	v_cndmask_b32_e64 v12, v12, v4, s[4:5]
	;; [unrolled: 3-line block ×8, first 2 shown]
	v_div_scale_f32 v13, s[22:23], v12, v12, 1.0
	v_rcp_f32_e32 v14, v13
	v_fma_f32 v15, -v13, v14, 1.0
	v_fmac_f32_e32 v14, v15, v14
	v_div_scale_f32 v15, vcc, 1.0, v12, 1.0
	v_mul_f32_e32 v16, v15, v14
	v_fma_f32 v17, -v13, v16, v15
	v_fmac_f32_e32 v16, v17, v14
	v_fma_f32 v13, -v13, v16, v15
	v_div_fmas_f32 v13, v13, v14, v16
	v_div_fixup_f32 v12, v13, v12, 1.0
	v_cndmask_b32_e64 v10, v10, v12, s[16:17]
	v_cndmask_b32_e64 v9, v9, v12, s[14:15]
	;; [unrolled: 1-line block ×9, first 2 shown]
	v_xor_b32_e32 v12, 0x80000000, v12
.LBB72_3:
	s_cmpk_eq_i32 s20, 0x79
	v_add_u32_e32 v21, 48, v11
	ds_write_b32 v11, v12
	s_cbranch_scc1 .LBB72_7
; %bb.4:
	s_waitcnt vmcnt(0)
	v_mov_b32_e32 v20, v10
	v_cmp_eq_u32_e64 s[2:3], 8, v0
	v_mov_b32_e32 v19, v9
	v_mov_b32_e32 v18, v8
	;; [unrolled: 1-line block ×8, first 2 shown]
	ds_write_b32 v21, v9
	s_waitcnt lgkmcnt(0)
	; wave barrier
	s_waitcnt lgkmcnt(0)
	s_and_saveexec_b64 s[0:1], s[2:3]
	s_cbranch_execz .LBB72_11
; %bb.5:
	s_and_b64 vcc, exec, s[18:19]
	s_cbranch_vccz .LBB72_8
; %bb.6:
	v_cmp_eq_u32_e32 vcc, 1, v0
	v_cndmask_b32_e32 v11, v2, v3, vcc
	v_cmp_eq_u32_e32 vcc, 2, v0
	v_cndmask_b32_e32 v11, v11, v4, vcc
	;; [unrolled: 2-line block ×4, first 2 shown]
	v_cmp_eq_u32_e32 vcc, 5, v0
	ds_read_b32 v12, v21
	v_cndmask_b32_e32 v11, v11, v7, vcc
	v_cmp_eq_u32_e32 vcc, 6, v0
	v_cndmask_b32_e32 v11, v11, v8, vcc
	v_cmp_eq_u32_e32 vcc, 7, v0
	;; [unrolled: 2-line block ×3, first 2 shown]
	v_cndmask_b32_e32 v11, v11, v10, vcc
	s_waitcnt lgkmcnt(0)
	v_mul_f32_e32 v11, v11, v12
	s_cbranch_execz .LBB72_9
	s_branch .LBB72_10
.LBB72_7:
                                        ; implicit-def: $vgpr12_vgpr13_vgpr14_vgpr15_vgpr16_vgpr17_vgpr18_vgpr19_vgpr20
	s_cbranch_execnz .LBB72_114
	s_branch .LBB72_187
.LBB72_8:
                                        ; implicit-def: $vgpr11
.LBB72_9:
	ds_read_b32 v11, v21
.LBB72_10:
	v_mov_b32_e32 v12, 0
	ds_read_b32 v12, v12 offset:28
	s_waitcnt lgkmcnt(0)
	v_mul_f32_e32 v11, v11, v12
	v_mov_b32_e32 v20, v10
	v_mov_b32_e32 v19, v9
	;; [unrolled: 1-line block ×10, first 2 shown]
.LBB72_11:
	s_or_b64 exec, exec, s[0:1]
	v_cmp_lt_u32_e64 s[0:1], 6, v0
	ds_write_b32 v21, v18
	s_waitcnt lgkmcnt(0)
	; wave barrier
	s_waitcnt lgkmcnt(0)
	s_and_saveexec_b64 s[4:5], s[0:1]
	s_cbranch_execz .LBB72_17
; %bb.12:
	s_andn2_b64 vcc, exec, s[18:19]
	s_cbranch_vccnz .LBB72_14
; %bb.13:
	v_cmp_eq_u32_e32 vcc, 1, v0
	v_cndmask_b32_e32 v11, v12, v13, vcc
	v_cmp_eq_u32_e32 vcc, 2, v0
	v_cndmask_b32_e32 v11, v11, v14, vcc
	;; [unrolled: 2-line block ×6, first 2 shown]
	ds_read_b32 v18, v21
	v_cmp_eq_u32_e32 vcc, 7, v0
	v_cndmask_b32_e32 v11, v11, v19, vcc
	v_cmp_eq_u32_e32 vcc, 8, v0
	v_cndmask_b32_e32 v11, v11, v20, vcc
	s_waitcnt lgkmcnt(0)
	v_mul_f32_e32 v11, v11, v18
	s_cbranch_execz .LBB72_15
	s_branch .LBB72_16
.LBB72_14:
                                        ; implicit-def: $vgpr11
.LBB72_15:
	ds_read_b32 v11, v21
.LBB72_16:
	v_mov_b32_e32 v18, 0
	ds_read2_b32 v[40:41], v18 offset0:6 offset1:19
	s_waitcnt lgkmcnt(0)
	v_fma_f32 v18, v19, v41, v11
	v_cndmask_b32_e64 v11, v11, v18, s[2:3]
	v_mul_f32_e32 v18, v11, v40
.LBB72_17:
	s_or_b64 exec, exec, s[4:5]
	v_cmp_lt_u32_e64 s[2:3], 5, v0
	ds_write_b32 v21, v17
	s_waitcnt lgkmcnt(0)
	; wave barrier
	s_waitcnt lgkmcnt(0)
	s_and_saveexec_b64 s[4:5], s[2:3]
	s_cbranch_execz .LBB72_33
; %bb.18:
	s_andn2_b64 vcc, exec, s[18:19]
	s_cbranch_vccnz .LBB72_20
; %bb.19:
	v_cmp_eq_u32_e32 vcc, 1, v0
	v_cndmask_b32_e32 v11, v12, v13, vcc
	v_cmp_eq_u32_e32 vcc, 2, v0
	v_cndmask_b32_e32 v11, v11, v14, vcc
	;; [unrolled: 2-line block ×4, first 2 shown]
	v_cmp_eq_u32_e32 vcc, 5, v0
	ds_read_b32 v40, v21
	v_cndmask_b32_e32 v11, v11, v17, vcc
	v_cmp_eq_u32_e32 vcc, 6, v0
	v_cndmask_b32_e32 v11, v11, v18, vcc
	v_cmp_eq_u32_e32 vcc, 7, v0
	;; [unrolled: 2-line block ×3, first 2 shown]
	v_cndmask_b32_e32 v11, v11, v20, vcc
	s_waitcnt lgkmcnt(0)
	v_mul_f32_e32 v41, v11, v40
	s_cbranch_execz .LBB72_21
	s_branch .LBB72_22
.LBB72_20:
                                        ; implicit-def: $vgpr41
.LBB72_21:
	ds_read_b32 v41, v21
.LBB72_22:
	s_and_saveexec_b64 s[6:7], s[0:1]
	s_cbranch_execz .LBB72_32
; %bb.23:
	v_add_u32_e32 v40, -7, v0
	v_add_u32_e32 v11, -6, v0
	v_cmp_lt_u32_e32 vcc, 6, v40
	v_mov_b32_e32 v40, 6
	s_and_saveexec_b64 s[0:1], vcc
	s_cbranch_execz .LBB72_27
; %bb.24:
	v_and_b32_e32 v40, -8, v11
	v_sub_u32_e32 v42, 0, v40
	s_mov_b64 s[8:9], 13
	s_movk_i32 s12, 0x48
	s_mov_b64 s[10:11], 0
.LBB72_25:                              ; =>This Inner Loop Header: Depth=1
	s_add_i32 s13, s8, -7
	v_mov_b32_e32 v40, s12
	s_add_i32 s14, s8, -6
	s_set_gpr_idx_on s13, gpr_idx(SRC0)
	v_mov_b32_e32 v43, v12
	s_set_gpr_idx_off
	ds_read2_b64 v[44:47], v40 offset1:1
	s_add_i32 s15, s8, -5
	s_set_gpr_idx_on s14, gpr_idx(SRC0)
	v_mov_b32_e32 v52, v12
	s_set_gpr_idx_off
	s_add_i32 s16, s8, -4
	s_set_gpr_idx_on s15, gpr_idx(SRC0)
	v_mov_b32_e32 v53, v12
	s_set_gpr_idx_off
	;; [unrolled: 4-line block ×4, first 2 shown]
	ds_read2_b64 v[48:51], v40 offset0:2 offset1:3
	s_add_i32 s21, s8, -1
	s_waitcnt lgkmcnt(1)
	v_fmac_f32_e32 v41, v43, v44
	s_set_gpr_idx_on s20, gpr_idx(SRC0)
	v_mov_b32_e32 v43, v12
	s_set_gpr_idx_off
	v_fmac_f32_e32 v41, v52, v45
	s_set_gpr_idx_on s21, gpr_idx(SRC0)
	v_mov_b32_e32 v44, v12
	s_set_gpr_idx_off
	v_fmac_f32_e32 v41, v53, v46
	s_set_gpr_idx_on s8, gpr_idx(SRC0)
	v_mov_b32_e32 v45, v12
	s_set_gpr_idx_off
	v_fmac_f32_e32 v41, v54, v47
	s_add_u32 s8, s8, 8
	s_waitcnt lgkmcnt(0)
	v_fmac_f32_e32 v41, v55, v48
	v_add_u32_e32 v40, s8, v42
	v_fmac_f32_e32 v41, v43, v49
	s_addc_u32 s9, s9, 0
	s_add_i32 s12, s12, 32
	s_add_i32 s13, s8, -7
	v_cmp_eq_u32_e32 vcc, 13, v40
	v_fmac_f32_e32 v41, v44, v50
	v_mov_b32_e32 v40, s13
	s_or_b64 s[10:11], vcc, s[10:11]
	v_fmac_f32_e32 v41, v45, v51
	s_andn2_b64 exec, exec, s[10:11]
	s_cbranch_execnz .LBB72_25
; %bb.26:
	s_or_b64 exec, exec, s[10:11]
.LBB72_27:
	s_or_b64 exec, exec, s[0:1]
	v_and_b32_e32 v42, 7, v11
	v_cmp_ne_u32_e32 vcc, 0, v42
	s_and_saveexec_b64 s[8:9], vcc
	s_cbranch_execz .LBB72_31
; %bb.28:
	v_lshl_add_u32 v43, v40, 2, 48
	v_mov_b32_e32 v11, 0
	s_mov_b64 s[10:11], 0
.LBB72_29:                              ; =>This Inner Loop Header: Depth=1
	v_cmp_eq_u32_e32 vcc, 1, v40
	v_cndmask_b32_e32 v44, v12, v13, vcc
	v_add_u32_e32 v42, -1, v42
	v_cmp_eq_u32_e32 vcc, 2, v40
	v_cndmask_b32_e32 v44, v44, v14, vcc
	v_cmp_eq_u32_e32 vcc, 0, v42
	v_cmp_eq_u32_e64 s[0:1], 3, v40
	v_cndmask_b32_e64 v44, v44, v15, s[0:1]
	s_or_b64 s[10:11], vcc, s[10:11]
	v_cmp_eq_u32_e32 vcc, 4, v40
	ds_read_b32 v45, v43
	v_cndmask_b32_e32 v44, v44, v16, vcc
	v_cmp_eq_u32_e32 vcc, 5, v40
	v_cndmask_b32_e32 v44, v44, v17, vcc
	v_cmp_eq_u32_e32 vcc, 6, v40
	;; [unrolled: 2-line block ×4, first 2 shown]
	v_add_co_u32_e64 v40, s[0:1], 1, v40
	v_cndmask_b32_e32 v44, v44, v20, vcc
	v_add_u32_e32 v43, 4, v43
	v_addc_co_u32_e64 v11, s[0:1], 0, v11, s[0:1]
	s_waitcnt lgkmcnt(0)
	v_fmac_f32_e32 v41, v44, v45
	s_andn2_b64 exec, exec, s[10:11]
	s_cbranch_execnz .LBB72_29
; %bb.30:
	s_or_b64 exec, exec, s[10:11]
.LBB72_31:
	s_or_b64 exec, exec, s[8:9]
.LBB72_32:
	s_or_b64 exec, exec, s[6:7]
	v_mov_b32_e32 v11, 0
	ds_read_b32 v11, v11 offset:20
	s_waitcnt lgkmcnt(0)
	v_mul_f32_e32 v17, v41, v11
.LBB72_33:
	s_or_b64 exec, exec, s[4:5]
	v_cmp_lt_u32_e64 s[0:1], 4, v0
	ds_write_b32 v21, v16
	s_waitcnt lgkmcnt(0)
	; wave barrier
	s_waitcnt lgkmcnt(0)
	s_and_saveexec_b64 s[4:5], s[0:1]
	s_cbranch_execz .LBB72_49
; %bb.34:
	s_andn2_b64 vcc, exec, s[18:19]
	s_cbranch_vccnz .LBB72_36
; %bb.35:
	v_cmp_eq_u32_e32 vcc, 1, v0
	v_cndmask_b32_e32 v11, v12, v13, vcc
	v_cmp_eq_u32_e32 vcc, 2, v0
	v_cndmask_b32_e32 v11, v11, v14, vcc
	v_cmp_eq_u32_e32 vcc, 3, v0
	v_cndmask_b32_e32 v11, v11, v15, vcc
	v_cmp_eq_u32_e32 vcc, 4, v0
	v_cndmask_b32_e32 v11, v11, v16, vcc
	v_cmp_eq_u32_e32 vcc, 5, v0
	ds_read_b32 v40, v21
	v_cndmask_b32_e32 v11, v11, v17, vcc
	v_cmp_eq_u32_e32 vcc, 6, v0
	v_cndmask_b32_e32 v11, v11, v18, vcc
	v_cmp_eq_u32_e32 vcc, 7, v0
	;; [unrolled: 2-line block ×3, first 2 shown]
	v_cndmask_b32_e32 v11, v11, v20, vcc
	s_waitcnt lgkmcnt(0)
	v_mul_f32_e32 v41, v11, v40
	s_cbranch_execz .LBB72_37
	s_branch .LBB72_38
.LBB72_36:
                                        ; implicit-def: $vgpr41
.LBB72_37:
	ds_read_b32 v41, v21
.LBB72_38:
	s_and_saveexec_b64 s[6:7], s[2:3]
	s_cbranch_execz .LBB72_48
; %bb.39:
	v_add_u32_e32 v40, -6, v0
	v_add_u32_e32 v11, -5, v0
	v_cmp_lt_u32_e32 vcc, 6, v40
	v_mov_b32_e32 v40, 5
	s_and_saveexec_b64 s[2:3], vcc
	s_cbranch_execz .LBB72_43
; %bb.40:
	v_and_b32_e32 v40, -8, v11
	v_sub_u32_e32 v42, 0, v40
	s_mov_b64 s[8:9], 12
	s_movk_i32 s12, 0x44
	s_mov_b64 s[10:11], 0
.LBB72_41:                              ; =>This Inner Loop Header: Depth=1
	s_add_i32 s13, s8, -7
	v_mov_b32_e32 v40, s12
	s_add_i32 s14, s8, -6
	s_set_gpr_idx_on s13, gpr_idx(SRC0)
	v_mov_b32_e32 v43, v12
	s_set_gpr_idx_off
	ds_read2_b32 v[44:45], v40 offset1:1
	s_add_i32 s15, s8, -5
	s_set_gpr_idx_on s14, gpr_idx(SRC0)
	v_mov_b32_e32 v50, v12
	s_set_gpr_idx_off
	s_add_i32 s16, s8, -4
	s_set_gpr_idx_on s15, gpr_idx(SRC0)
	v_mov_b32_e32 v51, v12
	s_set_gpr_idx_off
	ds_read2_b32 v[46:47], v40 offset0:2 offset1:3
	s_add_i32 s17, s8, -3
	s_set_gpr_idx_on s16, gpr_idx(SRC0)
	v_mov_b32_e32 v52, v12
	s_set_gpr_idx_off
	s_add_i32 s20, s8, -2
	s_set_gpr_idx_on s17, gpr_idx(SRC0)
	v_mov_b32_e32 v53, v12
	s_set_gpr_idx_off
	ds_read2_b32 v[48:49], v40 offset0:4 offset1:5
	s_add_i32 s21, s8, -1
	s_waitcnt lgkmcnt(2)
	v_fmac_f32_e32 v41, v43, v44
	s_set_gpr_idx_on s20, gpr_idx(SRC0)
	v_mov_b32_e32 v43, v12
	s_set_gpr_idx_off
	v_fmac_f32_e32 v41, v50, v45
	s_set_gpr_idx_on s21, gpr_idx(SRC0)
	v_mov_b32_e32 v50, v12
	s_set_gpr_idx_off
	ds_read2_b32 v[44:45], v40 offset0:6 offset1:7
	s_waitcnt lgkmcnt(2)
	v_fmac_f32_e32 v41, v51, v46
	s_set_gpr_idx_on s8, gpr_idx(SRC0)
	v_mov_b32_e32 v46, v12
	s_set_gpr_idx_off
	v_fmac_f32_e32 v41, v52, v47
	s_add_u32 s8, s8, 8
	s_waitcnt lgkmcnt(1)
	v_fmac_f32_e32 v41, v53, v48
	v_add_u32_e32 v40, s8, v42
	v_fmac_f32_e32 v41, v43, v49
	s_addc_u32 s9, s9, 0
	s_add_i32 s12, s12, 32
	s_add_i32 s13, s8, -7
	v_cmp_eq_u32_e32 vcc, 12, v40
	s_waitcnt lgkmcnt(0)
	v_fmac_f32_e32 v41, v50, v44
	v_mov_b32_e32 v40, s13
	s_or_b64 s[10:11], vcc, s[10:11]
	v_fmac_f32_e32 v41, v46, v45
	s_andn2_b64 exec, exec, s[10:11]
	s_cbranch_execnz .LBB72_41
; %bb.42:
	s_or_b64 exec, exec, s[10:11]
.LBB72_43:
	s_or_b64 exec, exec, s[2:3]
	v_and_b32_e32 v42, 7, v11
	v_cmp_ne_u32_e32 vcc, 0, v42
	s_and_saveexec_b64 s[8:9], vcc
	s_cbranch_execz .LBB72_47
; %bb.44:
	v_lshl_add_u32 v43, v40, 2, 48
	v_mov_b32_e32 v11, 0
	s_mov_b64 s[10:11], 0
.LBB72_45:                              ; =>This Inner Loop Header: Depth=1
	v_cmp_eq_u32_e32 vcc, 1, v40
	v_cndmask_b32_e32 v44, v12, v13, vcc
	v_add_u32_e32 v42, -1, v42
	v_cmp_eq_u32_e32 vcc, 2, v40
	v_cndmask_b32_e32 v44, v44, v14, vcc
	v_cmp_eq_u32_e32 vcc, 0, v42
	v_cmp_eq_u32_e64 s[2:3], 3, v40
	v_cndmask_b32_e64 v44, v44, v15, s[2:3]
	s_or_b64 s[10:11], vcc, s[10:11]
	v_cmp_eq_u32_e32 vcc, 4, v40
	ds_read_b32 v45, v43
	v_cndmask_b32_e32 v44, v44, v16, vcc
	v_cmp_eq_u32_e32 vcc, 5, v40
	v_cndmask_b32_e32 v44, v44, v17, vcc
	v_cmp_eq_u32_e32 vcc, 6, v40
	;; [unrolled: 2-line block ×4, first 2 shown]
	v_add_co_u32_e64 v40, s[2:3], 1, v40
	v_cndmask_b32_e32 v44, v44, v20, vcc
	v_add_u32_e32 v43, 4, v43
	v_addc_co_u32_e64 v11, s[2:3], 0, v11, s[2:3]
	s_waitcnt lgkmcnt(0)
	v_fmac_f32_e32 v41, v44, v45
	s_andn2_b64 exec, exec, s[10:11]
	s_cbranch_execnz .LBB72_45
; %bb.46:
	s_or_b64 exec, exec, s[10:11]
.LBB72_47:
	s_or_b64 exec, exec, s[8:9]
.LBB72_48:
	s_or_b64 exec, exec, s[6:7]
	v_mov_b32_e32 v11, 0
	ds_read_b32 v11, v11 offset:16
	s_waitcnt lgkmcnt(0)
	v_mul_f32_e32 v16, v41, v11
.LBB72_49:
	s_or_b64 exec, exec, s[4:5]
	v_cmp_lt_u32_e64 s[2:3], 3, v0
	ds_write_b32 v21, v15
	s_waitcnt lgkmcnt(0)
	; wave barrier
	s_waitcnt lgkmcnt(0)
	s_and_saveexec_b64 s[4:5], s[2:3]
	s_cbranch_execz .LBB72_65
; %bb.50:
	s_andn2_b64 vcc, exec, s[18:19]
	s_cbranch_vccnz .LBB72_52
; %bb.51:
	v_cmp_eq_u32_e32 vcc, 1, v0
	v_cndmask_b32_e32 v11, v12, v13, vcc
	v_cmp_eq_u32_e32 vcc, 2, v0
	v_cndmask_b32_e32 v11, v11, v14, vcc
	;; [unrolled: 2-line block ×4, first 2 shown]
	v_cmp_eq_u32_e32 vcc, 5, v0
	ds_read_b32 v40, v21
	v_cndmask_b32_e32 v11, v11, v17, vcc
	v_cmp_eq_u32_e32 vcc, 6, v0
	v_cndmask_b32_e32 v11, v11, v18, vcc
	v_cmp_eq_u32_e32 vcc, 7, v0
	;; [unrolled: 2-line block ×3, first 2 shown]
	v_cndmask_b32_e32 v11, v11, v20, vcc
	s_waitcnt lgkmcnt(0)
	v_mul_f32_e32 v41, v11, v40
	s_cbranch_execz .LBB72_53
	s_branch .LBB72_54
.LBB72_52:
                                        ; implicit-def: $vgpr41
.LBB72_53:
	ds_read_b32 v41, v21
.LBB72_54:
	s_and_saveexec_b64 s[6:7], s[0:1]
	s_cbranch_execz .LBB72_64
; %bb.55:
	v_add_u32_e32 v40, -5, v0
	v_add_u32_e32 v11, -4, v0
	v_cmp_lt_u32_e32 vcc, 6, v40
	v_mov_b32_e32 v40, 4
	s_and_saveexec_b64 s[0:1], vcc
	s_cbranch_execz .LBB72_59
; %bb.56:
	v_and_b32_e32 v40, -8, v11
	v_sub_u32_e32 v42, 0, v40
	s_mov_b64 s[8:9], 5
	s_mov_b32 s12, 64
	s_mov_b64 s[10:11], 0
.LBB72_57:                              ; =>This Inner Loop Header: Depth=1
	s_add_i32 s13, s8, -1
	v_mov_b32_e32 v40, s12
	s_set_gpr_idx_on s13, gpr_idx(SRC0)
	v_mov_b32_e32 v43, v12
	s_set_gpr_idx_off
	s_add_i32 s14, s8, 1
	ds_read_b128 v[44:47], v40
	ds_read_b128 v[48:51], v40 offset:16
	s_set_gpr_idx_on s8, gpr_idx(SRC0)
	v_mov_b32_e32 v52, v12
	s_set_gpr_idx_off
	s_add_i32 s15, s8, 2
	s_set_gpr_idx_on s14, gpr_idx(SRC0)
	v_mov_b32_e32 v53, v12
	s_set_gpr_idx_off
	s_add_i32 s16, s8, 3
	;; [unrolled: 4-line block ×4, first 2 shown]
	s_waitcnt lgkmcnt(1)
	v_fmac_f32_e32 v41, v43, v44
	s_set_gpr_idx_on s17, gpr_idx(SRC0)
	v_mov_b32_e32 v43, v12
	s_set_gpr_idx_off
	s_add_i32 s21, s8, 6
	v_fmac_f32_e32 v41, v52, v45
	s_set_gpr_idx_on s20, gpr_idx(SRC0)
	v_mov_b32_e32 v44, v12
	s_set_gpr_idx_off
	v_fmac_f32_e32 v41, v53, v46
	s_set_gpr_idx_on s21, gpr_idx(SRC0)
	v_mov_b32_e32 v45, v12
	s_set_gpr_idx_off
	v_fmac_f32_e32 v41, v54, v47
	s_add_u32 s8, s8, 8
	s_waitcnt lgkmcnt(0)
	v_fmac_f32_e32 v41, v55, v48
	v_add_u32_e32 v40, s8, v42
	v_fmac_f32_e32 v41, v43, v49
	s_addc_u32 s9, s9, 0
	s_add_i32 s12, s12, 32
	s_add_i32 s13, s8, -1
	v_cmp_eq_u32_e32 vcc, 5, v40
	v_fmac_f32_e32 v41, v44, v50
	v_mov_b32_e32 v40, s13
	s_or_b64 s[10:11], vcc, s[10:11]
	v_fmac_f32_e32 v41, v45, v51
	s_andn2_b64 exec, exec, s[10:11]
	s_cbranch_execnz .LBB72_57
; %bb.58:
	s_or_b64 exec, exec, s[10:11]
.LBB72_59:
	s_or_b64 exec, exec, s[0:1]
	v_and_b32_e32 v42, 7, v11
	v_cmp_ne_u32_e32 vcc, 0, v42
	s_and_saveexec_b64 s[8:9], vcc
	s_cbranch_execz .LBB72_63
; %bb.60:
	v_lshl_add_u32 v43, v40, 2, 48
	v_mov_b32_e32 v11, 0
	s_mov_b64 s[10:11], 0
.LBB72_61:                              ; =>This Inner Loop Header: Depth=1
	v_cmp_eq_u32_e32 vcc, 1, v40
	v_cndmask_b32_e32 v44, v12, v13, vcc
	v_add_u32_e32 v42, -1, v42
	v_cmp_eq_u32_e32 vcc, 2, v40
	v_cndmask_b32_e32 v44, v44, v14, vcc
	v_cmp_eq_u32_e32 vcc, 0, v42
	v_cmp_eq_u32_e64 s[0:1], 3, v40
	v_cndmask_b32_e64 v44, v44, v15, s[0:1]
	s_or_b64 s[10:11], vcc, s[10:11]
	v_cmp_eq_u32_e32 vcc, 4, v40
	ds_read_b32 v45, v43
	v_cndmask_b32_e32 v44, v44, v16, vcc
	v_cmp_eq_u32_e32 vcc, 5, v40
	v_cndmask_b32_e32 v44, v44, v17, vcc
	v_cmp_eq_u32_e32 vcc, 6, v40
	;; [unrolled: 2-line block ×4, first 2 shown]
	v_add_co_u32_e64 v40, s[0:1], 1, v40
	v_cndmask_b32_e32 v44, v44, v20, vcc
	v_add_u32_e32 v43, 4, v43
	v_addc_co_u32_e64 v11, s[0:1], 0, v11, s[0:1]
	s_waitcnt lgkmcnt(0)
	v_fmac_f32_e32 v41, v44, v45
	s_andn2_b64 exec, exec, s[10:11]
	s_cbranch_execnz .LBB72_61
; %bb.62:
	s_or_b64 exec, exec, s[10:11]
.LBB72_63:
	s_or_b64 exec, exec, s[8:9]
.LBB72_64:
	s_or_b64 exec, exec, s[6:7]
	v_mov_b32_e32 v11, 0
	ds_read_b32 v11, v11 offset:12
	s_waitcnt lgkmcnt(0)
	v_mul_f32_e32 v15, v41, v11
.LBB72_65:
	s_or_b64 exec, exec, s[4:5]
	v_cmp_lt_u32_e64 s[0:1], 2, v0
	ds_write_b32 v21, v14
	s_waitcnt lgkmcnt(0)
	; wave barrier
	s_waitcnt lgkmcnt(0)
	s_and_saveexec_b64 s[4:5], s[0:1]
	s_cbranch_execz .LBB72_81
; %bb.66:
	s_andn2_b64 vcc, exec, s[18:19]
	s_cbranch_vccnz .LBB72_68
; %bb.67:
	v_cmp_eq_u32_e32 vcc, 1, v0
	v_cndmask_b32_e32 v11, v12, v13, vcc
	v_cmp_eq_u32_e32 vcc, 2, v0
	v_cndmask_b32_e32 v11, v11, v14, vcc
	;; [unrolled: 2-line block ×4, first 2 shown]
	v_cmp_eq_u32_e32 vcc, 5, v0
	ds_read_b32 v40, v21
	v_cndmask_b32_e32 v11, v11, v17, vcc
	v_cmp_eq_u32_e32 vcc, 6, v0
	v_cndmask_b32_e32 v11, v11, v18, vcc
	v_cmp_eq_u32_e32 vcc, 7, v0
	;; [unrolled: 2-line block ×3, first 2 shown]
	v_cndmask_b32_e32 v11, v11, v20, vcc
	s_waitcnt lgkmcnt(0)
	v_mul_f32_e32 v41, v11, v40
	s_cbranch_execz .LBB72_69
	s_branch .LBB72_70
.LBB72_68:
                                        ; implicit-def: $vgpr41
.LBB72_69:
	ds_read_b32 v41, v21
.LBB72_70:
	s_and_saveexec_b64 s[6:7], s[2:3]
	s_cbranch_execz .LBB72_80
; %bb.71:
	v_add_u32_e32 v40, -4, v0
	v_add_u32_e32 v11, -3, v0
	v_cmp_lt_u32_e32 vcc, 6, v40
	v_mov_b32_e32 v40, 3
	s_and_saveexec_b64 s[2:3], vcc
	s_cbranch_execz .LBB72_75
; %bb.72:
	v_and_b32_e32 v40, -8, v11
	v_sub_u32_e32 v42, 0, v40
	s_mov_b64 s[8:9], 10
	s_mov_b32 s12, 60
	s_mov_b64 s[10:11], 0
.LBB72_73:                              ; =>This Inner Loop Header: Depth=1
	s_add_i32 s13, s8, -7
	v_mov_b32_e32 v40, s12
	s_add_i32 s14, s8, -6
	s_set_gpr_idx_on s13, gpr_idx(SRC0)
	v_mov_b32_e32 v43, v12
	s_set_gpr_idx_off
	ds_read2_b32 v[44:45], v40 offset1:1
	s_add_i32 s15, s8, -5
	s_set_gpr_idx_on s14, gpr_idx(SRC0)
	v_mov_b32_e32 v50, v12
	s_set_gpr_idx_off
	s_add_i32 s16, s8, -4
	s_set_gpr_idx_on s15, gpr_idx(SRC0)
	v_mov_b32_e32 v51, v12
	s_set_gpr_idx_off
	ds_read2_b32 v[46:47], v40 offset0:2 offset1:3
	s_add_i32 s17, s8, -3
	s_set_gpr_idx_on s16, gpr_idx(SRC0)
	v_mov_b32_e32 v52, v12
	s_set_gpr_idx_off
	s_add_i32 s20, s8, -2
	s_set_gpr_idx_on s17, gpr_idx(SRC0)
	v_mov_b32_e32 v53, v12
	s_set_gpr_idx_off
	ds_read2_b32 v[48:49], v40 offset0:4 offset1:5
	s_add_i32 s21, s8, -1
	s_waitcnt lgkmcnt(2)
	v_fmac_f32_e32 v41, v43, v44
	s_set_gpr_idx_on s20, gpr_idx(SRC0)
	v_mov_b32_e32 v43, v12
	s_set_gpr_idx_off
	v_fmac_f32_e32 v41, v50, v45
	s_set_gpr_idx_on s21, gpr_idx(SRC0)
	v_mov_b32_e32 v50, v12
	s_set_gpr_idx_off
	ds_read2_b32 v[44:45], v40 offset0:6 offset1:7
	s_waitcnt lgkmcnt(2)
	v_fmac_f32_e32 v41, v51, v46
	s_set_gpr_idx_on s8, gpr_idx(SRC0)
	v_mov_b32_e32 v46, v12
	s_set_gpr_idx_off
	v_fmac_f32_e32 v41, v52, v47
	s_add_u32 s8, s8, 8
	s_waitcnt lgkmcnt(1)
	v_fmac_f32_e32 v41, v53, v48
	v_add_u32_e32 v40, s8, v42
	v_fmac_f32_e32 v41, v43, v49
	s_addc_u32 s9, s9, 0
	s_add_i32 s12, s12, 32
	s_add_i32 s13, s8, -7
	v_cmp_eq_u32_e32 vcc, 10, v40
	s_waitcnt lgkmcnt(0)
	v_fmac_f32_e32 v41, v50, v44
	v_mov_b32_e32 v40, s13
	s_or_b64 s[10:11], vcc, s[10:11]
	v_fmac_f32_e32 v41, v46, v45
	s_andn2_b64 exec, exec, s[10:11]
	s_cbranch_execnz .LBB72_73
; %bb.74:
	s_or_b64 exec, exec, s[10:11]
.LBB72_75:
	s_or_b64 exec, exec, s[2:3]
	v_and_b32_e32 v42, 7, v11
	v_cmp_ne_u32_e32 vcc, 0, v42
	s_and_saveexec_b64 s[8:9], vcc
	s_cbranch_execz .LBB72_79
; %bb.76:
	v_lshl_add_u32 v43, v40, 2, 48
	v_mov_b32_e32 v11, 0
	s_mov_b64 s[10:11], 0
.LBB72_77:                              ; =>This Inner Loop Header: Depth=1
	v_cmp_eq_u32_e32 vcc, 1, v40
	v_cndmask_b32_e32 v44, v12, v13, vcc
	v_add_u32_e32 v42, -1, v42
	v_cmp_eq_u32_e32 vcc, 2, v40
	v_cndmask_b32_e32 v44, v44, v14, vcc
	v_cmp_eq_u32_e32 vcc, 0, v42
	v_cmp_eq_u32_e64 s[2:3], 3, v40
	v_cndmask_b32_e64 v44, v44, v15, s[2:3]
	s_or_b64 s[10:11], vcc, s[10:11]
	v_cmp_eq_u32_e32 vcc, 4, v40
	ds_read_b32 v45, v43
	v_cndmask_b32_e32 v44, v44, v16, vcc
	v_cmp_eq_u32_e32 vcc, 5, v40
	v_cndmask_b32_e32 v44, v44, v17, vcc
	v_cmp_eq_u32_e32 vcc, 6, v40
	;; [unrolled: 2-line block ×4, first 2 shown]
	v_add_co_u32_e64 v40, s[2:3], 1, v40
	v_cndmask_b32_e32 v44, v44, v20, vcc
	v_add_u32_e32 v43, 4, v43
	v_addc_co_u32_e64 v11, s[2:3], 0, v11, s[2:3]
	s_waitcnt lgkmcnt(0)
	v_fmac_f32_e32 v41, v44, v45
	s_andn2_b64 exec, exec, s[10:11]
	s_cbranch_execnz .LBB72_77
; %bb.78:
	s_or_b64 exec, exec, s[10:11]
.LBB72_79:
	s_or_b64 exec, exec, s[8:9]
.LBB72_80:
	s_or_b64 exec, exec, s[6:7]
	v_mov_b32_e32 v11, 0
	ds_read_b32 v11, v11 offset:8
	s_waitcnt lgkmcnt(0)
	v_mul_f32_e32 v14, v41, v11
.LBB72_81:
	s_or_b64 exec, exec, s[4:5]
	v_cmp_lt_u32_e64 s[2:3], 1, v0
	ds_write_b32 v21, v13
	s_waitcnt lgkmcnt(0)
	; wave barrier
	s_waitcnt lgkmcnt(0)
	s_and_saveexec_b64 s[4:5], s[2:3]
	s_cbranch_execz .LBB72_97
; %bb.82:
	s_andn2_b64 vcc, exec, s[18:19]
	s_cbranch_vccnz .LBB72_84
; %bb.83:
	v_cmp_eq_u32_e32 vcc, 1, v0
	v_cndmask_b32_e32 v11, v12, v13, vcc
	v_cmp_eq_u32_e32 vcc, 2, v0
	v_cndmask_b32_e32 v11, v11, v14, vcc
	;; [unrolled: 2-line block ×4, first 2 shown]
	v_cmp_eq_u32_e32 vcc, 5, v0
	ds_read_b32 v40, v21
	v_cndmask_b32_e32 v11, v11, v17, vcc
	v_cmp_eq_u32_e32 vcc, 6, v0
	v_cndmask_b32_e32 v11, v11, v18, vcc
	v_cmp_eq_u32_e32 vcc, 7, v0
	;; [unrolled: 2-line block ×3, first 2 shown]
	v_cndmask_b32_e32 v11, v11, v20, vcc
	s_waitcnt lgkmcnt(0)
	v_mul_f32_e32 v41, v11, v40
	s_cbranch_execz .LBB72_85
	s_branch .LBB72_86
.LBB72_84:
                                        ; implicit-def: $vgpr41
.LBB72_85:
	ds_read_b32 v41, v21
.LBB72_86:
	s_and_saveexec_b64 s[6:7], s[0:1]
	s_cbranch_execz .LBB72_96
; %bb.87:
	v_add_u32_e32 v40, -3, v0
	v_add_u32_e32 v11, -2, v0
	v_cmp_lt_u32_e32 vcc, 6, v40
	v_mov_b32_e32 v40, 2
	s_and_saveexec_b64 s[0:1], vcc
	s_cbranch_execz .LBB72_91
; %bb.88:
	v_and_b32_e32 v40, -8, v11
	v_sub_u32_e32 v42, 0, v40
	s_mov_b64 s[8:9], 9
	s_mov_b32 s12, 56
	s_mov_b64 s[10:11], 0
.LBB72_89:                              ; =>This Inner Loop Header: Depth=1
	s_add_i32 s13, s8, -7
	v_mov_b32_e32 v40, s12
	s_add_i32 s14, s8, -6
	s_set_gpr_idx_on s13, gpr_idx(SRC0)
	v_mov_b32_e32 v43, v12
	s_set_gpr_idx_off
	ds_read2_b64 v[44:47], v40 offset1:1
	s_add_i32 s15, s8, -5
	s_set_gpr_idx_on s14, gpr_idx(SRC0)
	v_mov_b32_e32 v52, v12
	s_set_gpr_idx_off
	s_add_i32 s16, s8, -4
	s_set_gpr_idx_on s15, gpr_idx(SRC0)
	v_mov_b32_e32 v53, v12
	s_set_gpr_idx_off
	;; [unrolled: 4-line block ×4, first 2 shown]
	ds_read2_b64 v[48:51], v40 offset0:2 offset1:3
	s_add_i32 s21, s8, -1
	s_waitcnt lgkmcnt(1)
	v_fmac_f32_e32 v41, v43, v44
	s_set_gpr_idx_on s20, gpr_idx(SRC0)
	v_mov_b32_e32 v43, v12
	s_set_gpr_idx_off
	v_fmac_f32_e32 v41, v52, v45
	s_set_gpr_idx_on s21, gpr_idx(SRC0)
	v_mov_b32_e32 v44, v12
	s_set_gpr_idx_off
	;; [unrolled: 4-line block ×3, first 2 shown]
	v_fmac_f32_e32 v41, v54, v47
	s_add_u32 s8, s8, 8
	s_waitcnt lgkmcnt(0)
	v_fmac_f32_e32 v41, v55, v48
	v_add_u32_e32 v40, s8, v42
	v_fmac_f32_e32 v41, v43, v49
	s_addc_u32 s9, s9, 0
	s_add_i32 s12, s12, 32
	s_add_i32 s13, s8, -7
	v_cmp_eq_u32_e32 vcc, 9, v40
	v_fmac_f32_e32 v41, v44, v50
	v_mov_b32_e32 v40, s13
	s_or_b64 s[10:11], vcc, s[10:11]
	v_fmac_f32_e32 v41, v45, v51
	s_andn2_b64 exec, exec, s[10:11]
	s_cbranch_execnz .LBB72_89
; %bb.90:
	s_or_b64 exec, exec, s[10:11]
.LBB72_91:
	s_or_b64 exec, exec, s[0:1]
	v_and_b32_e32 v42, 7, v11
	v_cmp_ne_u32_e32 vcc, 0, v42
	s_and_saveexec_b64 s[8:9], vcc
	s_cbranch_execz .LBB72_95
; %bb.92:
	v_lshl_add_u32 v43, v40, 2, 48
	v_mov_b32_e32 v11, 0
	s_mov_b64 s[10:11], 0
.LBB72_93:                              ; =>This Inner Loop Header: Depth=1
	v_cmp_eq_u32_e32 vcc, 1, v40
	v_cndmask_b32_e32 v44, v12, v13, vcc
	v_add_u32_e32 v42, -1, v42
	v_cmp_eq_u32_e32 vcc, 2, v40
	v_cndmask_b32_e32 v44, v44, v14, vcc
	v_cmp_eq_u32_e32 vcc, 0, v42
	v_cmp_eq_u32_e64 s[0:1], 3, v40
	v_cndmask_b32_e64 v44, v44, v15, s[0:1]
	s_or_b64 s[10:11], vcc, s[10:11]
	v_cmp_eq_u32_e32 vcc, 4, v40
	ds_read_b32 v45, v43
	v_cndmask_b32_e32 v44, v44, v16, vcc
	v_cmp_eq_u32_e32 vcc, 5, v40
	v_cndmask_b32_e32 v44, v44, v17, vcc
	v_cmp_eq_u32_e32 vcc, 6, v40
	;; [unrolled: 2-line block ×4, first 2 shown]
	v_add_co_u32_e64 v40, s[0:1], 1, v40
	v_cndmask_b32_e32 v44, v44, v20, vcc
	v_add_u32_e32 v43, 4, v43
	v_addc_co_u32_e64 v11, s[0:1], 0, v11, s[0:1]
	s_waitcnt lgkmcnt(0)
	v_fmac_f32_e32 v41, v44, v45
	s_andn2_b64 exec, exec, s[10:11]
	s_cbranch_execnz .LBB72_93
; %bb.94:
	s_or_b64 exec, exec, s[10:11]
.LBB72_95:
	s_or_b64 exec, exec, s[8:9]
.LBB72_96:
	s_or_b64 exec, exec, s[6:7]
	v_mov_b32_e32 v11, 0
	ds_read_b32 v11, v11 offset:4
	s_waitcnt lgkmcnt(0)
	v_mul_f32_e32 v13, v41, v11
.LBB72_97:
	s_or_b64 exec, exec, s[4:5]
	v_cmp_ne_u32_e32 vcc, 0, v0
	ds_write_b32 v21, v12
	s_waitcnt lgkmcnt(0)
	; wave barrier
	s_waitcnt lgkmcnt(0)
	s_and_saveexec_b64 s[4:5], vcc
	s_cbranch_execz .LBB72_113
; %bb.98:
	s_andn2_b64 vcc, exec, s[18:19]
	s_cbranch_vccnz .LBB72_100
; %bb.99:
	v_cmp_eq_u32_e32 vcc, 1, v0
	v_cndmask_b32_e32 v11, v12, v13, vcc
	v_cmp_eq_u32_e32 vcc, 2, v0
	v_cndmask_b32_e32 v11, v11, v14, vcc
	;; [unrolled: 2-line block ×4, first 2 shown]
	v_cmp_eq_u32_e32 vcc, 5, v0
	ds_read_b32 v40, v21
	v_cndmask_b32_e32 v11, v11, v17, vcc
	v_cmp_eq_u32_e32 vcc, 6, v0
	v_cndmask_b32_e32 v11, v11, v18, vcc
	v_cmp_eq_u32_e32 vcc, 7, v0
	;; [unrolled: 2-line block ×3, first 2 shown]
	v_cndmask_b32_e32 v11, v11, v20, vcc
	s_waitcnt lgkmcnt(0)
	v_mul_f32_e32 v41, v11, v40
	s_cbranch_execz .LBB72_101
	s_branch .LBB72_102
.LBB72_100:
                                        ; implicit-def: $vgpr41
.LBB72_101:
	ds_read_b32 v41, v21
.LBB72_102:
	s_and_saveexec_b64 s[6:7], s[2:3]
	s_cbranch_execz .LBB72_112
; %bb.103:
	v_add_u32_e32 v40, -2, v0
	v_add_u32_e32 v11, -1, v0
	v_cmp_lt_u32_e32 vcc, 6, v40
	v_mov_b32_e32 v40, 1
	s_and_saveexec_b64 s[0:1], vcc
	s_cbranch_execz .LBB72_107
; %bb.104:
	v_and_b32_e32 v40, -8, v11
	v_sub_u32_e32 v42, 0, v40
	s_mov_b64 s[2:3], 8
	s_mov_b32 s10, 52
	s_mov_b64 s[8:9], 0
.LBB72_105:                             ; =>This Inner Loop Header: Depth=1
	s_add_i32 s11, s2, -7
	v_mov_b32_e32 v40, s10
	s_add_i32 s12, s2, -6
	s_set_gpr_idx_on s11, gpr_idx(SRC0)
	v_mov_b32_e32 v43, v12
	s_set_gpr_idx_off
	ds_read2_b32 v[44:45], v40 offset1:1
	s_add_i32 s13, s2, -5
	s_set_gpr_idx_on s12, gpr_idx(SRC0)
	v_mov_b32_e32 v50, v12
	s_set_gpr_idx_off
	s_add_i32 s14, s2, -4
	s_set_gpr_idx_on s13, gpr_idx(SRC0)
	v_mov_b32_e32 v51, v12
	s_set_gpr_idx_off
	ds_read2_b32 v[46:47], v40 offset0:2 offset1:3
	s_add_i32 s15, s2, -3
	s_set_gpr_idx_on s14, gpr_idx(SRC0)
	v_mov_b32_e32 v52, v12
	s_set_gpr_idx_off
	s_add_i32 s16, s2, -2
	s_set_gpr_idx_on s15, gpr_idx(SRC0)
	v_mov_b32_e32 v53, v12
	s_set_gpr_idx_off
	ds_read2_b32 v[48:49], v40 offset0:4 offset1:5
	s_add_i32 s17, s2, -1
	s_waitcnt lgkmcnt(2)
	v_fmac_f32_e32 v41, v43, v44
	s_set_gpr_idx_on s16, gpr_idx(SRC0)
	v_mov_b32_e32 v43, v12
	s_set_gpr_idx_off
	v_fmac_f32_e32 v41, v50, v45
	s_set_gpr_idx_on s17, gpr_idx(SRC0)
	v_mov_b32_e32 v50, v12
	s_set_gpr_idx_off
	ds_read2_b32 v[44:45], v40 offset0:6 offset1:7
	s_waitcnt lgkmcnt(2)
	v_fmac_f32_e32 v41, v51, v46
	s_set_gpr_idx_on s2, gpr_idx(SRC0)
	v_mov_b32_e32 v46, v12
	s_set_gpr_idx_off
	v_fmac_f32_e32 v41, v52, v47
	s_add_u32 s2, s2, 8
	s_waitcnt lgkmcnt(1)
	v_fmac_f32_e32 v41, v53, v48
	v_add_u32_e32 v40, s2, v42
	v_fmac_f32_e32 v41, v43, v49
	s_addc_u32 s3, s3, 0
	s_add_i32 s10, s10, 32
	s_add_i32 s11, s2, -7
	v_cmp_eq_u32_e32 vcc, 8, v40
	s_waitcnt lgkmcnt(0)
	v_fmac_f32_e32 v41, v50, v44
	v_mov_b32_e32 v40, s11
	s_or_b64 s[8:9], vcc, s[8:9]
	v_fmac_f32_e32 v41, v46, v45
	s_andn2_b64 exec, exec, s[8:9]
	s_cbranch_execnz .LBB72_105
; %bb.106:
	s_or_b64 exec, exec, s[8:9]
.LBB72_107:
	s_or_b64 exec, exec, s[0:1]
	v_and_b32_e32 v42, 7, v11
	v_cmp_ne_u32_e32 vcc, 0, v42
	s_and_saveexec_b64 s[2:3], vcc
	s_cbranch_execz .LBB72_111
; %bb.108:
	v_lshl_add_u32 v43, v40, 2, 48
	v_mov_b32_e32 v11, 0
	s_mov_b64 s[8:9], 0
.LBB72_109:                             ; =>This Inner Loop Header: Depth=1
	v_cmp_eq_u32_e32 vcc, 1, v40
	v_cndmask_b32_e32 v44, v12, v13, vcc
	v_add_u32_e32 v42, -1, v42
	v_cmp_eq_u32_e32 vcc, 2, v40
	v_cndmask_b32_e32 v44, v44, v14, vcc
	v_cmp_eq_u32_e32 vcc, 0, v42
	v_cmp_eq_u32_e64 s[0:1], 3, v40
	v_cndmask_b32_e64 v44, v44, v15, s[0:1]
	s_or_b64 s[8:9], vcc, s[8:9]
	v_cmp_eq_u32_e32 vcc, 4, v40
	ds_read_b32 v45, v43
	v_cndmask_b32_e32 v44, v44, v16, vcc
	v_cmp_eq_u32_e32 vcc, 5, v40
	v_cndmask_b32_e32 v44, v44, v17, vcc
	v_cmp_eq_u32_e32 vcc, 6, v40
	;; [unrolled: 2-line block ×4, first 2 shown]
	v_add_co_u32_e64 v40, s[0:1], 1, v40
	v_cndmask_b32_e32 v44, v44, v20, vcc
	v_add_u32_e32 v43, 4, v43
	v_addc_co_u32_e64 v11, s[0:1], 0, v11, s[0:1]
	s_waitcnt lgkmcnt(0)
	v_fmac_f32_e32 v41, v44, v45
	s_andn2_b64 exec, exec, s[8:9]
	s_cbranch_execnz .LBB72_109
; %bb.110:
	s_or_b64 exec, exec, s[8:9]
.LBB72_111:
	s_or_b64 exec, exec, s[2:3]
.LBB72_112:
	s_or_b64 exec, exec, s[6:7]
	v_mov_b32_e32 v11, 0
	ds_read_b32 v11, v11
	s_waitcnt lgkmcnt(0)
	v_mul_f32_e32 v12, v41, v11
.LBB72_113:
	s_or_b64 exec, exec, s[4:5]
	s_branch .LBB72_187
.LBB72_114:
	v_cmp_eq_u32_e64 s[2:3], 0, v0
	s_waitcnt vmcnt(7)
	ds_write_b32 v21, v3
	s_waitcnt lgkmcnt(0)
	; wave barrier
	s_waitcnt lgkmcnt(0)
	s_and_saveexec_b64 s[0:1], s[2:3]
	s_cbranch_execz .LBB72_120
; %bb.115:
	s_and_b64 vcc, exec, s[18:19]
	s_cbranch_vccz .LBB72_117
; %bb.116:
	v_cmp_eq_u32_e32 vcc, 1, v0
	v_cndmask_b32_e32 v3, v2, v3, vcc
	v_cmp_eq_u32_e32 vcc, 2, v0
	s_waitcnt vmcnt(6)
	v_cndmask_b32_e32 v3, v3, v4, vcc
	v_cmp_eq_u32_e32 vcc, 3, v0
	s_waitcnt vmcnt(5)
	;; [unrolled: 3-line block ×3, first 2 shown]
	v_cndmask_b32_e32 v3, v3, v6, vcc
	v_cmp_eq_u32_e32 vcc, 5, v0
	ds_read_b32 v11, v21
	s_waitcnt vmcnt(3)
	v_cndmask_b32_e32 v3, v3, v7, vcc
	v_cmp_eq_u32_e32 vcc, 6, v0
	s_waitcnt vmcnt(2)
	v_cndmask_b32_e32 v3, v3, v8, vcc
	v_cmp_eq_u32_e32 vcc, 7, v0
	;; [unrolled: 3-line block ×3, first 2 shown]
	s_waitcnt vmcnt(0)
	v_cndmask_b32_e32 v3, v3, v10, vcc
	s_waitcnt lgkmcnt(0)
	v_mul_f32_e32 v3, v3, v11
	s_cbranch_execz .LBB72_118
	s_branch .LBB72_119
.LBB72_117:
                                        ; implicit-def: $vgpr3
.LBB72_118:
	ds_read_b32 v3, v21
.LBB72_119:
	v_mov_b32_e32 v11, 0
	ds_read_b32 v11, v11 offset:4
	s_waitcnt lgkmcnt(0)
	v_mul_f32_e32 v3, v3, v11
.LBB72_120:
	s_or_b64 exec, exec, s[0:1]
	v_cndmask_b32_e64 v12, 0, 1, s[18:19]
	v_add_u32_e32 v11, 1, v0
	v_cmp_gt_u32_e32 vcc, 2, v0
	v_cmp_ne_u32_e64 s[0:1], 1, v12
	s_waitcnt vmcnt(6)
	ds_write_b32 v21, v4
	s_waitcnt lgkmcnt(0)
	; wave barrier
	s_waitcnt lgkmcnt(0)
	s_and_saveexec_b64 s[4:5], vcc
	s_cbranch_execz .LBB72_128
; %bb.121:
	s_and_b64 vcc, exec, s[0:1]
	s_cbranch_vccnz .LBB72_123
; %bb.122:
	v_cmp_eq_u32_e32 vcc, 1, v0
	v_cndmask_b32_e32 v12, v2, v3, vcc
	v_cmp_eq_u32_e32 vcc, 2, v0
	v_cndmask_b32_e32 v12, v12, v4, vcc
	v_cmp_eq_u32_e32 vcc, 3, v0
	s_waitcnt vmcnt(5)
	v_cndmask_b32_e32 v12, v12, v5, vcc
	v_cmp_eq_u32_e32 vcc, 4, v0
	s_waitcnt vmcnt(4)
	v_cndmask_b32_e32 v12, v12, v6, vcc
	v_cmp_eq_u32_e32 vcc, 5, v0
	ds_read_b32 v13, v21
	s_waitcnt vmcnt(3)
	v_cndmask_b32_e32 v12, v12, v7, vcc
	v_cmp_eq_u32_e32 vcc, 6, v0
	s_waitcnt vmcnt(2)
	v_cndmask_b32_e32 v12, v12, v8, vcc
	v_cmp_eq_u32_e32 vcc, 7, v0
	;; [unrolled: 3-line block ×3, first 2 shown]
	s_waitcnt vmcnt(0)
	v_cndmask_b32_e32 v12, v12, v10, vcc
	s_waitcnt lgkmcnt(0)
	v_mul_f32_e32 v12, v12, v13
	s_cbranch_execz .LBB72_124
	s_branch .LBB72_125
.LBB72_123:
                                        ; implicit-def: $vgpr12
.LBB72_124:
	ds_read_b32 v12, v21
.LBB72_125:
	s_and_saveexec_b64 s[6:7], s[2:3]
	s_cbranch_execz .LBB72_127
; %bb.126:
	v_cmp_eq_u32_e32 vcc, 1, v11
	v_cndmask_b32_e32 v13, v2, v3, vcc
	v_cmp_eq_u32_e32 vcc, 2, v11
	v_cndmask_b32_e32 v4, v13, v4, vcc
	v_cmp_eq_u32_e32 vcc, 3, v11
	s_waitcnt vmcnt(5)
	v_cndmask_b32_e32 v4, v4, v5, vcc
	v_cmp_eq_u32_e32 vcc, 4, v11
	s_waitcnt vmcnt(4)
	v_cndmask_b32_e32 v4, v4, v6, vcc
	v_cmp_eq_u32_e32 vcc, 5, v11
	ds_read_b32 v13, v21 offset:4
	s_waitcnt vmcnt(3)
	v_cndmask_b32_e32 v4, v4, v7, vcc
	v_cmp_eq_u32_e32 vcc, 6, v11
	s_waitcnt vmcnt(2)
	v_cndmask_b32_e32 v4, v4, v8, vcc
	v_cmp_eq_u32_e32 vcc, 7, v11
	;; [unrolled: 3-line block ×3, first 2 shown]
	s_waitcnt vmcnt(0)
	v_cndmask_b32_e32 v4, v4, v10, vcc
	s_waitcnt lgkmcnt(0)
	v_fmac_f32_e32 v12, v4, v13
.LBB72_127:
	s_or_b64 exec, exec, s[6:7]
	v_mov_b32_e32 v4, 0
	ds_read_b32 v4, v4 offset:8
	s_waitcnt lgkmcnt(0)
	v_mul_f32_e32 v4, v12, v4
.LBB72_128:
	s_or_b64 exec, exec, s[4:5]
	v_cmp_gt_u32_e32 vcc, 3, v0
	s_waitcnt vmcnt(5)
	ds_write_b32 v21, v5
	s_waitcnt lgkmcnt(0)
	; wave barrier
	s_waitcnt lgkmcnt(0)
	s_and_saveexec_b64 s[4:5], vcc
	s_cbranch_execz .LBB72_136
; %bb.129:
	s_and_b64 vcc, exec, s[0:1]
	s_cbranch_vccnz .LBB72_131
; %bb.130:
	v_cmp_eq_u32_e32 vcc, 1, v0
	v_cndmask_b32_e32 v12, v2, v3, vcc
	v_cmp_eq_u32_e32 vcc, 2, v0
	v_cndmask_b32_e32 v12, v12, v4, vcc
	;; [unrolled: 2-line block ×3, first 2 shown]
	v_cmp_eq_u32_e32 vcc, 4, v0
	s_waitcnt vmcnt(4)
	v_cndmask_b32_e32 v12, v12, v6, vcc
	v_cmp_eq_u32_e32 vcc, 5, v0
	ds_read_b32 v13, v21
	s_waitcnt vmcnt(3)
	v_cndmask_b32_e32 v12, v12, v7, vcc
	v_cmp_eq_u32_e32 vcc, 6, v0
	s_waitcnt vmcnt(2)
	v_cndmask_b32_e32 v12, v12, v8, vcc
	v_cmp_eq_u32_e32 vcc, 7, v0
	;; [unrolled: 3-line block ×3, first 2 shown]
	s_waitcnt vmcnt(0)
	v_cndmask_b32_e32 v12, v12, v10, vcc
	s_waitcnt lgkmcnt(0)
	v_mul_f32_e32 v12, v12, v13
	s_cbranch_execz .LBB72_132
	s_branch .LBB72_133
.LBB72_131:
                                        ; implicit-def: $vgpr12
.LBB72_132:
	ds_read_b32 v12, v21
.LBB72_133:
	v_cmp_ne_u32_e32 vcc, 2, v0
	s_and_saveexec_b64 s[6:7], vcc
	s_cbranch_execz .LBB72_135
; %bb.134:
	v_cmp_eq_u32_e32 vcc, 1, v11
	v_cndmask_b32_e32 v13, v2, v3, vcc
	v_cmp_eq_u32_e32 vcc, 2, v11
	v_cndmask_b32_e32 v13, v13, v4, vcc
	;; [unrolled: 2-line block ×3, first 2 shown]
	v_cmp_eq_u32_e32 vcc, 4, v11
	s_waitcnt vmcnt(4)
	v_cndmask_b32_e32 v5, v5, v6, vcc
	v_cmp_eq_u32_e32 vcc, 5, v11
	v_mov_b32_e32 v13, 0
	s_waitcnt vmcnt(3)
	v_cndmask_b32_e32 v5, v5, v7, vcc
	v_cmp_eq_u32_e32 vcc, 6, v11
	ds_read_b32 v14, v21 offset:4
	ds_read_b32 v13, v13 offset:56
	s_waitcnt vmcnt(2)
	v_cndmask_b32_e32 v5, v5, v8, vcc
	v_cmp_eq_u32_e32 vcc, 7, v11
	s_waitcnt vmcnt(1)
	v_cndmask_b32_e32 v5, v5, v9, vcc
	v_cmp_eq_u32_e32 vcc, 8, v11
	s_waitcnt vmcnt(0)
	v_cndmask_b32_e32 v5, v5, v10, vcc
	s_waitcnt lgkmcnt(1)
	v_fmac_f32_e32 v12, v5, v14
	s_waitcnt lgkmcnt(0)
	v_fma_f32 v5, v4, v13, v12
	v_cndmask_b32_e64 v12, v12, v5, s[2:3]
.LBB72_135:
	s_or_b64 exec, exec, s[6:7]
	v_mov_b32_e32 v5, 0
	ds_read_b32 v5, v5 offset:12
	s_waitcnt lgkmcnt(0)
	v_mul_f32_e32 v5, v12, v5
.LBB72_136:
	s_or_b64 exec, exec, s[4:5]
	v_cmp_gt_u32_e32 vcc, 4, v0
	s_waitcnt vmcnt(4)
	ds_write_b32 v21, v6
	s_waitcnt lgkmcnt(0)
	; wave barrier
	s_waitcnt lgkmcnt(0)
	s_and_saveexec_b64 s[4:5], vcc
	s_cbranch_execz .LBB72_146
; %bb.137:
	s_and_b64 vcc, exec, s[0:1]
	s_cbranch_vccnz .LBB72_139
; %bb.138:
	v_cmp_eq_u32_e32 vcc, 1, v0
	v_cndmask_b32_e32 v11, v2, v3, vcc
	v_cmp_eq_u32_e32 vcc, 2, v0
	v_cndmask_b32_e32 v11, v11, v4, vcc
	;; [unrolled: 2-line block ×4, first 2 shown]
	v_cmp_eq_u32_e32 vcc, 5, v0
	ds_read_b32 v12, v21
	s_waitcnt vmcnt(3)
	v_cndmask_b32_e32 v11, v11, v7, vcc
	v_cmp_eq_u32_e32 vcc, 6, v0
	s_waitcnt vmcnt(2)
	v_cndmask_b32_e32 v11, v11, v8, vcc
	v_cmp_eq_u32_e32 vcc, 7, v0
	;; [unrolled: 3-line block ×3, first 2 shown]
	s_waitcnt vmcnt(0)
	v_cndmask_b32_e32 v11, v11, v10, vcc
	s_waitcnt lgkmcnt(0)
	v_mul_f32_e32 v11, v11, v12
	s_cbranch_execz .LBB72_140
	s_branch .LBB72_141
.LBB72_139:
                                        ; implicit-def: $vgpr11
.LBB72_140:
	ds_read_b32 v11, v21
.LBB72_141:
	v_cmp_ne_u32_e32 vcc, 3, v0
	s_and_saveexec_b64 s[6:7], vcc
	s_cbranch_execz .LBB72_145
; %bb.142:
	v_lshl_add_u32 v14, v0, 2, 52
	s_mov_b64 s[8:9], 0
	v_pk_mov_b32 v[12:13], v[0:1], v[0:1] op_sel:[0,1]
.LBB72_143:                             ; =>This Inner Loop Header: Depth=1
	v_add_co_u32_e32 v12, vcc, 1, v12
	v_addc_co_u32_e32 v13, vcc, 0, v13, vcc
	v_cmp_eq_u32_e32 vcc, 1, v12
	v_cndmask_b32_e32 v16, v2, v3, vcc
	v_cmp_lt_u32_e32 vcc, 2, v12
	v_cmp_eq_u32_e64 s[2:3], 2, v12
	v_cndmask_b32_e64 v16, v16, v4, s[2:3]
	s_or_b64 s[8:9], vcc, s[8:9]
	v_cmp_eq_u32_e32 vcc, 3, v12
	v_cndmask_b32_e32 v16, v16, v5, vcc
	v_cmp_eq_u32_e32 vcc, 4, v12
	ds_read_b32 v15, v14
	v_cndmask_b32_e32 v16, v16, v6, vcc
	v_cmp_eq_u32_e32 vcc, 5, v12
	s_waitcnt vmcnt(3)
	v_cndmask_b32_e32 v16, v16, v7, vcc
	v_cmp_eq_u32_e32 vcc, 6, v12
	s_waitcnt vmcnt(2)
	;; [unrolled: 3-line block ×4, first 2 shown]
	v_cndmask_b32_e32 v16, v16, v10, vcc
	v_add_u32_e32 v14, 4, v14
	s_waitcnt lgkmcnt(0)
	v_fmac_f32_e32 v11, v16, v15
	s_andn2_b64 exec, exec, s[8:9]
	s_cbranch_execnz .LBB72_143
; %bb.144:
	s_or_b64 exec, exec, s[8:9]
.LBB72_145:
	s_or_b64 exec, exec, s[6:7]
	v_mov_b32_e32 v6, 0
	ds_read_b32 v6, v6 offset:16
	s_waitcnt lgkmcnt(0)
	v_mul_f32_e32 v6, v11, v6
.LBB72_146:
	s_or_b64 exec, exec, s[4:5]
	v_cmp_gt_u32_e32 vcc, 5, v0
	s_waitcnt vmcnt(3)
	ds_write_b32 v21, v7
	s_waitcnt lgkmcnt(0)
	; wave barrier
	s_waitcnt lgkmcnt(0)
	s_and_saveexec_b64 s[4:5], vcc
	s_cbranch_execz .LBB72_156
; %bb.147:
	s_and_b64 vcc, exec, s[0:1]
	s_cbranch_vccnz .LBB72_149
; %bb.148:
	v_cmp_eq_u32_e32 vcc, 1, v0
	v_cndmask_b32_e32 v11, v2, v3, vcc
	v_cmp_eq_u32_e32 vcc, 2, v0
	v_cndmask_b32_e32 v11, v11, v4, vcc
	;; [unrolled: 2-line block ×4, first 2 shown]
	v_cmp_eq_u32_e32 vcc, 5, v0
	ds_read_b32 v12, v21
	v_cndmask_b32_e32 v11, v11, v7, vcc
	v_cmp_eq_u32_e32 vcc, 6, v0
	s_waitcnt vmcnt(2)
	v_cndmask_b32_e32 v11, v11, v8, vcc
	v_cmp_eq_u32_e32 vcc, 7, v0
	s_waitcnt vmcnt(1)
	;; [unrolled: 3-line block ×3, first 2 shown]
	v_cndmask_b32_e32 v11, v11, v10, vcc
	s_waitcnt lgkmcnt(0)
	v_mul_f32_e32 v11, v11, v12
	s_cbranch_execz .LBB72_150
	s_branch .LBB72_151
.LBB72_149:
                                        ; implicit-def: $vgpr11
.LBB72_150:
	ds_read_b32 v11, v21
.LBB72_151:
	v_cmp_ne_u32_e32 vcc, 4, v0
	s_and_saveexec_b64 s[6:7], vcc
	s_cbranch_execz .LBB72_155
; %bb.152:
	v_lshl_add_u32 v14, v0, 2, 52
	s_mov_b64 s[8:9], 0
	v_pk_mov_b32 v[12:13], v[0:1], v[0:1] op_sel:[0,1]
.LBB72_153:                             ; =>This Inner Loop Header: Depth=1
	v_add_co_u32_e32 v12, vcc, 1, v12
	v_addc_co_u32_e32 v13, vcc, 0, v13, vcc
	v_cmp_eq_u32_e32 vcc, 1, v12
	v_cndmask_b32_e32 v16, v2, v3, vcc
	v_cmp_lt_u32_e32 vcc, 3, v12
	v_cmp_eq_u32_e64 s[2:3], 2, v12
	v_cndmask_b32_e64 v16, v16, v4, s[2:3]
	s_or_b64 s[8:9], vcc, s[8:9]
	v_cmp_eq_u32_e32 vcc, 3, v12
	v_cndmask_b32_e32 v16, v16, v5, vcc
	v_cmp_eq_u32_e32 vcc, 4, v12
	ds_read_b32 v15, v14
	v_cndmask_b32_e32 v16, v16, v6, vcc
	v_cmp_eq_u32_e32 vcc, 5, v12
	v_cndmask_b32_e32 v16, v16, v7, vcc
	v_cmp_eq_u32_e32 vcc, 6, v12
	s_waitcnt vmcnt(2)
	v_cndmask_b32_e32 v16, v16, v8, vcc
	v_cmp_eq_u32_e32 vcc, 7, v12
	s_waitcnt vmcnt(1)
	;; [unrolled: 3-line block ×3, first 2 shown]
	v_cndmask_b32_e32 v16, v16, v10, vcc
	v_add_u32_e32 v14, 4, v14
	s_waitcnt lgkmcnt(0)
	v_fmac_f32_e32 v11, v16, v15
	s_andn2_b64 exec, exec, s[8:9]
	s_cbranch_execnz .LBB72_153
; %bb.154:
	s_or_b64 exec, exec, s[8:9]
.LBB72_155:
	s_or_b64 exec, exec, s[6:7]
	v_mov_b32_e32 v7, 0
	ds_read_b32 v7, v7 offset:20
	s_waitcnt lgkmcnt(0)
	v_mul_f32_e32 v7, v11, v7
.LBB72_156:
	s_or_b64 exec, exec, s[4:5]
	v_cmp_gt_u32_e32 vcc, 6, v0
	s_waitcnt vmcnt(2)
	ds_write_b32 v21, v8
	s_waitcnt lgkmcnt(0)
	; wave barrier
	s_waitcnt lgkmcnt(0)
	s_and_saveexec_b64 s[4:5], vcc
	s_cbranch_execz .LBB72_166
; %bb.157:
	s_and_b64 vcc, exec, s[0:1]
	s_cbranch_vccnz .LBB72_159
; %bb.158:
	v_cmp_eq_u32_e32 vcc, 1, v0
	v_cndmask_b32_e32 v11, v2, v3, vcc
	v_cmp_eq_u32_e32 vcc, 2, v0
	v_cndmask_b32_e32 v11, v11, v4, vcc
	;; [unrolled: 2-line block ×4, first 2 shown]
	v_cmp_eq_u32_e32 vcc, 5, v0
	ds_read_b32 v12, v21
	v_cndmask_b32_e32 v11, v11, v7, vcc
	v_cmp_eq_u32_e32 vcc, 6, v0
	v_cndmask_b32_e32 v11, v11, v8, vcc
	v_cmp_eq_u32_e32 vcc, 7, v0
	s_waitcnt vmcnt(1)
	v_cndmask_b32_e32 v11, v11, v9, vcc
	v_cmp_eq_u32_e32 vcc, 8, v0
	s_waitcnt vmcnt(0)
	v_cndmask_b32_e32 v11, v11, v10, vcc
	s_waitcnt lgkmcnt(0)
	v_mul_f32_e32 v11, v11, v12
	s_cbranch_execz .LBB72_160
	s_branch .LBB72_161
.LBB72_159:
                                        ; implicit-def: $vgpr11
.LBB72_160:
	ds_read_b32 v11, v21
.LBB72_161:
	v_cmp_ne_u32_e32 vcc, 5, v0
	s_and_saveexec_b64 s[6:7], vcc
	s_cbranch_execz .LBB72_165
; %bb.162:
	v_lshl_add_u32 v14, v0, 2, 52
	s_mov_b64 s[8:9], 0
	v_pk_mov_b32 v[12:13], v[0:1], v[0:1] op_sel:[0,1]
.LBB72_163:                             ; =>This Inner Loop Header: Depth=1
	v_add_co_u32_e32 v12, vcc, 1, v12
	v_addc_co_u32_e32 v13, vcc, 0, v13, vcc
	v_cmp_eq_u32_e32 vcc, 1, v12
	v_cndmask_b32_e32 v16, v2, v3, vcc
	v_cmp_lt_u32_e32 vcc, 4, v12
	v_cmp_eq_u32_e64 s[2:3], 2, v12
	v_cndmask_b32_e64 v16, v16, v4, s[2:3]
	s_or_b64 s[8:9], vcc, s[8:9]
	v_cmp_eq_u32_e32 vcc, 3, v12
	v_cndmask_b32_e32 v16, v16, v5, vcc
	v_cmp_eq_u32_e32 vcc, 4, v12
	ds_read_b32 v15, v14
	v_cndmask_b32_e32 v16, v16, v6, vcc
	v_cmp_eq_u32_e32 vcc, 5, v12
	v_cndmask_b32_e32 v16, v16, v7, vcc
	v_cmp_eq_u32_e32 vcc, 6, v12
	;; [unrolled: 2-line block ×3, first 2 shown]
	s_waitcnt vmcnt(1)
	v_cndmask_b32_e32 v16, v16, v9, vcc
	v_cmp_eq_u32_e32 vcc, 8, v12
	s_waitcnt vmcnt(0)
	v_cndmask_b32_e32 v16, v16, v10, vcc
	v_add_u32_e32 v14, 4, v14
	s_waitcnt lgkmcnt(0)
	v_fmac_f32_e32 v11, v16, v15
	s_andn2_b64 exec, exec, s[8:9]
	s_cbranch_execnz .LBB72_163
; %bb.164:
	s_or_b64 exec, exec, s[8:9]
.LBB72_165:
	s_or_b64 exec, exec, s[6:7]
	v_mov_b32_e32 v8, 0
	ds_read_b32 v8, v8 offset:24
	s_waitcnt lgkmcnt(0)
	v_mul_f32_e32 v8, v11, v8
.LBB72_166:
	s_or_b64 exec, exec, s[4:5]
	v_cmp_gt_u32_e64 s[2:3], 7, v0
	s_waitcnt vmcnt(1)
	ds_write_b32 v21, v9
	s_waitcnt lgkmcnt(0)
	; wave barrier
	s_waitcnt lgkmcnt(0)
	s_and_saveexec_b64 s[6:7], s[2:3]
	s_cbranch_execz .LBB72_176
; %bb.167:
	s_and_b64 vcc, exec, s[0:1]
	s_cbranch_vccnz .LBB72_169
; %bb.168:
	v_cmp_eq_u32_e32 vcc, 1, v0
	v_cndmask_b32_e32 v11, v2, v3, vcc
	v_cmp_eq_u32_e32 vcc, 2, v0
	v_cndmask_b32_e32 v11, v11, v4, vcc
	;; [unrolled: 2-line block ×4, first 2 shown]
	v_cmp_eq_u32_e32 vcc, 5, v0
	ds_read_b32 v12, v21
	v_cndmask_b32_e32 v11, v11, v7, vcc
	v_cmp_eq_u32_e32 vcc, 6, v0
	v_cndmask_b32_e32 v11, v11, v8, vcc
	v_cmp_eq_u32_e32 vcc, 7, v0
	v_cndmask_b32_e32 v11, v11, v9, vcc
	v_cmp_eq_u32_e32 vcc, 8, v0
	s_waitcnt vmcnt(0)
	v_cndmask_b32_e32 v11, v11, v10, vcc
	s_waitcnt lgkmcnt(0)
	v_mul_f32_e32 v11, v11, v12
	s_cbranch_execz .LBB72_170
	s_branch .LBB72_171
.LBB72_169:
                                        ; implicit-def: $vgpr11
.LBB72_170:
	ds_read_b32 v11, v21
.LBB72_171:
	v_cmp_ne_u32_e32 vcc, 6, v0
	s_and_saveexec_b64 s[8:9], vcc
	s_cbranch_execz .LBB72_175
; %bb.172:
	v_lshl_add_u32 v14, v0, 2, 52
	s_mov_b64 s[10:11], 0
	v_pk_mov_b32 v[12:13], v[0:1], v[0:1] op_sel:[0,1]
.LBB72_173:                             ; =>This Inner Loop Header: Depth=1
	v_add_co_u32_e32 v12, vcc, 1, v12
	v_addc_co_u32_e32 v13, vcc, 0, v13, vcc
	v_cmp_eq_u32_e32 vcc, 1, v12
	v_cndmask_b32_e32 v16, v2, v3, vcc
	v_cmp_lt_u32_e32 vcc, 5, v12
	v_cmp_eq_u32_e64 s[4:5], 2, v12
	v_cndmask_b32_e64 v16, v16, v4, s[4:5]
	s_or_b64 s[10:11], vcc, s[10:11]
	v_cmp_eq_u32_e32 vcc, 3, v12
	v_cndmask_b32_e32 v16, v16, v5, vcc
	v_cmp_eq_u32_e32 vcc, 4, v12
	ds_read_b32 v15, v14
	v_cndmask_b32_e32 v16, v16, v6, vcc
	v_cmp_eq_u32_e32 vcc, 5, v12
	v_cndmask_b32_e32 v16, v16, v7, vcc
	v_cmp_eq_u32_e32 vcc, 6, v12
	v_cndmask_b32_e32 v16, v16, v8, vcc
	v_cmp_eq_u32_e32 vcc, 7, v12
	v_cndmask_b32_e32 v16, v16, v9, vcc
	v_cmp_eq_u32_e32 vcc, 8, v12
	s_waitcnt vmcnt(0)
	v_cndmask_b32_e32 v16, v16, v10, vcc
	v_add_u32_e32 v14, 4, v14
	s_waitcnt lgkmcnt(0)
	v_fmac_f32_e32 v11, v16, v15
	s_andn2_b64 exec, exec, s[10:11]
	s_cbranch_execnz .LBB72_173
; %bb.174:
	s_or_b64 exec, exec, s[10:11]
.LBB72_175:
	s_or_b64 exec, exec, s[8:9]
	v_mov_b32_e32 v9, 0
	ds_read_b32 v9, v9 offset:28
	s_waitcnt lgkmcnt(0)
	v_mul_f32_e32 v9, v11, v9
.LBB72_176:
	s_or_b64 exec, exec, s[6:7]
	v_cmp_ne_u32_e32 vcc, 8, v0
	s_waitcnt vmcnt(0)
	ds_write_b32 v21, v10
	s_waitcnt lgkmcnt(0)
	; wave barrier
	s_waitcnt lgkmcnt(0)
	s_and_saveexec_b64 s[4:5], vcc
	s_cbranch_execz .LBB72_186
; %bb.177:
	s_and_b64 vcc, exec, s[0:1]
	s_cbranch_vccnz .LBB72_179
; %bb.178:
	v_cmp_eq_u32_e32 vcc, 1, v0
	v_cndmask_b32_e32 v11, v2, v3, vcc
	v_cmp_eq_u32_e32 vcc, 2, v0
	v_cndmask_b32_e32 v11, v11, v4, vcc
	v_cmp_eq_u32_e32 vcc, 3, v0
	v_cndmask_b32_e32 v11, v11, v5, vcc
	v_cmp_eq_u32_e32 vcc, 4, v0
	v_cndmask_b32_e32 v11, v11, v6, vcc
	v_cmp_eq_u32_e32 vcc, 5, v0
	ds_read_b32 v12, v21
	v_cndmask_b32_e32 v11, v11, v7, vcc
	v_cmp_eq_u32_e32 vcc, 6, v0
	v_cndmask_b32_e32 v11, v11, v8, vcc
	v_cmp_eq_u32_e32 vcc, 7, v0
	;; [unrolled: 2-line block ×3, first 2 shown]
	v_cndmask_b32_e32 v11, v11, v10, vcc
	s_waitcnt lgkmcnt(0)
	v_mul_f32_e32 v11, v11, v12
	s_cbranch_execz .LBB72_180
	s_branch .LBB72_181
.LBB72_179:
                                        ; implicit-def: $vgpr11
.LBB72_180:
	ds_read_b32 v11, v21
.LBB72_181:
	s_and_saveexec_b64 s[6:7], s[2:3]
	s_cbranch_execz .LBB72_185
; %bb.182:
	v_lshl_add_u32 v12, v0, 2, 52
	s_mov_b64 s[2:3], 0
.LBB72_183:                             ; =>This Inner Loop Header: Depth=1
	v_add_co_u32_e32 v0, vcc, 1, v0
	v_addc_co_u32_e32 v1, vcc, 0, v1, vcc
	v_cmp_eq_u32_e32 vcc, 1, v0
	v_cndmask_b32_e32 v14, v2, v3, vcc
	v_cmp_lt_u32_e32 vcc, 6, v0
	v_cmp_eq_u32_e64 s[0:1], 2, v0
	v_cndmask_b32_e64 v14, v14, v4, s[0:1]
	s_or_b64 s[2:3], vcc, s[2:3]
	v_cmp_eq_u32_e32 vcc, 3, v0
	v_cndmask_b32_e32 v14, v14, v5, vcc
	v_cmp_eq_u32_e32 vcc, 4, v0
	ds_read_b32 v13, v12
	v_cndmask_b32_e32 v14, v14, v6, vcc
	v_cmp_eq_u32_e32 vcc, 5, v0
	v_cndmask_b32_e32 v14, v14, v7, vcc
	v_cmp_eq_u32_e32 vcc, 6, v0
	;; [unrolled: 2-line block ×4, first 2 shown]
	v_cndmask_b32_e32 v14, v14, v10, vcc
	v_add_u32_e32 v12, 4, v12
	s_waitcnt lgkmcnt(0)
	v_fmac_f32_e32 v11, v14, v13
	s_andn2_b64 exec, exec, s[2:3]
	s_cbranch_execnz .LBB72_183
; %bb.184:
	s_or_b64 exec, exec, s[2:3]
.LBB72_185:
	s_or_b64 exec, exec, s[6:7]
	v_mov_b32_e32 v0, 0
	ds_read_b32 v0, v0 offset:32
	s_waitcnt lgkmcnt(0)
	v_mul_f32_e32 v10, v11, v0
.LBB72_186:
	s_or_b64 exec, exec, s[4:5]
	v_mov_b32_e32 v20, v10
	v_mov_b32_e32 v19, v9
	;; [unrolled: 1-line block ×9, first 2 shown]
.LBB72_187:
	global_store_dword v[22:23], v12, off
	global_store_dword v[24:25], v13, off
	;; [unrolled: 1-line block ×9, first 2 shown]
.LBB72_188:
	s_endpgm
	.section	.rodata,"a",@progbits
	.p2align	6, 0x0
	.amdhsa_kernel _ZN9rocsolver6v33100L18trti2_kernel_smallILi9EfPKPfEEv13rocblas_fill_17rocblas_diagonal_T1_iil
		.amdhsa_group_segment_fixed_size 84
		.amdhsa_private_segment_fixed_size 0
		.amdhsa_kernarg_size 32
		.amdhsa_user_sgpr_count 6
		.amdhsa_user_sgpr_private_segment_buffer 1
		.amdhsa_user_sgpr_dispatch_ptr 0
		.amdhsa_user_sgpr_queue_ptr 0
		.amdhsa_user_sgpr_kernarg_segment_ptr 1
		.amdhsa_user_sgpr_dispatch_id 0
		.amdhsa_user_sgpr_flat_scratch_init 0
		.amdhsa_user_sgpr_kernarg_preload_length 0
		.amdhsa_user_sgpr_kernarg_preload_offset 0
		.amdhsa_user_sgpr_private_segment_size 0
		.amdhsa_uses_dynamic_stack 0
		.amdhsa_system_sgpr_private_segment_wavefront_offset 0
		.amdhsa_system_sgpr_workgroup_id_x 1
		.amdhsa_system_sgpr_workgroup_id_y 0
		.amdhsa_system_sgpr_workgroup_id_z 0
		.amdhsa_system_sgpr_workgroup_info 0
		.amdhsa_system_vgpr_workitem_id 0
		.amdhsa_next_free_vgpr 56
		.amdhsa_next_free_sgpr 24
		.amdhsa_accum_offset 56
		.amdhsa_reserve_vcc 1
		.amdhsa_reserve_flat_scratch 0
		.amdhsa_float_round_mode_32 0
		.amdhsa_float_round_mode_16_64 0
		.amdhsa_float_denorm_mode_32 3
		.amdhsa_float_denorm_mode_16_64 3
		.amdhsa_dx10_clamp 1
		.amdhsa_ieee_mode 1
		.amdhsa_fp16_overflow 0
		.amdhsa_tg_split 0
		.amdhsa_exception_fp_ieee_invalid_op 0
		.amdhsa_exception_fp_denorm_src 0
		.amdhsa_exception_fp_ieee_div_zero 0
		.amdhsa_exception_fp_ieee_overflow 0
		.amdhsa_exception_fp_ieee_underflow 0
		.amdhsa_exception_fp_ieee_inexact 0
		.amdhsa_exception_int_div_zero 0
	.end_amdhsa_kernel
	.section	.text._ZN9rocsolver6v33100L18trti2_kernel_smallILi9EfPKPfEEv13rocblas_fill_17rocblas_diagonal_T1_iil,"axG",@progbits,_ZN9rocsolver6v33100L18trti2_kernel_smallILi9EfPKPfEEv13rocblas_fill_17rocblas_diagonal_T1_iil,comdat
.Lfunc_end72:
	.size	_ZN9rocsolver6v33100L18trti2_kernel_smallILi9EfPKPfEEv13rocblas_fill_17rocblas_diagonal_T1_iil, .Lfunc_end72-_ZN9rocsolver6v33100L18trti2_kernel_smallILi9EfPKPfEEv13rocblas_fill_17rocblas_diagonal_T1_iil
                                        ; -- End function
	.section	.AMDGPU.csdata,"",@progbits
; Kernel info:
; codeLenInByte = 7528
; NumSgprs: 28
; NumVgprs: 56
; NumAgprs: 0
; TotalNumVgprs: 56
; ScratchSize: 0
; MemoryBound: 0
; FloatMode: 240
; IeeeMode: 1
; LDSByteSize: 84 bytes/workgroup (compile time only)
; SGPRBlocks: 3
; VGPRBlocks: 6
; NumSGPRsForWavesPerEU: 28
; NumVGPRsForWavesPerEU: 56
; AccumOffset: 56
; Occupancy: 8
; WaveLimiterHint : 1
; COMPUTE_PGM_RSRC2:SCRATCH_EN: 0
; COMPUTE_PGM_RSRC2:USER_SGPR: 6
; COMPUTE_PGM_RSRC2:TRAP_HANDLER: 0
; COMPUTE_PGM_RSRC2:TGID_X_EN: 1
; COMPUTE_PGM_RSRC2:TGID_Y_EN: 0
; COMPUTE_PGM_RSRC2:TGID_Z_EN: 0
; COMPUTE_PGM_RSRC2:TIDIG_COMP_CNT: 0
; COMPUTE_PGM_RSRC3_GFX90A:ACCUM_OFFSET: 13
; COMPUTE_PGM_RSRC3_GFX90A:TG_SPLIT: 0
	.section	.text._ZN9rocsolver6v33100L18trti2_kernel_smallILi10EfPKPfEEv13rocblas_fill_17rocblas_diagonal_T1_iil,"axG",@progbits,_ZN9rocsolver6v33100L18trti2_kernel_smallILi10EfPKPfEEv13rocblas_fill_17rocblas_diagonal_T1_iil,comdat
	.globl	_ZN9rocsolver6v33100L18trti2_kernel_smallILi10EfPKPfEEv13rocblas_fill_17rocblas_diagonal_T1_iil ; -- Begin function _ZN9rocsolver6v33100L18trti2_kernel_smallILi10EfPKPfEEv13rocblas_fill_17rocblas_diagonal_T1_iil
	.p2align	8
	.type	_ZN9rocsolver6v33100L18trti2_kernel_smallILi10EfPKPfEEv13rocblas_fill_17rocblas_diagonal_T1_iil,@function
_ZN9rocsolver6v33100L18trti2_kernel_smallILi10EfPKPfEEv13rocblas_fill_17rocblas_diagonal_T1_iil: ; @_ZN9rocsolver6v33100L18trti2_kernel_smallILi10EfPKPfEEv13rocblas_fill_17rocblas_diagonal_T1_iil
; %bb.0:
	v_cmp_gt_u32_e32 vcc, 10, v0
	s_and_saveexec_b64 s[0:1], vcc
	s_cbranch_execz .LBB73_226
; %bb.1:
	s_load_dwordx2 s[0:1], s[4:5], 0x10
	s_load_dwordx4 s[20:23], s[4:5], 0x0
	s_ashr_i32 s7, s6, 31
	s_lshl_b64 s[2:3], s[6:7], 3
	v_lshlrev_b32_e32 v12, 2, v0
	s_waitcnt lgkmcnt(0)
	s_ashr_i32 s5, s0, 31
	s_add_u32 s2, s22, s2
	s_addc_u32 s3, s23, s3
	s_load_dwordx2 s[2:3], s[2:3], 0x0
	s_mov_b32 s4, s0
	s_lshl_b64 s[4:5], s[4:5], 2
	v_mov_b32_e32 v13, -1.0
	s_waitcnt lgkmcnt(0)
	s_add_u32 s2, s2, s4
	s_addc_u32 s3, s3, s5
	v_mov_b32_e32 v1, s3
	v_add_co_u32_e32 v22, vcc, s2, v12
	s_ashr_i32 s5, s1, 31
	s_mov_b32 s4, s1
	s_add_i32 s0, s1, s1
	v_addc_co_u32_e32 v23, vcc, 0, v1, vcc
	s_lshl_b64 s[4:5], s[4:5], 2
	v_add_u32_e32 v2, s0, v0
	v_mov_b32_e32 v1, s5
	v_add_co_u32_e32 v24, vcc, s4, v22
	v_ashrrev_i32_e32 v3, 31, v2
	v_addc_co_u32_e32 v25, vcc, v23, v1, vcc
	v_lshlrev_b64 v[4:5], 2, v[2:3]
	v_add_u32_e32 v2, s1, v2
	v_mov_b32_e32 v1, s3
	v_add_co_u32_e32 v26, vcc, s2, v4
	v_ashrrev_i32_e32 v3, 31, v2
	v_addc_co_u32_e32 v27, vcc, v1, v5, vcc
	v_lshlrev_b64 v[4:5], 2, v[2:3]
	v_add_u32_e32 v2, s1, v2
	v_add_co_u32_e32 v28, vcc, s2, v4
	v_ashrrev_i32_e32 v3, 31, v2
	v_addc_co_u32_e32 v29, vcc, v1, v5, vcc
	v_lshlrev_b64 v[4:5], 2, v[2:3]
	v_add_u32_e32 v2, s1, v2
	;; [unrolled: 5-line block ×5, first 2 shown]
	v_add_co_u32_e32 v36, vcc, s2, v4
	v_ashrrev_i32_e32 v3, 31, v2
	v_addc_co_u32_e32 v37, vcc, v1, v5, vcc
	v_lshlrev_b64 v[4:5], 2, v[2:3]
	v_add_co_u32_e32 v38, vcc, s2, v4
	v_addc_co_u32_e32 v39, vcc, v1, v5, vcc
	global_load_dword v3, v[24:25], off
	global_load_dword v4, v[26:27], off
	;; [unrolled: 1-line block ×8, first 2 shown]
	v_add_u32_e32 v14, s1, v2
	v_ashrrev_i32_e32 v15, 31, v14
	v_lshlrev_b64 v[14:15], 2, v[14:15]
	v_add_co_u32_e32 v40, vcc, s2, v14
	v_addc_co_u32_e32 v41, vcc, v1, v15, vcc
	global_load_dword v2, v12, s[2:3]
	global_load_dword v11, v[40:41], off
	s_cmpk_lg_i32 s21, 0x84
	v_mov_b32_e32 v1, 0
	s_cselect_b64 s[22:23], -1, 0
	s_cmpk_eq_i32 s21, 0x84
	v_cmp_eq_u32_e64 s[0:1], 0, v0
	s_cbranch_scc1 .LBB73_3
; %bb.2:
	v_cmp_eq_u32_e64 s[2:3], 1, v0
	s_waitcnt vmcnt(1)
	v_cndmask_b32_e64 v13, v2, v3, s[2:3]
	v_cmp_eq_u32_e64 s[4:5], 2, v0
	v_cndmask_b32_e64 v13, v13, v4, s[4:5]
	v_cmp_eq_u32_e64 s[6:7], 3, v0
	;; [unrolled: 2-line block ×8, first 2 shown]
	s_waitcnt vmcnt(0)
	v_cndmask_b32_e64 v13, v13, v11, s[18:19]
	v_div_scale_f32 v14, s[24:25], v13, v13, 1.0
	v_rcp_f32_e32 v15, v14
	v_fma_f32 v16, -v14, v15, 1.0
	v_fmac_f32_e32 v15, v16, v15
	v_div_scale_f32 v16, vcc, 1.0, v13, 1.0
	v_mul_f32_e32 v17, v16, v15
	v_fma_f32 v18, -v14, v17, v16
	v_fmac_f32_e32 v17, v18, v15
	v_fma_f32 v14, -v14, v17, v16
	v_div_fmas_f32 v14, v14, v15, v17
	v_div_fixup_f32 v13, v14, v13, 1.0
	v_cndmask_b32_e64 v11, v11, v13, s[18:19]
	v_cndmask_b32_e64 v10, v10, v13, s[16:17]
	;; [unrolled: 1-line block ×10, first 2 shown]
	v_xor_b32_e32 v13, 0x80000000, v13
.LBB73_3:
	s_cmpk_eq_i32 s20, 0x79
	v_add_u32_e32 v45, 48, v12
	ds_write_b32 v12, v13
	s_cbranch_scc1 .LBB73_7
; %bb.4:
	s_waitcnt vmcnt(0)
	v_pk_mov_b32 v[20:21], v[10:11], v[10:11] op_sel:[0,1]
	v_cmp_eq_u32_e64 s[0:1], 9, v0
	v_pk_mov_b32 v[18:19], v[8:9], v[8:9] op_sel:[0,1]
	v_pk_mov_b32 v[16:17], v[6:7], v[6:7] op_sel:[0,1]
	;; [unrolled: 1-line block ×4, first 2 shown]
	ds_write_b32 v45, v10
	s_waitcnt lgkmcnt(0)
	; wave barrier
	s_waitcnt lgkmcnt(0)
	s_and_saveexec_b64 s[2:3], s[0:1]
	s_cbranch_execz .LBB73_11
; %bb.5:
	s_and_b64 vcc, exec, s[22:23]
	s_cbranch_vccz .LBB73_8
; %bb.6:
	v_cmp_eq_u32_e32 vcc, 1, v0
	v_cndmask_b32_e32 v12, v2, v3, vcc
	v_cmp_eq_u32_e32 vcc, 2, v0
	v_cndmask_b32_e32 v12, v12, v4, vcc
	v_cmp_eq_u32_e32 vcc, 3, v0
	v_cndmask_b32_e32 v12, v12, v5, vcc
	v_cmp_eq_u32_e32 vcc, 4, v0
	v_cndmask_b32_e32 v12, v12, v6, vcc
	v_cmp_eq_u32_e32 vcc, 5, v0
	v_cndmask_b32_e32 v12, v12, v7, vcc
	v_cmp_eq_u32_e32 vcc, 6, v0
	ds_read_b32 v13, v45
	v_cndmask_b32_e32 v12, v12, v8, vcc
	v_cmp_eq_u32_e32 vcc, 7, v0
	v_cndmask_b32_e32 v12, v12, v9, vcc
	v_cmp_eq_u32_e32 vcc, 8, v0
	;; [unrolled: 2-line block ×3, first 2 shown]
	v_cndmask_b32_e32 v12, v12, v11, vcc
	s_waitcnt lgkmcnt(0)
	v_mul_f32_e32 v12, v12, v13
	s_cbranch_execz .LBB73_9
	s_branch .LBB73_10
.LBB73_7:
                                        ; implicit-def: $vgpr12_vgpr13_vgpr14_vgpr15_vgpr16_vgpr17_vgpr18_vgpr19_vgpr20_vgpr21
	s_cbranch_execnz .LBB73_130
	s_branch .LBB73_225
.LBB73_8:
                                        ; implicit-def: $vgpr12
.LBB73_9:
	ds_read_b32 v12, v45
.LBB73_10:
	v_mov_b32_e32 v13, 0
	ds_read_b32 v13, v13 offset:32
	s_waitcnt lgkmcnt(0)
	v_mul_f32_e32 v42, v12, v13
	v_pk_mov_b32 v[20:21], v[10:11], v[10:11] op_sel:[0,1]
	v_pk_mov_b32 v[18:19], v[8:9], v[8:9] op_sel:[0,1]
	v_pk_mov_b32 v[16:17], v[6:7], v[6:7] op_sel:[0,1]
	v_pk_mov_b32 v[14:15], v[4:5], v[4:5] op_sel:[0,1]
	v_pk_mov_b32 v[12:13], v[2:3], v[2:3] op_sel:[0,1]
	v_mov_b32_e32 v20, v42
.LBB73_11:
	s_or_b64 exec, exec, s[2:3]
	v_cmp_lt_u32_e64 s[2:3], 7, v0
	ds_write_b32 v45, v19
	s_waitcnt lgkmcnt(0)
	; wave barrier
	s_waitcnt lgkmcnt(0)
	s_and_saveexec_b64 s[4:5], s[2:3]
	s_cbranch_execz .LBB73_17
; %bb.12:
	s_andn2_b64 vcc, exec, s[22:23]
	s_cbranch_vccnz .LBB73_14
; %bb.13:
	v_cmp_eq_u32_e32 vcc, 1, v0
	v_cndmask_b32_e32 v42, v12, v13, vcc
	v_cmp_eq_u32_e32 vcc, 2, v0
	v_cndmask_b32_e32 v42, v42, v14, vcc
	;; [unrolled: 2-line block ×7, first 2 shown]
	ds_read_b32 v42, v45
	v_cmp_eq_u32_e32 vcc, 8, v0
	v_cndmask_b32_e32 v19, v19, v20, vcc
	v_cmp_eq_u32_e32 vcc, 9, v0
	v_cndmask_b32_e32 v19, v19, v21, vcc
	s_waitcnt lgkmcnt(0)
	v_mul_f32_e32 v19, v19, v42
	s_cbranch_execz .LBB73_15
	s_branch .LBB73_16
.LBB73_14:
                                        ; implicit-def: $vgpr19
.LBB73_15:
	ds_read_b32 v19, v45
.LBB73_16:
	v_mov_b32_e32 v42, 0
	ds_read2_b32 v[42:43], v42 offset0:7 offset1:20
	s_waitcnt lgkmcnt(0)
	v_fma_f32 v43, v20, v43, v19
	v_cndmask_b32_e64 v19, v19, v43, s[0:1]
	v_mul_f32_e32 v19, v19, v42
.LBB73_17:
	s_or_b64 exec, exec, s[4:5]
	v_cmp_lt_u32_e64 s[0:1], 6, v0
	ds_write_b32 v45, v18
	s_waitcnt lgkmcnt(0)
	; wave barrier
	s_waitcnt lgkmcnt(0)
	s_and_saveexec_b64 s[4:5], s[0:1]
	s_cbranch_execz .LBB73_33
; %bb.18:
	s_andn2_b64 vcc, exec, s[22:23]
	s_cbranch_vccnz .LBB73_20
; %bb.19:
	v_cmp_eq_u32_e32 vcc, 1, v0
	v_cndmask_b32_e32 v42, v12, v13, vcc
	v_cmp_eq_u32_e32 vcc, 2, v0
	v_cndmask_b32_e32 v42, v42, v14, vcc
	;; [unrolled: 2-line block ×5, first 2 shown]
	v_cmp_eq_u32_e32 vcc, 6, v0
	ds_read_b32 v43, v45
	v_cndmask_b32_e32 v42, v42, v18, vcc
	v_cmp_eq_u32_e32 vcc, 7, v0
	v_cndmask_b32_e32 v42, v42, v19, vcc
	v_cmp_eq_u32_e32 vcc, 8, v0
	;; [unrolled: 2-line block ×3, first 2 shown]
	v_cndmask_b32_e32 v42, v42, v21, vcc
	s_waitcnt lgkmcnt(0)
	v_mul_f32_e32 v46, v42, v43
	s_cbranch_execz .LBB73_21
	s_branch .LBB73_22
.LBB73_20:
                                        ; implicit-def: $vgpr46
.LBB73_21:
	ds_read_b32 v46, v45
.LBB73_22:
	s_and_saveexec_b64 s[6:7], s[2:3]
	s_cbranch_execz .LBB73_32
; %bb.23:
	v_add_u32_e32 v42, -8, v0
	v_add_u32_e32 v43, -7, v0
	v_cmp_lt_u32_e32 vcc, 6, v42
	v_mov_b32_e32 v42, 7
	s_and_saveexec_b64 s[2:3], vcc
	s_cbranch_execz .LBB73_27
; %bb.24:
	v_and_b32_e32 v42, -8, v43
	v_sub_u32_e32 v44, 0, v42
	s_mov_b64 s[8:9], 14
	s_movk_i32 s12, 0x4c
	s_mov_b64 s[10:11], 0
.LBB73_25:                              ; =>This Inner Loop Header: Depth=1
	s_add_i32 s13, s8, -7
	v_mov_b32_e32 v42, s12
	s_add_i32 s14, s8, -6
	s_set_gpr_idx_on s13, gpr_idx(SRC0)
	v_mov_b32_e32 v47, v12
	s_set_gpr_idx_off
	ds_read2_b32 v[48:49], v42 offset1:1
	s_add_i32 s15, s8, -5
	s_set_gpr_idx_on s14, gpr_idx(SRC0)
	v_mov_b32_e32 v54, v12
	s_set_gpr_idx_off
	s_add_i32 s16, s8, -4
	s_set_gpr_idx_on s15, gpr_idx(SRC0)
	v_mov_b32_e32 v55, v12
	s_set_gpr_idx_off
	ds_read2_b32 v[50:51], v42 offset0:2 offset1:3
	s_add_i32 s17, s8, -3
	s_set_gpr_idx_on s16, gpr_idx(SRC0)
	v_mov_b32_e32 v56, v12
	s_set_gpr_idx_off
	s_add_i32 s18, s8, -2
	s_set_gpr_idx_on s17, gpr_idx(SRC0)
	v_mov_b32_e32 v57, v12
	s_set_gpr_idx_off
	ds_read2_b32 v[52:53], v42 offset0:4 offset1:5
	s_add_i32 s19, s8, -1
	s_waitcnt lgkmcnt(2)
	v_fmac_f32_e32 v46, v47, v48
	s_set_gpr_idx_on s18, gpr_idx(SRC0)
	v_mov_b32_e32 v47, v12
	s_set_gpr_idx_off
	v_fmac_f32_e32 v46, v54, v49
	s_set_gpr_idx_on s19, gpr_idx(SRC0)
	v_mov_b32_e32 v54, v12
	s_set_gpr_idx_off
	ds_read2_b32 v[48:49], v42 offset0:6 offset1:7
	s_waitcnt lgkmcnt(2)
	v_fmac_f32_e32 v46, v55, v50
	s_set_gpr_idx_on s8, gpr_idx(SRC0)
	v_mov_b32_e32 v50, v12
	s_set_gpr_idx_off
	v_fmac_f32_e32 v46, v56, v51
	s_add_u32 s8, s8, 8
	s_waitcnt lgkmcnt(1)
	v_fmac_f32_e32 v46, v57, v52
	v_add_u32_e32 v42, s8, v44
	v_fmac_f32_e32 v46, v47, v53
	s_addc_u32 s9, s9, 0
	s_add_i32 s12, s12, 32
	s_add_i32 s13, s8, -7
	v_cmp_eq_u32_e32 vcc, 14, v42
	s_waitcnt lgkmcnt(0)
	v_fmac_f32_e32 v46, v54, v48
	v_mov_b32_e32 v42, s13
	s_or_b64 s[10:11], vcc, s[10:11]
	v_fmac_f32_e32 v46, v50, v49
	s_andn2_b64 exec, exec, s[10:11]
	s_cbranch_execnz .LBB73_25
; %bb.26:
	s_or_b64 exec, exec, s[10:11]
.LBB73_27:
	s_or_b64 exec, exec, s[2:3]
	v_and_b32_e32 v44, 7, v43
	v_cmp_ne_u32_e32 vcc, 0, v44
	s_and_saveexec_b64 s[8:9], vcc
	s_cbranch_execz .LBB73_31
; %bb.28:
	v_lshl_add_u32 v47, v42, 2, 48
	v_mov_b32_e32 v43, 0
	s_mov_b64 s[10:11], 0
.LBB73_29:                              ; =>This Inner Loop Header: Depth=1
	v_cmp_eq_u32_e32 vcc, 1, v42
	v_cndmask_b32_e32 v48, v12, v13, vcc
	v_add_u32_e32 v44, -1, v44
	v_cmp_eq_u32_e32 vcc, 2, v42
	v_cndmask_b32_e32 v48, v48, v14, vcc
	v_cmp_eq_u32_e32 vcc, 0, v44
	v_cmp_eq_u32_e64 s[2:3], 3, v42
	v_cndmask_b32_e64 v48, v48, v15, s[2:3]
	s_or_b64 s[10:11], vcc, s[10:11]
	v_cmp_eq_u32_e32 vcc, 4, v42
	v_cndmask_b32_e32 v48, v48, v16, vcc
	v_cmp_eq_u32_e32 vcc, 5, v42
	ds_read_b32 v49, v47
	v_cndmask_b32_e32 v48, v48, v17, vcc
	v_cmp_eq_u32_e32 vcc, 6, v42
	v_cndmask_b32_e32 v48, v48, v18, vcc
	v_cmp_eq_u32_e32 vcc, 7, v42
	;; [unrolled: 2-line block ×4, first 2 shown]
	v_add_co_u32_e64 v42, s[2:3], 1, v42
	v_cndmask_b32_e32 v48, v48, v21, vcc
	v_add_u32_e32 v47, 4, v47
	v_addc_co_u32_e64 v43, s[2:3], 0, v43, s[2:3]
	s_waitcnt lgkmcnt(0)
	v_fmac_f32_e32 v46, v48, v49
	s_andn2_b64 exec, exec, s[10:11]
	s_cbranch_execnz .LBB73_29
; %bb.30:
	s_or_b64 exec, exec, s[10:11]
.LBB73_31:
	s_or_b64 exec, exec, s[8:9]
.LBB73_32:
	s_or_b64 exec, exec, s[6:7]
	v_mov_b32_e32 v18, 0
	ds_read_b32 v18, v18 offset:24
	s_waitcnt lgkmcnt(0)
	v_mul_f32_e32 v18, v46, v18
.LBB73_33:
	s_or_b64 exec, exec, s[4:5]
	v_cmp_lt_u32_e64 s[2:3], 5, v0
	ds_write_b32 v45, v17
	s_waitcnt lgkmcnt(0)
	; wave barrier
	s_waitcnt lgkmcnt(0)
	s_and_saveexec_b64 s[4:5], s[2:3]
	s_cbranch_execz .LBB73_49
; %bb.34:
	s_andn2_b64 vcc, exec, s[22:23]
	s_cbranch_vccnz .LBB73_36
; %bb.35:
	v_cmp_eq_u32_e32 vcc, 1, v0
	v_cndmask_b32_e32 v42, v12, v13, vcc
	v_cmp_eq_u32_e32 vcc, 2, v0
	v_cndmask_b32_e32 v42, v42, v14, vcc
	;; [unrolled: 2-line block ×5, first 2 shown]
	v_cmp_eq_u32_e32 vcc, 6, v0
	ds_read_b32 v43, v45
	v_cndmask_b32_e32 v42, v42, v18, vcc
	v_cmp_eq_u32_e32 vcc, 7, v0
	v_cndmask_b32_e32 v42, v42, v19, vcc
	v_cmp_eq_u32_e32 vcc, 8, v0
	;; [unrolled: 2-line block ×3, first 2 shown]
	v_cndmask_b32_e32 v42, v42, v21, vcc
	s_waitcnt lgkmcnt(0)
	v_mul_f32_e32 v46, v42, v43
	s_cbranch_execz .LBB73_37
	s_branch .LBB73_38
.LBB73_36:
                                        ; implicit-def: $vgpr46
.LBB73_37:
	ds_read_b32 v46, v45
.LBB73_38:
	s_and_saveexec_b64 s[6:7], s[0:1]
	s_cbranch_execz .LBB73_48
; %bb.39:
	v_add_u32_e32 v42, -7, v0
	v_add_u32_e32 v43, -6, v0
	v_cmp_lt_u32_e32 vcc, 6, v42
	v_mov_b32_e32 v42, 6
	s_and_saveexec_b64 s[0:1], vcc
	s_cbranch_execz .LBB73_43
; %bb.40:
	v_and_b32_e32 v42, -8, v43
	v_sub_u32_e32 v44, 0, v42
	s_mov_b64 s[8:9], 13
	s_movk_i32 s12, 0x48
	s_mov_b64 s[10:11], 0
.LBB73_41:                              ; =>This Inner Loop Header: Depth=1
	s_add_i32 s13, s8, -7
	v_mov_b32_e32 v42, s12
	s_add_i32 s14, s8, -6
	s_set_gpr_idx_on s13, gpr_idx(SRC0)
	v_mov_b32_e32 v47, v12
	s_set_gpr_idx_off
	ds_read2_b64 v[48:51], v42 offset1:1
	s_add_i32 s15, s8, -5
	s_set_gpr_idx_on s14, gpr_idx(SRC0)
	v_mov_b32_e32 v56, v12
	s_set_gpr_idx_off
	s_add_i32 s16, s8, -4
	s_set_gpr_idx_on s15, gpr_idx(SRC0)
	v_mov_b32_e32 v57, v12
	s_set_gpr_idx_off
	;; [unrolled: 4-line block ×4, first 2 shown]
	ds_read2_b64 v[52:55], v42 offset0:2 offset1:3
	s_add_i32 s19, s8, -1
	s_waitcnt lgkmcnt(1)
	v_fmac_f32_e32 v46, v47, v48
	s_set_gpr_idx_on s18, gpr_idx(SRC0)
	v_mov_b32_e32 v47, v12
	s_set_gpr_idx_off
	v_fmac_f32_e32 v46, v56, v49
	s_set_gpr_idx_on s19, gpr_idx(SRC0)
	v_mov_b32_e32 v48, v12
	s_set_gpr_idx_off
	;; [unrolled: 4-line block ×3, first 2 shown]
	v_fmac_f32_e32 v46, v58, v51
	s_add_u32 s8, s8, 8
	s_waitcnt lgkmcnt(0)
	v_fmac_f32_e32 v46, v59, v52
	v_add_u32_e32 v42, s8, v44
	v_fmac_f32_e32 v46, v47, v53
	s_addc_u32 s9, s9, 0
	s_add_i32 s12, s12, 32
	s_add_i32 s13, s8, -7
	v_cmp_eq_u32_e32 vcc, 13, v42
	v_fmac_f32_e32 v46, v48, v54
	v_mov_b32_e32 v42, s13
	s_or_b64 s[10:11], vcc, s[10:11]
	v_fmac_f32_e32 v46, v49, v55
	s_andn2_b64 exec, exec, s[10:11]
	s_cbranch_execnz .LBB73_41
; %bb.42:
	s_or_b64 exec, exec, s[10:11]
.LBB73_43:
	s_or_b64 exec, exec, s[0:1]
	v_and_b32_e32 v44, 7, v43
	v_cmp_ne_u32_e32 vcc, 0, v44
	s_and_saveexec_b64 s[8:9], vcc
	s_cbranch_execz .LBB73_47
; %bb.44:
	v_lshl_add_u32 v47, v42, 2, 48
	v_mov_b32_e32 v43, 0
	s_mov_b64 s[10:11], 0
.LBB73_45:                              ; =>This Inner Loop Header: Depth=1
	v_cmp_eq_u32_e32 vcc, 1, v42
	v_cndmask_b32_e32 v48, v12, v13, vcc
	v_add_u32_e32 v44, -1, v44
	v_cmp_eq_u32_e32 vcc, 2, v42
	v_cndmask_b32_e32 v48, v48, v14, vcc
	v_cmp_eq_u32_e32 vcc, 0, v44
	v_cmp_eq_u32_e64 s[0:1], 3, v42
	v_cndmask_b32_e64 v48, v48, v15, s[0:1]
	s_or_b64 s[10:11], vcc, s[10:11]
	v_cmp_eq_u32_e32 vcc, 4, v42
	v_cndmask_b32_e32 v48, v48, v16, vcc
	v_cmp_eq_u32_e32 vcc, 5, v42
	ds_read_b32 v49, v47
	v_cndmask_b32_e32 v48, v48, v17, vcc
	v_cmp_eq_u32_e32 vcc, 6, v42
	v_cndmask_b32_e32 v48, v48, v18, vcc
	v_cmp_eq_u32_e32 vcc, 7, v42
	;; [unrolled: 2-line block ×4, first 2 shown]
	v_add_co_u32_e64 v42, s[0:1], 1, v42
	v_cndmask_b32_e32 v48, v48, v21, vcc
	v_add_u32_e32 v47, 4, v47
	v_addc_co_u32_e64 v43, s[0:1], 0, v43, s[0:1]
	s_waitcnt lgkmcnt(0)
	v_fmac_f32_e32 v46, v48, v49
	s_andn2_b64 exec, exec, s[10:11]
	s_cbranch_execnz .LBB73_45
; %bb.46:
	s_or_b64 exec, exec, s[10:11]
.LBB73_47:
	s_or_b64 exec, exec, s[8:9]
.LBB73_48:
	s_or_b64 exec, exec, s[6:7]
	v_mov_b32_e32 v17, 0
	ds_read_b32 v17, v17 offset:20
	s_waitcnt lgkmcnt(0)
	v_mul_f32_e32 v17, v46, v17
.LBB73_49:
	s_or_b64 exec, exec, s[4:5]
	v_cmp_lt_u32_e64 s[0:1], 4, v0
	ds_write_b32 v45, v16
	s_waitcnt lgkmcnt(0)
	; wave barrier
	s_waitcnt lgkmcnt(0)
	s_and_saveexec_b64 s[4:5], s[0:1]
	s_cbranch_execz .LBB73_65
; %bb.50:
	s_andn2_b64 vcc, exec, s[22:23]
	s_cbranch_vccnz .LBB73_52
; %bb.51:
	v_cmp_eq_u32_e32 vcc, 1, v0
	v_cndmask_b32_e32 v42, v12, v13, vcc
	v_cmp_eq_u32_e32 vcc, 2, v0
	v_cndmask_b32_e32 v42, v42, v14, vcc
	;; [unrolled: 2-line block ×5, first 2 shown]
	v_cmp_eq_u32_e32 vcc, 6, v0
	ds_read_b32 v43, v45
	v_cndmask_b32_e32 v42, v42, v18, vcc
	v_cmp_eq_u32_e32 vcc, 7, v0
	v_cndmask_b32_e32 v42, v42, v19, vcc
	v_cmp_eq_u32_e32 vcc, 8, v0
	;; [unrolled: 2-line block ×3, first 2 shown]
	v_cndmask_b32_e32 v42, v42, v21, vcc
	s_waitcnt lgkmcnt(0)
	v_mul_f32_e32 v46, v42, v43
	s_cbranch_execz .LBB73_53
	s_branch .LBB73_54
.LBB73_52:
                                        ; implicit-def: $vgpr46
.LBB73_53:
	ds_read_b32 v46, v45
.LBB73_54:
	s_and_saveexec_b64 s[6:7], s[2:3]
	s_cbranch_execz .LBB73_64
; %bb.55:
	v_add_u32_e32 v42, -6, v0
	v_add_u32_e32 v43, -5, v0
	v_cmp_lt_u32_e32 vcc, 6, v42
	v_mov_b32_e32 v42, 5
	s_and_saveexec_b64 s[2:3], vcc
	s_cbranch_execz .LBB73_59
; %bb.56:
	v_and_b32_e32 v42, -8, v43
	v_sub_u32_e32 v44, 0, v42
	s_mov_b64 s[8:9], 12
	s_movk_i32 s12, 0x44
	s_mov_b64 s[10:11], 0
.LBB73_57:                              ; =>This Inner Loop Header: Depth=1
	s_add_i32 s13, s8, -7
	v_mov_b32_e32 v42, s12
	s_add_i32 s14, s8, -6
	s_set_gpr_idx_on s13, gpr_idx(SRC0)
	v_mov_b32_e32 v47, v12
	s_set_gpr_idx_off
	ds_read2_b32 v[48:49], v42 offset1:1
	s_add_i32 s15, s8, -5
	s_set_gpr_idx_on s14, gpr_idx(SRC0)
	v_mov_b32_e32 v54, v12
	s_set_gpr_idx_off
	s_add_i32 s16, s8, -4
	s_set_gpr_idx_on s15, gpr_idx(SRC0)
	v_mov_b32_e32 v55, v12
	s_set_gpr_idx_off
	ds_read2_b32 v[50:51], v42 offset0:2 offset1:3
	s_add_i32 s17, s8, -3
	s_set_gpr_idx_on s16, gpr_idx(SRC0)
	v_mov_b32_e32 v56, v12
	s_set_gpr_idx_off
	s_add_i32 s18, s8, -2
	s_set_gpr_idx_on s17, gpr_idx(SRC0)
	v_mov_b32_e32 v57, v12
	s_set_gpr_idx_off
	ds_read2_b32 v[52:53], v42 offset0:4 offset1:5
	s_add_i32 s19, s8, -1
	s_waitcnt lgkmcnt(2)
	v_fmac_f32_e32 v46, v47, v48
	s_set_gpr_idx_on s18, gpr_idx(SRC0)
	v_mov_b32_e32 v47, v12
	s_set_gpr_idx_off
	v_fmac_f32_e32 v46, v54, v49
	s_set_gpr_idx_on s19, gpr_idx(SRC0)
	v_mov_b32_e32 v54, v12
	s_set_gpr_idx_off
	ds_read2_b32 v[48:49], v42 offset0:6 offset1:7
	s_waitcnt lgkmcnt(2)
	v_fmac_f32_e32 v46, v55, v50
	s_set_gpr_idx_on s8, gpr_idx(SRC0)
	v_mov_b32_e32 v50, v12
	s_set_gpr_idx_off
	v_fmac_f32_e32 v46, v56, v51
	s_add_u32 s8, s8, 8
	s_waitcnt lgkmcnt(1)
	v_fmac_f32_e32 v46, v57, v52
	v_add_u32_e32 v42, s8, v44
	v_fmac_f32_e32 v46, v47, v53
	s_addc_u32 s9, s9, 0
	s_add_i32 s12, s12, 32
	s_add_i32 s13, s8, -7
	v_cmp_eq_u32_e32 vcc, 12, v42
	s_waitcnt lgkmcnt(0)
	v_fmac_f32_e32 v46, v54, v48
	v_mov_b32_e32 v42, s13
	s_or_b64 s[10:11], vcc, s[10:11]
	v_fmac_f32_e32 v46, v50, v49
	s_andn2_b64 exec, exec, s[10:11]
	s_cbranch_execnz .LBB73_57
; %bb.58:
	s_or_b64 exec, exec, s[10:11]
.LBB73_59:
	s_or_b64 exec, exec, s[2:3]
	v_and_b32_e32 v44, 7, v43
	v_cmp_ne_u32_e32 vcc, 0, v44
	s_and_saveexec_b64 s[8:9], vcc
	s_cbranch_execz .LBB73_63
; %bb.60:
	v_lshl_add_u32 v47, v42, 2, 48
	v_mov_b32_e32 v43, 0
	s_mov_b64 s[10:11], 0
.LBB73_61:                              ; =>This Inner Loop Header: Depth=1
	v_cmp_eq_u32_e32 vcc, 1, v42
	v_cndmask_b32_e32 v48, v12, v13, vcc
	v_add_u32_e32 v44, -1, v44
	v_cmp_eq_u32_e32 vcc, 2, v42
	v_cndmask_b32_e32 v48, v48, v14, vcc
	v_cmp_eq_u32_e32 vcc, 0, v44
	v_cmp_eq_u32_e64 s[2:3], 3, v42
	v_cndmask_b32_e64 v48, v48, v15, s[2:3]
	s_or_b64 s[10:11], vcc, s[10:11]
	v_cmp_eq_u32_e32 vcc, 4, v42
	v_cndmask_b32_e32 v48, v48, v16, vcc
	v_cmp_eq_u32_e32 vcc, 5, v42
	ds_read_b32 v49, v47
	v_cndmask_b32_e32 v48, v48, v17, vcc
	v_cmp_eq_u32_e32 vcc, 6, v42
	v_cndmask_b32_e32 v48, v48, v18, vcc
	v_cmp_eq_u32_e32 vcc, 7, v42
	;; [unrolled: 2-line block ×4, first 2 shown]
	v_add_co_u32_e64 v42, s[2:3], 1, v42
	v_cndmask_b32_e32 v48, v48, v21, vcc
	v_add_u32_e32 v47, 4, v47
	v_addc_co_u32_e64 v43, s[2:3], 0, v43, s[2:3]
	s_waitcnt lgkmcnt(0)
	v_fmac_f32_e32 v46, v48, v49
	s_andn2_b64 exec, exec, s[10:11]
	s_cbranch_execnz .LBB73_61
; %bb.62:
	s_or_b64 exec, exec, s[10:11]
.LBB73_63:
	s_or_b64 exec, exec, s[8:9]
.LBB73_64:
	s_or_b64 exec, exec, s[6:7]
	v_mov_b32_e32 v16, 0
	ds_read_b32 v16, v16 offset:16
	s_waitcnt lgkmcnt(0)
	v_mul_f32_e32 v16, v46, v16
.LBB73_65:
	s_or_b64 exec, exec, s[4:5]
	v_cmp_lt_u32_e64 s[2:3], 3, v0
	ds_write_b32 v45, v15
	s_waitcnt lgkmcnt(0)
	; wave barrier
	s_waitcnt lgkmcnt(0)
	s_and_saveexec_b64 s[4:5], s[2:3]
	s_cbranch_execz .LBB73_81
; %bb.66:
	s_andn2_b64 vcc, exec, s[22:23]
	s_cbranch_vccnz .LBB73_68
; %bb.67:
	v_cmp_eq_u32_e32 vcc, 1, v0
	v_cndmask_b32_e32 v42, v12, v13, vcc
	v_cmp_eq_u32_e32 vcc, 2, v0
	v_cndmask_b32_e32 v42, v42, v14, vcc
	v_cmp_eq_u32_e32 vcc, 3, v0
	v_cndmask_b32_e32 v42, v42, v15, vcc
	v_cmp_eq_u32_e32 vcc, 4, v0
	v_cndmask_b32_e32 v42, v42, v16, vcc
	v_cmp_eq_u32_e32 vcc, 5, v0
	v_cndmask_b32_e32 v42, v42, v17, vcc
	v_cmp_eq_u32_e32 vcc, 6, v0
	ds_read_b32 v43, v45
	v_cndmask_b32_e32 v42, v42, v18, vcc
	v_cmp_eq_u32_e32 vcc, 7, v0
	v_cndmask_b32_e32 v42, v42, v19, vcc
	v_cmp_eq_u32_e32 vcc, 8, v0
	v_cndmask_b32_e32 v42, v42, v20, vcc
	v_cmp_eq_u32_e32 vcc, 9, v0
	v_cndmask_b32_e32 v42, v42, v21, vcc
	s_waitcnt lgkmcnt(0)
	v_mul_f32_e32 v46, v42, v43
	s_cbranch_execz .LBB73_69
	s_branch .LBB73_70
.LBB73_68:
                                        ; implicit-def: $vgpr46
.LBB73_69:
	ds_read_b32 v46, v45
.LBB73_70:
	s_and_saveexec_b64 s[6:7], s[0:1]
	s_cbranch_execz .LBB73_80
; %bb.71:
	v_add_u32_e32 v42, -5, v0
	v_add_u32_e32 v43, -4, v0
	v_cmp_lt_u32_e32 vcc, 6, v42
	v_mov_b32_e32 v42, 4
	s_and_saveexec_b64 s[0:1], vcc
	s_cbranch_execz .LBB73_75
; %bb.72:
	v_and_b32_e32 v42, -8, v43
	v_sub_u32_e32 v44, 0, v42
	s_mov_b64 s[8:9], 5
	s_mov_b32 s12, 64
	s_mov_b64 s[10:11], 0
.LBB73_73:                              ; =>This Inner Loop Header: Depth=1
	s_add_i32 s13, s8, -1
	v_mov_b32_e32 v42, s12
	s_set_gpr_idx_on s13, gpr_idx(SRC0)
	v_mov_b32_e32 v47, v12
	s_set_gpr_idx_off
	s_add_i32 s14, s8, 1
	ds_read_b128 v[48:51], v42
	ds_read_b128 v[52:55], v42 offset:16
	s_set_gpr_idx_on s8, gpr_idx(SRC0)
	v_mov_b32_e32 v56, v12
	s_set_gpr_idx_off
	s_add_i32 s15, s8, 2
	s_set_gpr_idx_on s14, gpr_idx(SRC0)
	v_mov_b32_e32 v57, v12
	s_set_gpr_idx_off
	s_add_i32 s16, s8, 3
	;; [unrolled: 4-line block ×4, first 2 shown]
	s_waitcnt lgkmcnt(1)
	v_fmac_f32_e32 v46, v47, v48
	s_set_gpr_idx_on s17, gpr_idx(SRC0)
	v_mov_b32_e32 v47, v12
	s_set_gpr_idx_off
	s_add_i32 s19, s8, 6
	v_fmac_f32_e32 v46, v56, v49
	s_set_gpr_idx_on s18, gpr_idx(SRC0)
	v_mov_b32_e32 v48, v12
	s_set_gpr_idx_off
	v_fmac_f32_e32 v46, v57, v50
	s_set_gpr_idx_on s19, gpr_idx(SRC0)
	v_mov_b32_e32 v49, v12
	s_set_gpr_idx_off
	v_fmac_f32_e32 v46, v58, v51
	s_add_u32 s8, s8, 8
	s_waitcnt lgkmcnt(0)
	v_fmac_f32_e32 v46, v59, v52
	v_add_u32_e32 v42, s8, v44
	v_fmac_f32_e32 v46, v47, v53
	s_addc_u32 s9, s9, 0
	s_add_i32 s12, s12, 32
	s_add_i32 s13, s8, -1
	v_cmp_eq_u32_e32 vcc, 5, v42
	v_fmac_f32_e32 v46, v48, v54
	v_mov_b32_e32 v42, s13
	s_or_b64 s[10:11], vcc, s[10:11]
	v_fmac_f32_e32 v46, v49, v55
	s_andn2_b64 exec, exec, s[10:11]
	s_cbranch_execnz .LBB73_73
; %bb.74:
	s_or_b64 exec, exec, s[10:11]
.LBB73_75:
	s_or_b64 exec, exec, s[0:1]
	v_and_b32_e32 v44, 7, v43
	v_cmp_ne_u32_e32 vcc, 0, v44
	s_and_saveexec_b64 s[8:9], vcc
	s_cbranch_execz .LBB73_79
; %bb.76:
	v_lshl_add_u32 v47, v42, 2, 48
	v_mov_b32_e32 v43, 0
	s_mov_b64 s[10:11], 0
.LBB73_77:                              ; =>This Inner Loop Header: Depth=1
	v_cmp_eq_u32_e32 vcc, 1, v42
	v_cndmask_b32_e32 v48, v12, v13, vcc
	v_add_u32_e32 v44, -1, v44
	v_cmp_eq_u32_e32 vcc, 2, v42
	v_cndmask_b32_e32 v48, v48, v14, vcc
	v_cmp_eq_u32_e32 vcc, 0, v44
	v_cmp_eq_u32_e64 s[0:1], 3, v42
	v_cndmask_b32_e64 v48, v48, v15, s[0:1]
	s_or_b64 s[10:11], vcc, s[10:11]
	v_cmp_eq_u32_e32 vcc, 4, v42
	v_cndmask_b32_e32 v48, v48, v16, vcc
	v_cmp_eq_u32_e32 vcc, 5, v42
	ds_read_b32 v49, v47
	v_cndmask_b32_e32 v48, v48, v17, vcc
	v_cmp_eq_u32_e32 vcc, 6, v42
	v_cndmask_b32_e32 v48, v48, v18, vcc
	v_cmp_eq_u32_e32 vcc, 7, v42
	v_cndmask_b32_e32 v48, v48, v19, vcc
	v_cmp_eq_u32_e32 vcc, 8, v42
	v_cndmask_b32_e32 v48, v48, v20, vcc
	v_cmp_eq_u32_e32 vcc, 9, v42
	v_add_co_u32_e64 v42, s[0:1], 1, v42
	v_cndmask_b32_e32 v48, v48, v21, vcc
	v_add_u32_e32 v47, 4, v47
	v_addc_co_u32_e64 v43, s[0:1], 0, v43, s[0:1]
	s_waitcnt lgkmcnt(0)
	v_fmac_f32_e32 v46, v48, v49
	s_andn2_b64 exec, exec, s[10:11]
	s_cbranch_execnz .LBB73_77
; %bb.78:
	s_or_b64 exec, exec, s[10:11]
.LBB73_79:
	s_or_b64 exec, exec, s[8:9]
.LBB73_80:
	s_or_b64 exec, exec, s[6:7]
	v_mov_b32_e32 v15, 0
	ds_read_b32 v15, v15 offset:12
	s_waitcnt lgkmcnt(0)
	v_mul_f32_e32 v15, v46, v15
.LBB73_81:
	s_or_b64 exec, exec, s[4:5]
	v_cmp_lt_u32_e64 s[0:1], 2, v0
	ds_write_b32 v45, v14
	s_waitcnt lgkmcnt(0)
	; wave barrier
	s_waitcnt lgkmcnt(0)
	s_and_saveexec_b64 s[4:5], s[0:1]
	s_cbranch_execz .LBB73_97
; %bb.82:
	s_andn2_b64 vcc, exec, s[22:23]
	s_cbranch_vccnz .LBB73_84
; %bb.83:
	v_cmp_eq_u32_e32 vcc, 1, v0
	v_cndmask_b32_e32 v42, v12, v13, vcc
	v_cmp_eq_u32_e32 vcc, 2, v0
	v_cndmask_b32_e32 v42, v42, v14, vcc
	;; [unrolled: 2-line block ×5, first 2 shown]
	v_cmp_eq_u32_e32 vcc, 6, v0
	ds_read_b32 v43, v45
	v_cndmask_b32_e32 v42, v42, v18, vcc
	v_cmp_eq_u32_e32 vcc, 7, v0
	v_cndmask_b32_e32 v42, v42, v19, vcc
	v_cmp_eq_u32_e32 vcc, 8, v0
	;; [unrolled: 2-line block ×3, first 2 shown]
	v_cndmask_b32_e32 v42, v42, v21, vcc
	s_waitcnt lgkmcnt(0)
	v_mul_f32_e32 v46, v42, v43
	s_cbranch_execz .LBB73_85
	s_branch .LBB73_86
.LBB73_84:
                                        ; implicit-def: $vgpr46
.LBB73_85:
	ds_read_b32 v46, v45
.LBB73_86:
	s_and_saveexec_b64 s[6:7], s[2:3]
	s_cbranch_execz .LBB73_96
; %bb.87:
	v_add_u32_e32 v42, -4, v0
	v_add_u32_e32 v43, -3, v0
	v_cmp_lt_u32_e32 vcc, 6, v42
	v_mov_b32_e32 v42, 3
	s_and_saveexec_b64 s[2:3], vcc
	s_cbranch_execz .LBB73_91
; %bb.88:
	v_and_b32_e32 v42, -8, v43
	v_sub_u32_e32 v44, 0, v42
	s_mov_b64 s[8:9], 10
	s_mov_b32 s12, 60
	s_mov_b64 s[10:11], 0
.LBB73_89:                              ; =>This Inner Loop Header: Depth=1
	s_add_i32 s13, s8, -7
	v_mov_b32_e32 v42, s12
	s_add_i32 s14, s8, -6
	s_set_gpr_idx_on s13, gpr_idx(SRC0)
	v_mov_b32_e32 v47, v12
	s_set_gpr_idx_off
	ds_read2_b32 v[48:49], v42 offset1:1
	s_add_i32 s15, s8, -5
	s_set_gpr_idx_on s14, gpr_idx(SRC0)
	v_mov_b32_e32 v54, v12
	s_set_gpr_idx_off
	s_add_i32 s16, s8, -4
	s_set_gpr_idx_on s15, gpr_idx(SRC0)
	v_mov_b32_e32 v55, v12
	s_set_gpr_idx_off
	ds_read2_b32 v[50:51], v42 offset0:2 offset1:3
	s_add_i32 s17, s8, -3
	s_set_gpr_idx_on s16, gpr_idx(SRC0)
	v_mov_b32_e32 v56, v12
	s_set_gpr_idx_off
	s_add_i32 s18, s8, -2
	s_set_gpr_idx_on s17, gpr_idx(SRC0)
	v_mov_b32_e32 v57, v12
	s_set_gpr_idx_off
	ds_read2_b32 v[52:53], v42 offset0:4 offset1:5
	s_add_i32 s19, s8, -1
	s_waitcnt lgkmcnt(2)
	v_fmac_f32_e32 v46, v47, v48
	s_set_gpr_idx_on s18, gpr_idx(SRC0)
	v_mov_b32_e32 v47, v12
	s_set_gpr_idx_off
	v_fmac_f32_e32 v46, v54, v49
	s_set_gpr_idx_on s19, gpr_idx(SRC0)
	v_mov_b32_e32 v54, v12
	s_set_gpr_idx_off
	ds_read2_b32 v[48:49], v42 offset0:6 offset1:7
	s_waitcnt lgkmcnt(2)
	v_fmac_f32_e32 v46, v55, v50
	s_set_gpr_idx_on s8, gpr_idx(SRC0)
	v_mov_b32_e32 v50, v12
	s_set_gpr_idx_off
	v_fmac_f32_e32 v46, v56, v51
	s_add_u32 s8, s8, 8
	s_waitcnt lgkmcnt(1)
	v_fmac_f32_e32 v46, v57, v52
	v_add_u32_e32 v42, s8, v44
	v_fmac_f32_e32 v46, v47, v53
	s_addc_u32 s9, s9, 0
	s_add_i32 s12, s12, 32
	s_add_i32 s13, s8, -7
	v_cmp_eq_u32_e32 vcc, 10, v42
	s_waitcnt lgkmcnt(0)
	v_fmac_f32_e32 v46, v54, v48
	v_mov_b32_e32 v42, s13
	s_or_b64 s[10:11], vcc, s[10:11]
	v_fmac_f32_e32 v46, v50, v49
	s_andn2_b64 exec, exec, s[10:11]
	s_cbranch_execnz .LBB73_89
; %bb.90:
	s_or_b64 exec, exec, s[10:11]
.LBB73_91:
	s_or_b64 exec, exec, s[2:3]
	v_and_b32_e32 v44, 7, v43
	v_cmp_ne_u32_e32 vcc, 0, v44
	s_and_saveexec_b64 s[8:9], vcc
	s_cbranch_execz .LBB73_95
; %bb.92:
	v_lshl_add_u32 v47, v42, 2, 48
	v_mov_b32_e32 v43, 0
	s_mov_b64 s[10:11], 0
.LBB73_93:                              ; =>This Inner Loop Header: Depth=1
	v_cmp_eq_u32_e32 vcc, 1, v42
	v_cndmask_b32_e32 v48, v12, v13, vcc
	v_add_u32_e32 v44, -1, v44
	v_cmp_eq_u32_e32 vcc, 2, v42
	v_cndmask_b32_e32 v48, v48, v14, vcc
	v_cmp_eq_u32_e32 vcc, 0, v44
	v_cmp_eq_u32_e64 s[2:3], 3, v42
	v_cndmask_b32_e64 v48, v48, v15, s[2:3]
	s_or_b64 s[10:11], vcc, s[10:11]
	v_cmp_eq_u32_e32 vcc, 4, v42
	v_cndmask_b32_e32 v48, v48, v16, vcc
	v_cmp_eq_u32_e32 vcc, 5, v42
	ds_read_b32 v49, v47
	v_cndmask_b32_e32 v48, v48, v17, vcc
	v_cmp_eq_u32_e32 vcc, 6, v42
	v_cndmask_b32_e32 v48, v48, v18, vcc
	v_cmp_eq_u32_e32 vcc, 7, v42
	;; [unrolled: 2-line block ×4, first 2 shown]
	v_add_co_u32_e64 v42, s[2:3], 1, v42
	v_cndmask_b32_e32 v48, v48, v21, vcc
	v_add_u32_e32 v47, 4, v47
	v_addc_co_u32_e64 v43, s[2:3], 0, v43, s[2:3]
	s_waitcnt lgkmcnt(0)
	v_fmac_f32_e32 v46, v48, v49
	s_andn2_b64 exec, exec, s[10:11]
	s_cbranch_execnz .LBB73_93
; %bb.94:
	s_or_b64 exec, exec, s[10:11]
.LBB73_95:
	s_or_b64 exec, exec, s[8:9]
.LBB73_96:
	s_or_b64 exec, exec, s[6:7]
	v_mov_b32_e32 v14, 0
	ds_read_b32 v14, v14 offset:8
	s_waitcnt lgkmcnt(0)
	v_mul_f32_e32 v14, v46, v14
.LBB73_97:
	s_or_b64 exec, exec, s[4:5]
	v_cmp_lt_u32_e64 s[2:3], 1, v0
	ds_write_b32 v45, v13
	s_waitcnt lgkmcnt(0)
	; wave barrier
	s_waitcnt lgkmcnt(0)
	s_and_saveexec_b64 s[4:5], s[2:3]
	s_cbranch_execz .LBB73_113
; %bb.98:
	s_andn2_b64 vcc, exec, s[22:23]
	s_cbranch_vccnz .LBB73_100
; %bb.99:
	v_cmp_eq_u32_e32 vcc, 1, v0
	v_cndmask_b32_e32 v42, v12, v13, vcc
	v_cmp_eq_u32_e32 vcc, 2, v0
	v_cndmask_b32_e32 v42, v42, v14, vcc
	;; [unrolled: 2-line block ×5, first 2 shown]
	v_cmp_eq_u32_e32 vcc, 6, v0
	ds_read_b32 v43, v45
	v_cndmask_b32_e32 v42, v42, v18, vcc
	v_cmp_eq_u32_e32 vcc, 7, v0
	v_cndmask_b32_e32 v42, v42, v19, vcc
	v_cmp_eq_u32_e32 vcc, 8, v0
	;; [unrolled: 2-line block ×3, first 2 shown]
	v_cndmask_b32_e32 v42, v42, v21, vcc
	s_waitcnt lgkmcnt(0)
	v_mul_f32_e32 v46, v42, v43
	s_cbranch_execz .LBB73_101
	s_branch .LBB73_102
.LBB73_100:
                                        ; implicit-def: $vgpr46
.LBB73_101:
	ds_read_b32 v46, v45
.LBB73_102:
	s_and_saveexec_b64 s[6:7], s[0:1]
	s_cbranch_execz .LBB73_112
; %bb.103:
	v_add_u32_e32 v42, -3, v0
	v_add_u32_e32 v43, -2, v0
	v_cmp_lt_u32_e32 vcc, 6, v42
	v_mov_b32_e32 v42, 2
	s_and_saveexec_b64 s[0:1], vcc
	s_cbranch_execz .LBB73_107
; %bb.104:
	v_and_b32_e32 v42, -8, v43
	v_sub_u32_e32 v44, 0, v42
	s_mov_b64 s[8:9], 9
	s_mov_b32 s12, 56
	s_mov_b64 s[10:11], 0
.LBB73_105:                             ; =>This Inner Loop Header: Depth=1
	s_add_i32 s13, s8, -7
	v_mov_b32_e32 v42, s12
	s_add_i32 s14, s8, -6
	s_set_gpr_idx_on s13, gpr_idx(SRC0)
	v_mov_b32_e32 v47, v12
	s_set_gpr_idx_off
	ds_read2_b64 v[48:51], v42 offset1:1
	s_add_i32 s15, s8, -5
	s_set_gpr_idx_on s14, gpr_idx(SRC0)
	v_mov_b32_e32 v56, v12
	s_set_gpr_idx_off
	s_add_i32 s16, s8, -4
	s_set_gpr_idx_on s15, gpr_idx(SRC0)
	v_mov_b32_e32 v57, v12
	s_set_gpr_idx_off
	;; [unrolled: 4-line block ×4, first 2 shown]
	ds_read2_b64 v[52:55], v42 offset0:2 offset1:3
	s_add_i32 s19, s8, -1
	s_waitcnt lgkmcnt(1)
	v_fmac_f32_e32 v46, v47, v48
	s_set_gpr_idx_on s18, gpr_idx(SRC0)
	v_mov_b32_e32 v47, v12
	s_set_gpr_idx_off
	v_fmac_f32_e32 v46, v56, v49
	s_set_gpr_idx_on s19, gpr_idx(SRC0)
	v_mov_b32_e32 v48, v12
	s_set_gpr_idx_off
	v_fmac_f32_e32 v46, v57, v50
	s_set_gpr_idx_on s8, gpr_idx(SRC0)
	v_mov_b32_e32 v49, v12
	s_set_gpr_idx_off
	v_fmac_f32_e32 v46, v58, v51
	s_add_u32 s8, s8, 8
	s_waitcnt lgkmcnt(0)
	v_fmac_f32_e32 v46, v59, v52
	v_add_u32_e32 v42, s8, v44
	v_fmac_f32_e32 v46, v47, v53
	s_addc_u32 s9, s9, 0
	s_add_i32 s12, s12, 32
	s_add_i32 s13, s8, -7
	v_cmp_eq_u32_e32 vcc, 9, v42
	v_fmac_f32_e32 v46, v48, v54
	v_mov_b32_e32 v42, s13
	s_or_b64 s[10:11], vcc, s[10:11]
	v_fmac_f32_e32 v46, v49, v55
	s_andn2_b64 exec, exec, s[10:11]
	s_cbranch_execnz .LBB73_105
; %bb.106:
	s_or_b64 exec, exec, s[10:11]
.LBB73_107:
	s_or_b64 exec, exec, s[0:1]
	v_and_b32_e32 v44, 7, v43
	v_cmp_ne_u32_e32 vcc, 0, v44
	s_and_saveexec_b64 s[8:9], vcc
	s_cbranch_execz .LBB73_111
; %bb.108:
	v_lshl_add_u32 v47, v42, 2, 48
	v_mov_b32_e32 v43, 0
	s_mov_b64 s[10:11], 0
.LBB73_109:                             ; =>This Inner Loop Header: Depth=1
	v_cmp_eq_u32_e32 vcc, 1, v42
	v_cndmask_b32_e32 v48, v12, v13, vcc
	v_add_u32_e32 v44, -1, v44
	v_cmp_eq_u32_e32 vcc, 2, v42
	v_cndmask_b32_e32 v48, v48, v14, vcc
	v_cmp_eq_u32_e32 vcc, 0, v44
	v_cmp_eq_u32_e64 s[0:1], 3, v42
	v_cndmask_b32_e64 v48, v48, v15, s[0:1]
	s_or_b64 s[10:11], vcc, s[10:11]
	v_cmp_eq_u32_e32 vcc, 4, v42
	v_cndmask_b32_e32 v48, v48, v16, vcc
	v_cmp_eq_u32_e32 vcc, 5, v42
	ds_read_b32 v49, v47
	v_cndmask_b32_e32 v48, v48, v17, vcc
	v_cmp_eq_u32_e32 vcc, 6, v42
	v_cndmask_b32_e32 v48, v48, v18, vcc
	v_cmp_eq_u32_e32 vcc, 7, v42
	;; [unrolled: 2-line block ×4, first 2 shown]
	v_add_co_u32_e64 v42, s[0:1], 1, v42
	v_cndmask_b32_e32 v48, v48, v21, vcc
	v_add_u32_e32 v47, 4, v47
	v_addc_co_u32_e64 v43, s[0:1], 0, v43, s[0:1]
	s_waitcnt lgkmcnt(0)
	v_fmac_f32_e32 v46, v48, v49
	s_andn2_b64 exec, exec, s[10:11]
	s_cbranch_execnz .LBB73_109
; %bb.110:
	s_or_b64 exec, exec, s[10:11]
.LBB73_111:
	s_or_b64 exec, exec, s[8:9]
.LBB73_112:
	s_or_b64 exec, exec, s[6:7]
	v_mov_b32_e32 v13, 0
	ds_read_b32 v13, v13 offset:4
	s_waitcnt lgkmcnt(0)
	v_mul_f32_e32 v13, v46, v13
.LBB73_113:
	s_or_b64 exec, exec, s[4:5]
	v_cmp_ne_u32_e32 vcc, 0, v0
	ds_write_b32 v45, v12
	s_waitcnt lgkmcnt(0)
	; wave barrier
	s_waitcnt lgkmcnt(0)
	s_and_saveexec_b64 s[4:5], vcc
	s_cbranch_execz .LBB73_129
; %bb.114:
	s_andn2_b64 vcc, exec, s[22:23]
	s_cbranch_vccnz .LBB73_116
; %bb.115:
	v_cmp_eq_u32_e32 vcc, 1, v0
	v_cndmask_b32_e32 v42, v12, v13, vcc
	v_cmp_eq_u32_e32 vcc, 2, v0
	v_cndmask_b32_e32 v42, v42, v14, vcc
	;; [unrolled: 2-line block ×5, first 2 shown]
	v_cmp_eq_u32_e32 vcc, 6, v0
	ds_read_b32 v43, v45
	v_cndmask_b32_e32 v42, v42, v18, vcc
	v_cmp_eq_u32_e32 vcc, 7, v0
	v_cndmask_b32_e32 v42, v42, v19, vcc
	v_cmp_eq_u32_e32 vcc, 8, v0
	;; [unrolled: 2-line block ×3, first 2 shown]
	v_cndmask_b32_e32 v42, v42, v21, vcc
	s_waitcnt lgkmcnt(0)
	v_mul_f32_e32 v46, v42, v43
	s_cbranch_execz .LBB73_117
	s_branch .LBB73_118
.LBB73_116:
                                        ; implicit-def: $vgpr46
.LBB73_117:
	ds_read_b32 v46, v45
.LBB73_118:
	s_and_saveexec_b64 s[6:7], s[2:3]
	s_cbranch_execz .LBB73_128
; %bb.119:
	v_add_u32_e32 v42, -2, v0
	v_add_u32_e32 v43, -1, v0
	v_cmp_lt_u32_e32 vcc, 6, v42
	v_mov_b32_e32 v42, 1
	s_and_saveexec_b64 s[0:1], vcc
	s_cbranch_execz .LBB73_123
; %bb.120:
	v_and_b32_e32 v42, -8, v43
	v_sub_u32_e32 v44, 0, v42
	s_mov_b64 s[2:3], 8
	s_mov_b32 s10, 52
	s_mov_b64 s[8:9], 0
.LBB73_121:                             ; =>This Inner Loop Header: Depth=1
	s_add_i32 s11, s2, -7
	v_mov_b32_e32 v42, s10
	s_add_i32 s12, s2, -6
	s_set_gpr_idx_on s11, gpr_idx(SRC0)
	v_mov_b32_e32 v47, v12
	s_set_gpr_idx_off
	ds_read2_b32 v[48:49], v42 offset1:1
	s_add_i32 s13, s2, -5
	s_set_gpr_idx_on s12, gpr_idx(SRC0)
	v_mov_b32_e32 v54, v12
	s_set_gpr_idx_off
	s_add_i32 s14, s2, -4
	s_set_gpr_idx_on s13, gpr_idx(SRC0)
	v_mov_b32_e32 v55, v12
	s_set_gpr_idx_off
	ds_read2_b32 v[50:51], v42 offset0:2 offset1:3
	s_add_i32 s15, s2, -3
	s_set_gpr_idx_on s14, gpr_idx(SRC0)
	v_mov_b32_e32 v56, v12
	s_set_gpr_idx_off
	s_add_i32 s16, s2, -2
	s_set_gpr_idx_on s15, gpr_idx(SRC0)
	v_mov_b32_e32 v57, v12
	s_set_gpr_idx_off
	ds_read2_b32 v[52:53], v42 offset0:4 offset1:5
	s_add_i32 s17, s2, -1
	s_waitcnt lgkmcnt(2)
	v_fmac_f32_e32 v46, v47, v48
	s_set_gpr_idx_on s16, gpr_idx(SRC0)
	v_mov_b32_e32 v47, v12
	s_set_gpr_idx_off
	v_fmac_f32_e32 v46, v54, v49
	s_set_gpr_idx_on s17, gpr_idx(SRC0)
	v_mov_b32_e32 v54, v12
	s_set_gpr_idx_off
	ds_read2_b32 v[48:49], v42 offset0:6 offset1:7
	s_waitcnt lgkmcnt(2)
	v_fmac_f32_e32 v46, v55, v50
	s_set_gpr_idx_on s2, gpr_idx(SRC0)
	v_mov_b32_e32 v50, v12
	s_set_gpr_idx_off
	v_fmac_f32_e32 v46, v56, v51
	s_add_u32 s2, s2, 8
	s_waitcnt lgkmcnt(1)
	v_fmac_f32_e32 v46, v57, v52
	v_add_u32_e32 v42, s2, v44
	v_fmac_f32_e32 v46, v47, v53
	s_addc_u32 s3, s3, 0
	s_add_i32 s10, s10, 32
	s_add_i32 s11, s2, -7
	v_cmp_eq_u32_e32 vcc, 8, v42
	s_waitcnt lgkmcnt(0)
	v_fmac_f32_e32 v46, v54, v48
	v_mov_b32_e32 v42, s11
	s_or_b64 s[8:9], vcc, s[8:9]
	v_fmac_f32_e32 v46, v50, v49
	s_andn2_b64 exec, exec, s[8:9]
	s_cbranch_execnz .LBB73_121
; %bb.122:
	s_or_b64 exec, exec, s[8:9]
.LBB73_123:
	s_or_b64 exec, exec, s[0:1]
	v_and_b32_e32 v44, 7, v43
	v_cmp_ne_u32_e32 vcc, 0, v44
	s_and_saveexec_b64 s[2:3], vcc
	s_cbranch_execz .LBB73_127
; %bb.124:
	v_lshl_add_u32 v47, v42, 2, 48
	v_mov_b32_e32 v43, 0
	s_mov_b64 s[8:9], 0
.LBB73_125:                             ; =>This Inner Loop Header: Depth=1
	v_cmp_eq_u32_e32 vcc, 1, v42
	v_cndmask_b32_e32 v48, v12, v13, vcc
	v_add_u32_e32 v44, -1, v44
	v_cmp_eq_u32_e32 vcc, 2, v42
	v_cndmask_b32_e32 v48, v48, v14, vcc
	v_cmp_eq_u32_e32 vcc, 0, v44
	v_cmp_eq_u32_e64 s[0:1], 3, v42
	v_cndmask_b32_e64 v48, v48, v15, s[0:1]
	s_or_b64 s[8:9], vcc, s[8:9]
	v_cmp_eq_u32_e32 vcc, 4, v42
	v_cndmask_b32_e32 v48, v48, v16, vcc
	v_cmp_eq_u32_e32 vcc, 5, v42
	ds_read_b32 v49, v47
	v_cndmask_b32_e32 v48, v48, v17, vcc
	v_cmp_eq_u32_e32 vcc, 6, v42
	v_cndmask_b32_e32 v48, v48, v18, vcc
	v_cmp_eq_u32_e32 vcc, 7, v42
	;; [unrolled: 2-line block ×4, first 2 shown]
	v_add_co_u32_e64 v42, s[0:1], 1, v42
	v_cndmask_b32_e32 v48, v48, v21, vcc
	v_add_u32_e32 v47, 4, v47
	v_addc_co_u32_e64 v43, s[0:1], 0, v43, s[0:1]
	s_waitcnt lgkmcnt(0)
	v_fmac_f32_e32 v46, v48, v49
	s_andn2_b64 exec, exec, s[8:9]
	s_cbranch_execnz .LBB73_125
; %bb.126:
	s_or_b64 exec, exec, s[8:9]
.LBB73_127:
	s_or_b64 exec, exec, s[2:3]
.LBB73_128:
	s_or_b64 exec, exec, s[6:7]
	v_mov_b32_e32 v12, 0
	ds_read_b32 v12, v12
	s_waitcnt lgkmcnt(0)
	v_mul_f32_e32 v12, v46, v12
.LBB73_129:
	s_or_b64 exec, exec, s[4:5]
	s_branch .LBB73_225
.LBB73_130:
	v_cmp_eq_u32_e64 s[0:1], 0, v0
	s_waitcnt vmcnt(9)
	ds_write_b32 v45, v3
	s_waitcnt lgkmcnt(0)
	; wave barrier
	s_waitcnt lgkmcnt(0)
	s_and_saveexec_b64 s[2:3], s[0:1]
	s_cbranch_execz .LBB73_136
; %bb.131:
	s_and_b64 vcc, exec, s[22:23]
	s_cbranch_vccz .LBB73_133
; %bb.132:
	v_cmp_eq_u32_e32 vcc, 1, v0
	s_waitcnt vmcnt(1)
	v_cndmask_b32_e32 v3, v2, v3, vcc
	v_cmp_eq_u32_e32 vcc, 2, v0
	v_cndmask_b32_e32 v3, v3, v4, vcc
	v_cmp_eq_u32_e32 vcc, 3, v0
	;; [unrolled: 2-line block ×5, first 2 shown]
	ds_read_b32 v12, v45
	v_cndmask_b32_e32 v3, v3, v8, vcc
	v_cmp_eq_u32_e32 vcc, 7, v0
	v_cndmask_b32_e32 v3, v3, v9, vcc
	v_cmp_eq_u32_e32 vcc, 8, v0
	;; [unrolled: 2-line block ×3, first 2 shown]
	s_waitcnt vmcnt(0)
	v_cndmask_b32_e32 v3, v3, v11, vcc
	s_waitcnt lgkmcnt(0)
	v_mul_f32_e32 v3, v3, v12
	s_cbranch_execz .LBB73_134
	s_branch .LBB73_135
.LBB73_133:
                                        ; implicit-def: $vgpr3
.LBB73_134:
	ds_read_b32 v3, v45
.LBB73_135:
	v_mov_b32_e32 v12, 0
	ds_read_b32 v12, v12 offset:4
	s_waitcnt lgkmcnt(0)
	v_mul_f32_e32 v3, v3, v12
.LBB73_136:
	s_or_b64 exec, exec, s[2:3]
	v_cndmask_b32_e64 v12, 0, 1, s[22:23]
	v_add_u32_e32 v14, 1, v0
	v_cmp_gt_u32_e64 s[2:3], 2, v0
	v_cmp_ne_u32_e64 s[4:5], 1, v12
	s_waitcnt vmcnt(8)
	ds_write_b32 v45, v4
	s_waitcnt lgkmcnt(0)
	; wave barrier
	s_waitcnt lgkmcnt(0)
	s_and_saveexec_b64 s[6:7], s[2:3]
	s_cbranch_execz .LBB73_144
; %bb.137:
	s_and_b64 vcc, exec, s[4:5]
	s_cbranch_vccnz .LBB73_139
; %bb.138:
	v_cmp_eq_u32_e32 vcc, 1, v0
	s_waitcnt vmcnt(1)
	v_cndmask_b32_e32 v12, v2, v3, vcc
	v_cmp_eq_u32_e32 vcc, 2, v0
	v_cndmask_b32_e32 v12, v12, v4, vcc
	v_cmp_eq_u32_e32 vcc, 3, v0
	;; [unrolled: 2-line block ×5, first 2 shown]
	ds_read_b32 v13, v45
	v_cndmask_b32_e32 v12, v12, v8, vcc
	v_cmp_eq_u32_e32 vcc, 7, v0
	v_cndmask_b32_e32 v12, v12, v9, vcc
	v_cmp_eq_u32_e32 vcc, 8, v0
	;; [unrolled: 2-line block ×3, first 2 shown]
	s_waitcnt vmcnt(0)
	v_cndmask_b32_e32 v12, v12, v11, vcc
	s_waitcnt lgkmcnt(0)
	v_mul_f32_e32 v12, v12, v13
	s_cbranch_execz .LBB73_140
	s_branch .LBB73_141
.LBB73_139:
                                        ; implicit-def: $vgpr12
.LBB73_140:
	ds_read_b32 v12, v45
.LBB73_141:
	s_and_saveexec_b64 s[8:9], s[0:1]
	s_cbranch_execz .LBB73_143
; %bb.142:
	v_cmp_eq_u32_e32 vcc, 1, v14
	s_waitcnt vmcnt(1)
	v_cndmask_b32_e32 v13, v2, v3, vcc
	v_cmp_eq_u32_e32 vcc, 2, v14
	v_cndmask_b32_e32 v4, v13, v4, vcc
	v_cmp_eq_u32_e32 vcc, 3, v14
	;; [unrolled: 2-line block ×5, first 2 shown]
	ds_read_b32 v13, v45 offset:4
	v_cndmask_b32_e32 v4, v4, v8, vcc
	v_cmp_eq_u32_e32 vcc, 7, v14
	v_cndmask_b32_e32 v4, v4, v9, vcc
	v_cmp_eq_u32_e32 vcc, 8, v14
	;; [unrolled: 2-line block ×3, first 2 shown]
	s_waitcnt vmcnt(0)
	v_cndmask_b32_e32 v4, v4, v11, vcc
	s_waitcnt lgkmcnt(0)
	v_fmac_f32_e32 v12, v4, v13
.LBB73_143:
	s_or_b64 exec, exec, s[8:9]
	v_mov_b32_e32 v4, 0
	ds_read_b32 v4, v4 offset:8
	s_waitcnt lgkmcnt(0)
	v_mul_f32_e32 v4, v12, v4
.LBB73_144:
	s_or_b64 exec, exec, s[6:7]
	v_cmp_gt_u32_e32 vcc, 3, v0
	s_waitcnt vmcnt(7)
	ds_write_b32 v45, v5
	s_waitcnt lgkmcnt(0)
	; wave barrier
	s_waitcnt lgkmcnt(0)
	s_and_saveexec_b64 s[6:7], vcc
	s_cbranch_execz .LBB73_152
; %bb.145:
	s_and_b64 vcc, exec, s[4:5]
	s_cbranch_vccnz .LBB73_147
; %bb.146:
	v_cmp_eq_u32_e32 vcc, 1, v0
	s_waitcnt vmcnt(1)
	v_cndmask_b32_e32 v12, v2, v3, vcc
	v_cmp_eq_u32_e32 vcc, 2, v0
	v_cndmask_b32_e32 v12, v12, v4, vcc
	v_cmp_eq_u32_e32 vcc, 3, v0
	;; [unrolled: 2-line block ×5, first 2 shown]
	ds_read_b32 v13, v45
	v_cndmask_b32_e32 v12, v12, v8, vcc
	v_cmp_eq_u32_e32 vcc, 7, v0
	v_cndmask_b32_e32 v12, v12, v9, vcc
	v_cmp_eq_u32_e32 vcc, 8, v0
	;; [unrolled: 2-line block ×3, first 2 shown]
	s_waitcnt vmcnt(0)
	v_cndmask_b32_e32 v12, v12, v11, vcc
	s_waitcnt lgkmcnt(0)
	v_mul_f32_e32 v12, v12, v13
	s_cbranch_execz .LBB73_148
	s_branch .LBB73_149
.LBB73_147:
                                        ; implicit-def: $vgpr12
.LBB73_148:
	ds_read_b32 v12, v45
.LBB73_149:
	v_cmp_ne_u32_e32 vcc, 2, v0
	s_and_saveexec_b64 s[8:9], vcc
	s_cbranch_execz .LBB73_151
; %bb.150:
	v_cmp_eq_u32_e32 vcc, 1, v14
	s_waitcnt vmcnt(1)
	v_cndmask_b32_e32 v13, v2, v3, vcc
	v_cmp_eq_u32_e32 vcc, 2, v14
	v_cndmask_b32_e32 v13, v13, v4, vcc
	v_cmp_eq_u32_e32 vcc, 3, v14
	;; [unrolled: 2-line block ×5, first 2 shown]
	v_mov_b32_e32 v13, 0
	v_cndmask_b32_e32 v5, v5, v8, vcc
	v_cmp_eq_u32_e32 vcc, 7, v14
	ds_read_b32 v15, v45 offset:4
	ds_read_b32 v13, v13 offset:56
	v_cndmask_b32_e32 v5, v5, v9, vcc
	v_cmp_eq_u32_e32 vcc, 8, v14
	v_cndmask_b32_e32 v5, v5, v10, vcc
	v_cmp_eq_u32_e32 vcc, 9, v14
	s_waitcnt vmcnt(0)
	v_cndmask_b32_e32 v5, v5, v11, vcc
	s_waitcnt lgkmcnt(1)
	v_fmac_f32_e32 v12, v5, v15
	s_waitcnt lgkmcnt(0)
	v_fma_f32 v5, v4, v13, v12
	v_cndmask_b32_e64 v12, v12, v5, s[0:1]
.LBB73_151:
	s_or_b64 exec, exec, s[8:9]
	v_mov_b32_e32 v5, 0
	ds_read_b32 v5, v5 offset:12
	s_waitcnt lgkmcnt(0)
	v_mul_f32_e32 v5, v12, v5
.LBB73_152:
	s_or_b64 exec, exec, s[6:7]
	v_cmp_gt_u32_e64 s[6:7], 4, v0
	s_waitcnt vmcnt(6)
	ds_write_b32 v45, v6
	s_waitcnt lgkmcnt(0)
	; wave barrier
	s_waitcnt lgkmcnt(0)
	s_and_saveexec_b64 s[10:11], s[6:7]
	s_cbranch_execz .LBB73_162
; %bb.153:
	s_and_b64 vcc, exec, s[4:5]
	s_cbranch_vccnz .LBB73_155
; %bb.154:
	v_cmp_eq_u32_e32 vcc, 1, v0
	s_waitcnt vmcnt(1)
	v_cndmask_b32_e32 v12, v2, v3, vcc
	v_cmp_eq_u32_e32 vcc, 2, v0
	v_cndmask_b32_e32 v12, v12, v4, vcc
	v_cmp_eq_u32_e32 vcc, 3, v0
	v_cndmask_b32_e32 v12, v12, v5, vcc
	v_cmp_eq_u32_e32 vcc, 4, v0
	v_cndmask_b32_e32 v12, v12, v6, vcc
	v_cmp_eq_u32_e32 vcc, 5, v0
	v_cndmask_b32_e32 v12, v12, v7, vcc
	v_cmp_eq_u32_e32 vcc, 6, v0
	ds_read_b32 v13, v45
	v_cndmask_b32_e32 v12, v12, v8, vcc
	v_cmp_eq_u32_e32 vcc, 7, v0
	v_cndmask_b32_e32 v12, v12, v9, vcc
	v_cmp_eq_u32_e32 vcc, 8, v0
	;; [unrolled: 2-line block ×3, first 2 shown]
	s_waitcnt vmcnt(0)
	v_cndmask_b32_e32 v12, v12, v11, vcc
	s_waitcnt lgkmcnt(0)
	v_mul_f32_e32 v15, v12, v13
	s_cbranch_execz .LBB73_156
	s_branch .LBB73_157
.LBB73_155:
                                        ; implicit-def: $vgpr15
.LBB73_156:
	ds_read_b32 v15, v45
.LBB73_157:
	v_cmp_ne_u32_e32 vcc, 3, v0
	s_and_saveexec_b64 s[12:13], vcc
	s_cbranch_execz .LBB73_161
; %bb.158:
	v_lshl_add_u32 v16, v0, 2, 52
	s_mov_b64 s[14:15], 0
	v_pk_mov_b32 v[12:13], v[0:1], v[0:1] op_sel:[0,1]
.LBB73_159:                             ; =>This Inner Loop Header: Depth=1
	v_add_co_u32_e32 v12, vcc, 1, v12
	v_addc_co_u32_e32 v13, vcc, 0, v13, vcc
	v_cmp_eq_u32_e32 vcc, 1, v12
	s_waitcnt vmcnt(1)
	v_cndmask_b32_e32 v18, v2, v3, vcc
	v_cmp_lt_u32_e32 vcc, 2, v12
	v_cmp_eq_u32_e64 s[8:9], 2, v12
	v_cndmask_b32_e64 v18, v18, v4, s[8:9]
	s_or_b64 s[14:15], vcc, s[14:15]
	v_cmp_eq_u32_e32 vcc, 3, v12
	v_cndmask_b32_e32 v18, v18, v5, vcc
	v_cmp_eq_u32_e32 vcc, 4, v12
	v_cndmask_b32_e32 v18, v18, v6, vcc
	v_cmp_eq_u32_e32 vcc, 5, v12
	ds_read_b32 v17, v16
	v_cndmask_b32_e32 v18, v18, v7, vcc
	v_cmp_eq_u32_e32 vcc, 6, v12
	v_cndmask_b32_e32 v18, v18, v8, vcc
	v_cmp_eq_u32_e32 vcc, 7, v12
	;; [unrolled: 2-line block ×4, first 2 shown]
	s_waitcnt vmcnt(0)
	v_cndmask_b32_e32 v18, v18, v11, vcc
	v_add_u32_e32 v16, 4, v16
	s_waitcnt lgkmcnt(0)
	v_fmac_f32_e32 v15, v18, v17
	s_andn2_b64 exec, exec, s[14:15]
	s_cbranch_execnz .LBB73_159
; %bb.160:
	s_or_b64 exec, exec, s[14:15]
.LBB73_161:
	s_or_b64 exec, exec, s[12:13]
	v_mov_b32_e32 v6, 0
	ds_read_b32 v6, v6 offset:16
	s_waitcnt lgkmcnt(0)
	v_mul_f32_e32 v6, v15, v6
.LBB73_162:
	s_or_b64 exec, exec, s[10:11]
	v_cmp_gt_u32_e32 vcc, 5, v0
	s_waitcnt vmcnt(5)
	ds_write_b32 v45, v7
	s_waitcnt lgkmcnt(0)
	; wave barrier
	s_waitcnt lgkmcnt(0)
	s_and_saveexec_b64 s[10:11], vcc
	s_cbranch_execz .LBB73_172
; %bb.163:
	s_and_b64 vcc, exec, s[4:5]
	s_cbranch_vccnz .LBB73_165
; %bb.164:
	v_cmp_eq_u32_e32 vcc, 1, v0
	s_waitcnt vmcnt(1)
	v_cndmask_b32_e32 v12, v2, v3, vcc
	v_cmp_eq_u32_e32 vcc, 2, v0
	v_cndmask_b32_e32 v12, v12, v4, vcc
	v_cmp_eq_u32_e32 vcc, 3, v0
	;; [unrolled: 2-line block ×5, first 2 shown]
	ds_read_b32 v13, v45
	v_cndmask_b32_e32 v12, v12, v8, vcc
	v_cmp_eq_u32_e32 vcc, 7, v0
	v_cndmask_b32_e32 v12, v12, v9, vcc
	v_cmp_eq_u32_e32 vcc, 8, v0
	;; [unrolled: 2-line block ×3, first 2 shown]
	s_waitcnt vmcnt(0)
	v_cndmask_b32_e32 v12, v12, v11, vcc
	s_waitcnt lgkmcnt(0)
	v_mul_f32_e32 v15, v12, v13
	s_cbranch_execz .LBB73_166
	s_branch .LBB73_167
.LBB73_165:
                                        ; implicit-def: $vgpr15
.LBB73_166:
	ds_read_b32 v15, v45
.LBB73_167:
	v_cmp_ne_u32_e32 vcc, 4, v0
	s_and_saveexec_b64 s[12:13], vcc
	s_cbranch_execz .LBB73_171
; %bb.168:
	v_lshl_add_u32 v16, v0, 2, 52
	s_mov_b64 s[14:15], 0
	v_pk_mov_b32 v[12:13], v[0:1], v[0:1] op_sel:[0,1]
.LBB73_169:                             ; =>This Inner Loop Header: Depth=1
	v_add_co_u32_e32 v12, vcc, 1, v12
	v_addc_co_u32_e32 v13, vcc, 0, v13, vcc
	v_cmp_eq_u32_e32 vcc, 1, v12
	s_waitcnt vmcnt(1)
	v_cndmask_b32_e32 v18, v2, v3, vcc
	v_cmp_lt_u32_e32 vcc, 3, v12
	v_cmp_eq_u32_e64 s[8:9], 2, v12
	v_cndmask_b32_e64 v18, v18, v4, s[8:9]
	s_or_b64 s[14:15], vcc, s[14:15]
	v_cmp_eq_u32_e32 vcc, 3, v12
	v_cndmask_b32_e32 v18, v18, v5, vcc
	v_cmp_eq_u32_e32 vcc, 4, v12
	v_cndmask_b32_e32 v18, v18, v6, vcc
	v_cmp_eq_u32_e32 vcc, 5, v12
	ds_read_b32 v17, v16
	v_cndmask_b32_e32 v18, v18, v7, vcc
	v_cmp_eq_u32_e32 vcc, 6, v12
	v_cndmask_b32_e32 v18, v18, v8, vcc
	v_cmp_eq_u32_e32 vcc, 7, v12
	;; [unrolled: 2-line block ×4, first 2 shown]
	s_waitcnt vmcnt(0)
	v_cndmask_b32_e32 v18, v18, v11, vcc
	v_add_u32_e32 v16, 4, v16
	s_waitcnt lgkmcnt(0)
	v_fmac_f32_e32 v15, v18, v17
	s_andn2_b64 exec, exec, s[14:15]
	s_cbranch_execnz .LBB73_169
; %bb.170:
	s_or_b64 exec, exec, s[14:15]
.LBB73_171:
	s_or_b64 exec, exec, s[12:13]
	v_mov_b32_e32 v7, 0
	ds_read_b32 v7, v7 offset:20
	s_waitcnt lgkmcnt(0)
	v_mul_f32_e32 v7, v15, v7
.LBB73_172:
	s_or_b64 exec, exec, s[10:11]
	v_cmp_gt_u32_e64 s[8:9], 6, v0
	s_waitcnt vmcnt(4)
	ds_write_b32 v45, v8
	s_waitcnt lgkmcnt(0)
	; wave barrier
	s_waitcnt lgkmcnt(0)
	s_and_saveexec_b64 s[12:13], s[8:9]
	s_cbranch_execz .LBB73_182
; %bb.173:
	s_and_b64 vcc, exec, s[4:5]
	s_cbranch_vccnz .LBB73_175
; %bb.174:
	v_cmp_eq_u32_e32 vcc, 1, v0
	s_waitcnt vmcnt(1)
	v_cndmask_b32_e32 v12, v2, v3, vcc
	v_cmp_eq_u32_e32 vcc, 2, v0
	v_cndmask_b32_e32 v12, v12, v4, vcc
	v_cmp_eq_u32_e32 vcc, 3, v0
	;; [unrolled: 2-line block ×5, first 2 shown]
	ds_read_b32 v13, v45
	v_cndmask_b32_e32 v12, v12, v8, vcc
	v_cmp_eq_u32_e32 vcc, 7, v0
	v_cndmask_b32_e32 v12, v12, v9, vcc
	v_cmp_eq_u32_e32 vcc, 8, v0
	;; [unrolled: 2-line block ×3, first 2 shown]
	s_waitcnt vmcnt(0)
	v_cndmask_b32_e32 v12, v12, v11, vcc
	s_waitcnt lgkmcnt(0)
	v_mul_f32_e32 v15, v12, v13
	s_cbranch_execz .LBB73_176
	s_branch .LBB73_177
.LBB73_175:
                                        ; implicit-def: $vgpr15
.LBB73_176:
	ds_read_b32 v15, v45
.LBB73_177:
	v_cmp_ne_u32_e32 vcc, 5, v0
	s_and_saveexec_b64 s[14:15], vcc
	s_cbranch_execz .LBB73_181
; %bb.178:
	v_lshl_add_u32 v16, v0, 2, 52
	s_mov_b64 s[16:17], 0
	v_pk_mov_b32 v[12:13], v[0:1], v[0:1] op_sel:[0,1]
.LBB73_179:                             ; =>This Inner Loop Header: Depth=1
	v_add_co_u32_e32 v12, vcc, 1, v12
	v_addc_co_u32_e32 v13, vcc, 0, v13, vcc
	v_cmp_eq_u32_e32 vcc, 1, v12
	s_waitcnt vmcnt(1)
	v_cndmask_b32_e32 v18, v2, v3, vcc
	v_cmp_lt_u32_e32 vcc, 4, v12
	v_cmp_eq_u32_e64 s[10:11], 2, v12
	v_cndmask_b32_e64 v18, v18, v4, s[10:11]
	s_or_b64 s[16:17], vcc, s[16:17]
	v_cmp_eq_u32_e32 vcc, 3, v12
	v_cndmask_b32_e32 v18, v18, v5, vcc
	v_cmp_eq_u32_e32 vcc, 4, v12
	v_cndmask_b32_e32 v18, v18, v6, vcc
	v_cmp_eq_u32_e32 vcc, 5, v12
	ds_read_b32 v17, v16
	v_cndmask_b32_e32 v18, v18, v7, vcc
	v_cmp_eq_u32_e32 vcc, 6, v12
	v_cndmask_b32_e32 v18, v18, v8, vcc
	v_cmp_eq_u32_e32 vcc, 7, v12
	v_cndmask_b32_e32 v18, v18, v9, vcc
	v_cmp_eq_u32_e32 vcc, 8, v12
	v_cndmask_b32_e32 v18, v18, v10, vcc
	v_cmp_eq_u32_e32 vcc, 9, v12
	s_waitcnt vmcnt(0)
	v_cndmask_b32_e32 v18, v18, v11, vcc
	v_add_u32_e32 v16, 4, v16
	s_waitcnt lgkmcnt(0)
	v_fmac_f32_e32 v15, v18, v17
	s_andn2_b64 exec, exec, s[16:17]
	s_cbranch_execnz .LBB73_179
; %bb.180:
	s_or_b64 exec, exec, s[16:17]
.LBB73_181:
	s_or_b64 exec, exec, s[14:15]
	v_mov_b32_e32 v8, 0
	ds_read_b32 v8, v8 offset:24
	s_waitcnt lgkmcnt(0)
	v_mul_f32_e32 v8, v15, v8
.LBB73_182:
	s_or_b64 exec, exec, s[12:13]
	v_cmp_gt_u32_e32 vcc, 7, v0
	s_waitcnt vmcnt(3)
	ds_write_b32 v45, v9
	s_waitcnt lgkmcnt(0)
	; wave barrier
	s_waitcnt lgkmcnt(0)
	s_and_saveexec_b64 s[12:13], vcc
	s_cbranch_execz .LBB73_192
; %bb.183:
	s_and_b64 vcc, exec, s[4:5]
	s_cbranch_vccnz .LBB73_185
; %bb.184:
	v_cmp_eq_u32_e32 vcc, 1, v0
	s_waitcnt vmcnt(1)
	v_cndmask_b32_e32 v12, v2, v3, vcc
	v_cmp_eq_u32_e32 vcc, 2, v0
	v_cndmask_b32_e32 v12, v12, v4, vcc
	v_cmp_eq_u32_e32 vcc, 3, v0
	;; [unrolled: 2-line block ×5, first 2 shown]
	ds_read_b32 v13, v45
	v_cndmask_b32_e32 v12, v12, v8, vcc
	v_cmp_eq_u32_e32 vcc, 7, v0
	v_cndmask_b32_e32 v12, v12, v9, vcc
	v_cmp_eq_u32_e32 vcc, 8, v0
	v_cndmask_b32_e32 v12, v12, v10, vcc
	v_cmp_eq_u32_e32 vcc, 9, v0
	s_waitcnt vmcnt(0)
	v_cndmask_b32_e32 v12, v12, v11, vcc
	s_waitcnt lgkmcnt(0)
	v_mul_f32_e32 v15, v12, v13
	s_cbranch_execz .LBB73_186
	s_branch .LBB73_187
.LBB73_185:
                                        ; implicit-def: $vgpr15
.LBB73_186:
	ds_read_b32 v15, v45
.LBB73_187:
	v_cmp_ne_u32_e32 vcc, 6, v0
	s_and_saveexec_b64 s[14:15], vcc
	s_cbranch_execz .LBB73_191
; %bb.188:
	v_lshl_add_u32 v16, v0, 2, 52
	s_mov_b64 s[16:17], 0
	v_pk_mov_b32 v[12:13], v[0:1], v[0:1] op_sel:[0,1]
.LBB73_189:                             ; =>This Inner Loop Header: Depth=1
	v_add_co_u32_e32 v12, vcc, 1, v12
	v_addc_co_u32_e32 v13, vcc, 0, v13, vcc
	v_cmp_eq_u32_e32 vcc, 1, v12
	s_waitcnt vmcnt(1)
	v_cndmask_b32_e32 v18, v2, v3, vcc
	v_cmp_lt_u32_e32 vcc, 5, v12
	v_cmp_eq_u32_e64 s[10:11], 2, v12
	v_cndmask_b32_e64 v18, v18, v4, s[10:11]
	s_or_b64 s[16:17], vcc, s[16:17]
	v_cmp_eq_u32_e32 vcc, 3, v12
	v_cndmask_b32_e32 v18, v18, v5, vcc
	v_cmp_eq_u32_e32 vcc, 4, v12
	v_cndmask_b32_e32 v18, v18, v6, vcc
	v_cmp_eq_u32_e32 vcc, 5, v12
	ds_read_b32 v17, v16
	v_cndmask_b32_e32 v18, v18, v7, vcc
	v_cmp_eq_u32_e32 vcc, 6, v12
	v_cndmask_b32_e32 v18, v18, v8, vcc
	v_cmp_eq_u32_e32 vcc, 7, v12
	;; [unrolled: 2-line block ×4, first 2 shown]
	s_waitcnt vmcnt(0)
	v_cndmask_b32_e32 v18, v18, v11, vcc
	v_add_u32_e32 v16, 4, v16
	s_waitcnt lgkmcnt(0)
	v_fmac_f32_e32 v15, v18, v17
	s_andn2_b64 exec, exec, s[16:17]
	s_cbranch_execnz .LBB73_189
; %bb.190:
	s_or_b64 exec, exec, s[16:17]
.LBB73_191:
	s_or_b64 exec, exec, s[14:15]
	v_mov_b32_e32 v9, 0
	ds_read_b32 v9, v9 offset:28
	s_waitcnt lgkmcnt(0)
	v_mul_f32_e32 v9, v15, v9
.LBB73_192:
	s_or_b64 exec, exec, s[12:13]
	v_cmp_gt_u32_e64 s[10:11], 8, v0
	s_waitcnt vmcnt(2)
	ds_write_b32 v45, v10
	s_waitcnt lgkmcnt(0)
	; wave barrier
	s_waitcnt lgkmcnt(0)
	s_and_saveexec_b64 s[14:15], s[10:11]
	s_cbranch_execz .LBB73_202
; %bb.193:
	s_and_b64 vcc, exec, s[4:5]
	s_cbranch_vccnz .LBB73_195
; %bb.194:
	v_cmp_eq_u32_e32 vcc, 1, v0
	s_waitcnt vmcnt(1)
	v_cndmask_b32_e32 v12, v2, v3, vcc
	v_cmp_eq_u32_e32 vcc, 2, v0
	v_cndmask_b32_e32 v12, v12, v4, vcc
	v_cmp_eq_u32_e32 vcc, 3, v0
	;; [unrolled: 2-line block ×5, first 2 shown]
	ds_read_b32 v13, v45
	v_cndmask_b32_e32 v12, v12, v8, vcc
	v_cmp_eq_u32_e32 vcc, 7, v0
	v_cndmask_b32_e32 v12, v12, v9, vcc
	v_cmp_eq_u32_e32 vcc, 8, v0
	;; [unrolled: 2-line block ×3, first 2 shown]
	s_waitcnt vmcnt(0)
	v_cndmask_b32_e32 v12, v12, v11, vcc
	s_waitcnt lgkmcnt(0)
	v_mul_f32_e32 v15, v12, v13
	s_cbranch_execz .LBB73_196
	s_branch .LBB73_197
.LBB73_195:
                                        ; implicit-def: $vgpr15
.LBB73_196:
	ds_read_b32 v15, v45
.LBB73_197:
	v_cmp_ne_u32_e32 vcc, 7, v0
	s_and_saveexec_b64 s[16:17], vcc
	s_cbranch_execz .LBB73_201
; %bb.198:
	v_lshl_add_u32 v16, v0, 2, 52
	s_mov_b64 s[18:19], 0
	v_pk_mov_b32 v[12:13], v[0:1], v[0:1] op_sel:[0,1]
.LBB73_199:                             ; =>This Inner Loop Header: Depth=1
	v_add_co_u32_e32 v12, vcc, 1, v12
	v_addc_co_u32_e32 v13, vcc, 0, v13, vcc
	v_cmp_eq_u32_e32 vcc, 1, v12
	s_waitcnt vmcnt(1)
	v_cndmask_b32_e32 v17, v2, v3, vcc
	v_cmp_lt_u32_e32 vcc, 6, v12
	v_cmp_eq_u32_e64 s[12:13], 2, v12
	v_cndmask_b32_e64 v17, v17, v4, s[12:13]
	s_or_b64 s[18:19], vcc, s[18:19]
	v_cmp_eq_u32_e32 vcc, 3, v12
	v_cndmask_b32_e32 v17, v17, v5, vcc
	v_cmp_eq_u32_e32 vcc, 4, v12
	v_cndmask_b32_e32 v17, v17, v6, vcc
	v_cmp_eq_u32_e32 vcc, 5, v12
	ds_read_b32 v1, v16
	v_cndmask_b32_e32 v17, v17, v7, vcc
	v_cmp_eq_u32_e32 vcc, 6, v12
	v_cndmask_b32_e32 v17, v17, v8, vcc
	v_cmp_eq_u32_e32 vcc, 7, v12
	;; [unrolled: 2-line block ×4, first 2 shown]
	s_waitcnt vmcnt(0)
	v_cndmask_b32_e32 v17, v17, v11, vcc
	v_add_u32_e32 v16, 4, v16
	s_waitcnt lgkmcnt(0)
	v_fmac_f32_e32 v15, v17, v1
	s_andn2_b64 exec, exec, s[18:19]
	s_cbranch_execnz .LBB73_199
; %bb.200:
	s_or_b64 exec, exec, s[18:19]
.LBB73_201:
	s_or_b64 exec, exec, s[16:17]
	v_mov_b32_e32 v1, 0
	ds_read_b32 v1, v1 offset:32
	s_waitcnt lgkmcnt(0)
	v_mul_f32_e32 v10, v15, v1
.LBB73_202:
	s_or_b64 exec, exec, s[14:15]
	v_cmp_ne_u32_e32 vcc, 9, v0
	s_waitcnt vmcnt(0)
	ds_write_b32 v45, v11
	s_waitcnt lgkmcnt(0)
	; wave barrier
	s_waitcnt lgkmcnt(0)
	s_and_saveexec_b64 s[12:13], vcc
	s_cbranch_execz .LBB73_224
; %bb.203:
	s_and_b64 vcc, exec, s[4:5]
	s_cbranch_vccnz .LBB73_205
; %bb.204:
	v_cmp_eq_u32_e32 vcc, 1, v0
	v_cndmask_b32_e32 v1, v2, v3, vcc
	v_cmp_eq_u32_e32 vcc, 2, v0
	v_cndmask_b32_e32 v1, v1, v4, vcc
	;; [unrolled: 2-line block ×5, first 2 shown]
	v_cmp_eq_u32_e32 vcc, 6, v0
	ds_read_b32 v12, v45
	v_cndmask_b32_e32 v1, v1, v8, vcc
	v_cmp_eq_u32_e32 vcc, 7, v0
	v_cndmask_b32_e32 v1, v1, v9, vcc
	v_cmp_eq_u32_e32 vcc, 8, v0
	;; [unrolled: 2-line block ×3, first 2 shown]
	v_cndmask_b32_e32 v1, v1, v11, vcc
	s_waitcnt lgkmcnt(0)
	v_mul_f32_e32 v1, v1, v12
	s_cbranch_execz .LBB73_206
	s_branch .LBB73_207
.LBB73_205:
                                        ; implicit-def: $vgpr1
.LBB73_206:
	ds_read_b32 v1, v45
.LBB73_207:
	s_and_saveexec_b64 s[4:5], s[10:11]
	s_cbranch_execz .LBB73_223
; %bb.208:
	v_cmp_eq_u32_e32 vcc, 1, v14
	v_cndmask_b32_e32 v12, v2, v3, vcc
	v_cmp_eq_u32_e32 vcc, 2, v14
	v_cndmask_b32_e32 v12, v12, v4, vcc
	v_cmp_eq_u32_e32 vcc, 3, v14
	v_cndmask_b32_e32 v12, v12, v5, vcc
	v_cmp_eq_u32_e32 vcc, 4, v14
	v_cndmask_b32_e32 v12, v12, v6, vcc
	v_cmp_eq_u32_e32 vcc, 5, v14
	v_cndmask_b32_e32 v12, v12, v7, vcc
	v_cmp_eq_u32_e32 vcc, 6, v14
	ds_read_b32 v13, v45 offset:4
	v_cndmask_b32_e32 v12, v12, v8, vcc
	v_cmp_eq_u32_e32 vcc, 7, v14
	v_cndmask_b32_e32 v12, v12, v9, vcc
	v_cmp_eq_u32_e32 vcc, 8, v14
	v_cndmask_b32_e32 v12, v12, v10, vcc
	v_cmp_eq_u32_e32 vcc, 9, v14
	v_cndmask_b32_e32 v12, v12, v11, vcc
	s_waitcnt lgkmcnt(0)
	v_fmac_f32_e32 v1, v12, v13
	v_cmp_ne_u32_e32 vcc, 7, v0
	s_and_saveexec_b64 s[10:11], vcc
	s_cbranch_execz .LBB73_222
; %bb.209:
	v_add_u32_e32 v12, 2, v0
	v_cmp_eq_u32_e32 vcc, 1, v12
	v_cndmask_b32_e32 v13, v2, v3, vcc
	v_cmp_eq_u32_e32 vcc, 2, v12
	v_cndmask_b32_e32 v13, v13, v4, vcc
	v_cmp_eq_u32_e32 vcc, 3, v12
	v_cndmask_b32_e32 v13, v13, v5, vcc
	v_cmp_eq_u32_e32 vcc, 4, v12
	v_cndmask_b32_e32 v13, v13, v6, vcc
	v_cmp_eq_u32_e32 vcc, 5, v12
	v_cndmask_b32_e32 v13, v13, v7, vcc
	v_cmp_eq_u32_e32 vcc, 6, v12
	ds_read_b32 v14, v45 offset:8
	v_cndmask_b32_e32 v13, v13, v8, vcc
	v_cmp_eq_u32_e32 vcc, 7, v12
	v_cndmask_b32_e32 v13, v13, v9, vcc
	v_cmp_eq_u32_e32 vcc, 8, v12
	v_cndmask_b32_e32 v13, v13, v10, vcc
	v_cmp_eq_u32_e32 vcc, 9, v12
	v_cndmask_b32_e32 v12, v13, v11, vcc
	s_waitcnt lgkmcnt(0)
	v_fmac_f32_e32 v1, v12, v14
	s_and_saveexec_b64 s[14:15], s[8:9]
	s_cbranch_execz .LBB73_221
; %bb.210:
	v_add_u32_e32 v12, 3, v0
	v_cmp_eq_u32_e32 vcc, 1, v12
	v_cndmask_b32_e32 v13, v2, v3, vcc
	v_cmp_eq_u32_e32 vcc, 2, v12
	v_cndmask_b32_e32 v13, v13, v4, vcc
	v_cmp_eq_u32_e32 vcc, 3, v12
	v_cndmask_b32_e32 v13, v13, v5, vcc
	v_cmp_eq_u32_e32 vcc, 4, v12
	v_cndmask_b32_e32 v13, v13, v6, vcc
	v_cmp_eq_u32_e32 vcc, 5, v12
	v_cndmask_b32_e32 v13, v13, v7, vcc
	v_cmp_eq_u32_e32 vcc, 6, v12
	ds_read_b32 v14, v45 offset:12
	v_cndmask_b32_e32 v13, v13, v8, vcc
	v_cmp_eq_u32_e32 vcc, 7, v12
	v_cndmask_b32_e32 v13, v13, v9, vcc
	v_cmp_eq_u32_e32 vcc, 8, v12
	v_cndmask_b32_e32 v13, v13, v10, vcc
	v_cmp_eq_u32_e32 vcc, 9, v12
	v_cndmask_b32_e32 v12, v13, v11, vcc
	s_waitcnt lgkmcnt(0)
	v_fmac_f32_e32 v1, v12, v14
	v_cmp_ne_u32_e32 vcc, 5, v0
	s_and_saveexec_b64 s[8:9], vcc
	s_cbranch_execz .LBB73_220
; %bb.211:
	v_add_u32_e32 v12, 4, v0
	v_cmp_eq_u32_e32 vcc, 1, v12
	v_cndmask_b32_e32 v13, v2, v3, vcc
	v_cmp_eq_u32_e32 vcc, 2, v12
	v_cndmask_b32_e32 v13, v13, v4, vcc
	v_cmp_eq_u32_e32 vcc, 3, v12
	v_cndmask_b32_e32 v13, v13, v5, vcc
	v_cmp_eq_u32_e32 vcc, 4, v12
	v_cndmask_b32_e32 v13, v13, v6, vcc
	v_cmp_eq_u32_e32 vcc, 5, v12
	v_cndmask_b32_e32 v13, v13, v7, vcc
	v_cmp_eq_u32_e32 vcc, 6, v12
	ds_read_b32 v14, v45 offset:16
	v_cndmask_b32_e32 v13, v13, v8, vcc
	v_cmp_eq_u32_e32 vcc, 7, v12
	v_cndmask_b32_e32 v13, v13, v9, vcc
	v_cmp_eq_u32_e32 vcc, 8, v12
	v_cndmask_b32_e32 v13, v13, v10, vcc
	v_cmp_eq_u32_e32 vcc, 9, v12
	v_cndmask_b32_e32 v12, v13, v11, vcc
	s_waitcnt lgkmcnt(0)
	v_fmac_f32_e32 v1, v12, v14
	s_and_saveexec_b64 s[16:17], s[6:7]
	s_cbranch_execz .LBB73_219
; %bb.212:
	v_add_u32_e32 v12, 5, v0
	;; [unrolled: 51-line block ×3, first 2 shown]
	v_cmp_eq_u32_e32 vcc, 1, v0
	v_cndmask_b32_e32 v12, v2, v3, vcc
	v_cmp_eq_u32_e32 vcc, 2, v0
	v_cndmask_b32_e32 v12, v12, v4, vcc
	;; [unrolled: 2-line block ×5, first 2 shown]
	v_cmp_eq_u32_e32 vcc, 6, v0
	ds_read_b32 v13, v45 offset:28
	v_cndmask_b32_e32 v12, v12, v8, vcc
	v_cmp_eq_u32_e32 vcc, 7, v0
	v_cndmask_b32_e32 v12, v12, v9, vcc
	v_cmp_eq_u32_e32 vcc, 8, v0
	;; [unrolled: 2-line block ×3, first 2 shown]
	v_cndmask_b32_e32 v0, v12, v11, vcc
	s_waitcnt lgkmcnt(0)
	v_fmac_f32_e32 v1, v0, v13
	s_and_saveexec_b64 s[2:3], s[0:1]
	s_cbranch_execz .LBB73_216
; %bb.215:
	ds_read_b32 v0, v45 offset:32
	s_waitcnt lgkmcnt(0)
	v_fmac_f32_e32 v1, v10, v0
.LBB73_216:
	s_or_b64 exec, exec, s[2:3]
.LBB73_217:
	s_or_b64 exec, exec, s[18:19]
.LBB73_218:
	s_or_b64 exec, exec, s[6:7]
.LBB73_219:
	s_or_b64 exec, exec, s[16:17]
.LBB73_220:
	s_or_b64 exec, exec, s[8:9]
.LBB73_221:
	s_or_b64 exec, exec, s[14:15]
.LBB73_222:
	s_or_b64 exec, exec, s[10:11]
.LBB73_223:
	s_or_b64 exec, exec, s[4:5]
	v_mov_b32_e32 v0, 0
	ds_read_b32 v0, v0 offset:36
	s_waitcnt lgkmcnt(0)
	v_mul_f32_e32 v11, v1, v0
.LBB73_224:
	s_or_b64 exec, exec, s[12:13]
	v_pk_mov_b32 v[20:21], v[10:11], v[10:11] op_sel:[0,1]
	v_pk_mov_b32 v[18:19], v[8:9], v[8:9] op_sel:[0,1]
	;; [unrolled: 1-line block ×5, first 2 shown]
.LBB73_225:
	global_store_dword v[22:23], v12, off
	global_store_dword v[24:25], v13, off
	;; [unrolled: 1-line block ×10, first 2 shown]
.LBB73_226:
	s_endpgm
	.section	.rodata,"a",@progbits
	.p2align	6, 0x0
	.amdhsa_kernel _ZN9rocsolver6v33100L18trti2_kernel_smallILi10EfPKPfEEv13rocblas_fill_17rocblas_diagonal_T1_iil
		.amdhsa_group_segment_fixed_size 88
		.amdhsa_private_segment_fixed_size 0
		.amdhsa_kernarg_size 32
		.amdhsa_user_sgpr_count 6
		.amdhsa_user_sgpr_private_segment_buffer 1
		.amdhsa_user_sgpr_dispatch_ptr 0
		.amdhsa_user_sgpr_queue_ptr 0
		.amdhsa_user_sgpr_kernarg_segment_ptr 1
		.amdhsa_user_sgpr_dispatch_id 0
		.amdhsa_user_sgpr_flat_scratch_init 0
		.amdhsa_user_sgpr_kernarg_preload_length 0
		.amdhsa_user_sgpr_kernarg_preload_offset 0
		.amdhsa_user_sgpr_private_segment_size 0
		.amdhsa_uses_dynamic_stack 0
		.amdhsa_system_sgpr_private_segment_wavefront_offset 0
		.amdhsa_system_sgpr_workgroup_id_x 1
		.amdhsa_system_sgpr_workgroup_id_y 0
		.amdhsa_system_sgpr_workgroup_id_z 0
		.amdhsa_system_sgpr_workgroup_info 0
		.amdhsa_system_vgpr_workitem_id 0
		.amdhsa_next_free_vgpr 60
		.amdhsa_next_free_sgpr 26
		.amdhsa_accum_offset 60
		.amdhsa_reserve_vcc 1
		.amdhsa_reserve_flat_scratch 0
		.amdhsa_float_round_mode_32 0
		.amdhsa_float_round_mode_16_64 0
		.amdhsa_float_denorm_mode_32 3
		.amdhsa_float_denorm_mode_16_64 3
		.amdhsa_dx10_clamp 1
		.amdhsa_ieee_mode 1
		.amdhsa_fp16_overflow 0
		.amdhsa_tg_split 0
		.amdhsa_exception_fp_ieee_invalid_op 0
		.amdhsa_exception_fp_denorm_src 0
		.amdhsa_exception_fp_ieee_div_zero 0
		.amdhsa_exception_fp_ieee_overflow 0
		.amdhsa_exception_fp_ieee_underflow 0
		.amdhsa_exception_fp_ieee_inexact 0
		.amdhsa_exception_int_div_zero 0
	.end_amdhsa_kernel
	.section	.text._ZN9rocsolver6v33100L18trti2_kernel_smallILi10EfPKPfEEv13rocblas_fill_17rocblas_diagonal_T1_iil,"axG",@progbits,_ZN9rocsolver6v33100L18trti2_kernel_smallILi10EfPKPfEEv13rocblas_fill_17rocblas_diagonal_T1_iil,comdat
.Lfunc_end73:
	.size	_ZN9rocsolver6v33100L18trti2_kernel_smallILi10EfPKPfEEv13rocblas_fill_17rocblas_diagonal_T1_iil, .Lfunc_end73-_ZN9rocsolver6v33100L18trti2_kernel_smallILi10EfPKPfEEv13rocblas_fill_17rocblas_diagonal_T1_iil
                                        ; -- End function
	.section	.AMDGPU.csdata,"",@progbits
; Kernel info:
; codeLenInByte = 9348
; NumSgprs: 30
; NumVgprs: 60
; NumAgprs: 0
; TotalNumVgprs: 60
; ScratchSize: 0
; MemoryBound: 0
; FloatMode: 240
; IeeeMode: 1
; LDSByteSize: 88 bytes/workgroup (compile time only)
; SGPRBlocks: 3
; VGPRBlocks: 7
; NumSGPRsForWavesPerEU: 30
; NumVGPRsForWavesPerEU: 60
; AccumOffset: 60
; Occupancy: 8
; WaveLimiterHint : 1
; COMPUTE_PGM_RSRC2:SCRATCH_EN: 0
; COMPUTE_PGM_RSRC2:USER_SGPR: 6
; COMPUTE_PGM_RSRC2:TRAP_HANDLER: 0
; COMPUTE_PGM_RSRC2:TGID_X_EN: 1
; COMPUTE_PGM_RSRC2:TGID_Y_EN: 0
; COMPUTE_PGM_RSRC2:TGID_Z_EN: 0
; COMPUTE_PGM_RSRC2:TIDIG_COMP_CNT: 0
; COMPUTE_PGM_RSRC3_GFX90A:ACCUM_OFFSET: 14
; COMPUTE_PGM_RSRC3_GFX90A:TG_SPLIT: 0
	.section	.text._ZN9rocsolver6v33100L18trti2_kernel_smallILi11EfPKPfEEv13rocblas_fill_17rocblas_diagonal_T1_iil,"axG",@progbits,_ZN9rocsolver6v33100L18trti2_kernel_smallILi11EfPKPfEEv13rocblas_fill_17rocblas_diagonal_T1_iil,comdat
	.globl	_ZN9rocsolver6v33100L18trti2_kernel_smallILi11EfPKPfEEv13rocblas_fill_17rocblas_diagonal_T1_iil ; -- Begin function _ZN9rocsolver6v33100L18trti2_kernel_smallILi11EfPKPfEEv13rocblas_fill_17rocblas_diagonal_T1_iil
	.p2align	8
	.type	_ZN9rocsolver6v33100L18trti2_kernel_smallILi11EfPKPfEEv13rocblas_fill_17rocblas_diagonal_T1_iil,@function
_ZN9rocsolver6v33100L18trti2_kernel_smallILi11EfPKPfEEv13rocblas_fill_17rocblas_diagonal_T1_iil: ; @_ZN9rocsolver6v33100L18trti2_kernel_smallILi11EfPKPfEEv13rocblas_fill_17rocblas_diagonal_T1_iil
; %bb.0:
	v_cmp_gt_u32_e32 vcc, 11, v0
	s_and_saveexec_b64 s[0:1], vcc
	s_cbranch_execz .LBB74_252
; %bb.1:
	s_load_dwordx2 s[0:1], s[4:5], 0x10
	s_load_dwordx4 s[24:27], s[4:5], 0x0
	s_ashr_i32 s7, s6, 31
	s_lshl_b64 s[2:3], s[6:7], 3
	v_lshlrev_b32_e32 v13, 2, v0
	s_waitcnt lgkmcnt(0)
	s_ashr_i32 s5, s0, 31
	s_add_u32 s2, s26, s2
	s_addc_u32 s3, s27, s3
	s_load_dwordx2 s[2:3], s[2:3], 0x0
	s_mov_b32 s4, s0
	s_lshl_b64 s[4:5], s[4:5], 2
	s_waitcnt lgkmcnt(0)
	s_add_u32 s2, s2, s4
	s_addc_u32 s3, s3, s5
	v_mov_b32_e32 v1, s3
	v_add_co_u32_e32 v26, vcc, s2, v13
	s_ashr_i32 s5, s1, 31
	s_mov_b32 s4, s1
	s_add_i32 s0, s1, s1
	v_addc_co_u32_e32 v27, vcc, 0, v1, vcc
	s_lshl_b64 s[4:5], s[4:5], 2
	v_add_u32_e32 v2, s0, v0
	v_mov_b32_e32 v1, s5
	v_add_co_u32_e32 v28, vcc, s4, v26
	v_ashrrev_i32_e32 v3, 31, v2
	v_addc_co_u32_e32 v29, vcc, v27, v1, vcc
	v_lshlrev_b64 v[4:5], 2, v[2:3]
	v_add_u32_e32 v2, s1, v2
	v_mov_b32_e32 v1, s3
	v_add_co_u32_e32 v30, vcc, s2, v4
	v_ashrrev_i32_e32 v3, 31, v2
	v_addc_co_u32_e32 v31, vcc, v1, v5, vcc
	v_lshlrev_b64 v[4:5], 2, v[2:3]
	v_add_u32_e32 v2, s1, v2
	v_add_co_u32_e32 v32, vcc, s2, v4
	v_ashrrev_i32_e32 v3, 31, v2
	v_addc_co_u32_e32 v33, vcc, v1, v5, vcc
	v_lshlrev_b64 v[4:5], 2, v[2:3]
	v_add_u32_e32 v2, s1, v2
	;; [unrolled: 5-line block ×5, first 2 shown]
	v_add_co_u32_e32 v40, vcc, s2, v4
	v_ashrrev_i32_e32 v3, 31, v2
	v_addc_co_u32_e32 v41, vcc, v1, v5, vcc
	v_lshlrev_b64 v[4:5], 2, v[2:3]
	v_add_co_u32_e32 v42, vcc, s2, v4
	v_addc_co_u32_e32 v43, vcc, v1, v5, vcc
	global_load_dword v3, v[28:29], off
	global_load_dword v4, v[30:31], off
	;; [unrolled: 1-line block ×8, first 2 shown]
	v_add_u32_e32 v14, s1, v2
	v_ashrrev_i32_e32 v15, 31, v14
	v_lshlrev_b64 v[16:17], 2, v[14:15]
	v_add_u32_e32 v14, s1, v14
	v_add_co_u32_e32 v44, vcc, s2, v16
	v_ashrrev_i32_e32 v15, 31, v14
	v_addc_co_u32_e32 v45, vcc, v1, v17, vcc
	v_lshlrev_b64 v[14:15], 2, v[14:15]
	v_add_co_u32_e32 v46, vcc, s2, v14
	global_load_dword v11, v[44:45], off
	v_addc_co_u32_e32 v47, vcc, v1, v15, vcc
	global_load_dword v2, v13, s[2:3]
	global_load_dword v12, v[46:47], off
	s_cmpk_lg_i32 s25, 0x84
	v_mov_b32_e32 v1, 0
	s_cselect_b64 s[22:23], -1, 0
	s_cmpk_eq_i32 s25, 0x84
	v_mov_b32_e32 v14, -1.0
	v_cmp_eq_u32_e64 s[0:1], 0, v0
	s_cbranch_scc1 .LBB74_3
; %bb.2:
	v_cmp_eq_u32_e64 s[2:3], 1, v0
	s_waitcnt vmcnt(1)
	v_cndmask_b32_e64 v14, v2, v3, s[2:3]
	v_cmp_eq_u32_e64 s[4:5], 2, v0
	v_cndmask_b32_e64 v14, v14, v4, s[4:5]
	v_cmp_eq_u32_e64 s[6:7], 3, v0
	;; [unrolled: 2-line block ×9, first 2 shown]
	s_waitcnt vmcnt(0)
	v_cndmask_b32_e64 v14, v14, v12, s[20:21]
	v_div_scale_f32 v15, s[26:27], v14, v14, 1.0
	v_rcp_f32_e32 v16, v15
	v_fma_f32 v17, -v15, v16, 1.0
	v_fmac_f32_e32 v16, v17, v16
	v_div_scale_f32 v17, vcc, 1.0, v14, 1.0
	v_mul_f32_e32 v18, v17, v16
	v_fma_f32 v19, -v15, v18, v17
	v_fmac_f32_e32 v18, v19, v16
	v_fma_f32 v15, -v15, v18, v17
	v_div_fmas_f32 v15, v15, v16, v18
	v_div_fixup_f32 v14, v15, v14, 1.0
	v_cndmask_b32_e64 v12, v12, v14, s[20:21]
	v_cndmask_b32_e64 v11, v11, v14, s[18:19]
	;; [unrolled: 1-line block ×11, first 2 shown]
	v_xor_b32_e32 v14, 0x80000000, v14
.LBB74_3:
	s_cmpk_eq_i32 s24, 0x79
	v_add_u32_e32 v25, 48, v13
	ds_write_b32 v13, v14
	s_cbranch_scc1 .LBB74_7
; %bb.4:
	s_waitcnt vmcnt(0)
	v_mov_b32_e32 v24, v12
	v_cmp_eq_u32_e64 s[2:3], 10, v0
	v_mov_b32_e32 v23, v11
	v_mov_b32_e32 v22, v10
	;; [unrolled: 1-line block ×10, first 2 shown]
	ds_write_b32 v25, v11
	s_waitcnt lgkmcnt(0)
	; wave barrier
	s_waitcnt lgkmcnt(0)
	s_and_saveexec_b64 s[0:1], s[2:3]
	s_cbranch_execz .LBB74_11
; %bb.5:
	s_and_b64 vcc, exec, s[22:23]
	s_cbranch_vccz .LBB74_8
; %bb.6:
	v_cmp_eq_u32_e32 vcc, 1, v0
	v_cndmask_b32_e32 v13, v2, v3, vcc
	v_cmp_eq_u32_e32 vcc, 2, v0
	v_cndmask_b32_e32 v13, v13, v4, vcc
	v_cmp_eq_u32_e32 vcc, 3, v0
	v_cndmask_b32_e32 v13, v13, v5, vcc
	v_cmp_eq_u32_e32 vcc, 4, v0
	v_cndmask_b32_e32 v13, v13, v6, vcc
	v_cmp_eq_u32_e32 vcc, 5, v0
	v_cndmask_b32_e32 v13, v13, v7, vcc
	v_cmp_eq_u32_e32 vcc, 6, v0
	v_cndmask_b32_e32 v13, v13, v8, vcc
	v_cmp_eq_u32_e32 vcc, 7, v0
	ds_read_b32 v14, v25
	v_cndmask_b32_e32 v13, v13, v9, vcc
	v_cmp_eq_u32_e32 vcc, 8, v0
	v_cndmask_b32_e32 v13, v13, v10, vcc
	v_cmp_eq_u32_e32 vcc, 9, v0
	;; [unrolled: 2-line block ×3, first 2 shown]
	v_cndmask_b32_e32 v13, v13, v12, vcc
	s_waitcnt lgkmcnt(0)
	v_mul_f32_e32 v13, v13, v14
	s_cbranch_execz .LBB74_9
	s_branch .LBB74_10
.LBB74_7:
                                        ; implicit-def: $vgpr14_vgpr15_vgpr16_vgpr17_vgpr18_vgpr19_vgpr20_vgpr21_vgpr22_vgpr23_vgpr24
	s_cbranch_execnz .LBB74_146
	s_branch .LBB74_251
.LBB74_8:
                                        ; implicit-def: $vgpr13
.LBB74_9:
	ds_read_b32 v13, v25
.LBB74_10:
	v_mov_b32_e32 v14, 0
	ds_read_b32 v14, v14 offset:36
	s_waitcnt lgkmcnt(0)
	v_mul_f32_e32 v13, v13, v14
	v_mov_b32_e32 v24, v12
	v_mov_b32_e32 v23, v11
	;; [unrolled: 1-line block ×12, first 2 shown]
.LBB74_11:
	s_or_b64 exec, exec, s[0:1]
	v_cmp_lt_u32_e64 s[0:1], 8, v0
	ds_write_b32 v25, v22
	s_waitcnt lgkmcnt(0)
	; wave barrier
	s_waitcnt lgkmcnt(0)
	s_and_saveexec_b64 s[4:5], s[0:1]
	s_cbranch_execz .LBB74_17
; %bb.12:
	s_andn2_b64 vcc, exec, s[22:23]
	s_cbranch_vccnz .LBB74_14
; %bb.13:
	v_cmp_eq_u32_e32 vcc, 1, v0
	v_cndmask_b32_e32 v13, v14, v15, vcc
	v_cmp_eq_u32_e32 vcc, 2, v0
	v_cndmask_b32_e32 v13, v13, v16, vcc
	;; [unrolled: 2-line block ×8, first 2 shown]
	ds_read_b32 v22, v25
	v_cmp_eq_u32_e32 vcc, 9, v0
	v_cndmask_b32_e32 v13, v13, v23, vcc
	v_cmp_eq_u32_e32 vcc, 10, v0
	v_cndmask_b32_e32 v13, v13, v24, vcc
	s_waitcnt lgkmcnt(0)
	v_mul_f32_e32 v13, v13, v22
	s_cbranch_execz .LBB74_15
	s_branch .LBB74_16
.LBB74_14:
                                        ; implicit-def: $vgpr13
.LBB74_15:
	ds_read_b32 v13, v25
.LBB74_16:
	v_mov_b32_e32 v22, 0
	ds_read2_b32 v[48:49], v22 offset0:8 offset1:21
	s_waitcnt lgkmcnt(0)
	v_fma_f32 v22, v23, v49, v13
	v_cndmask_b32_e64 v13, v13, v22, s[2:3]
	v_mul_f32_e32 v22, v13, v48
.LBB74_17:
	s_or_b64 exec, exec, s[4:5]
	v_cmp_lt_u32_e64 s[2:3], 7, v0
	ds_write_b32 v25, v21
	s_waitcnt lgkmcnt(0)
	; wave barrier
	s_waitcnt lgkmcnt(0)
	s_and_saveexec_b64 s[4:5], s[2:3]
	s_cbranch_execz .LBB74_33
; %bb.18:
	s_andn2_b64 vcc, exec, s[22:23]
	s_cbranch_vccnz .LBB74_20
; %bb.19:
	v_cmp_eq_u32_e32 vcc, 1, v0
	v_cndmask_b32_e32 v13, v14, v15, vcc
	v_cmp_eq_u32_e32 vcc, 2, v0
	v_cndmask_b32_e32 v13, v13, v16, vcc
	;; [unrolled: 2-line block ×6, first 2 shown]
	v_cmp_eq_u32_e32 vcc, 7, v0
	ds_read_b32 v48, v25
	v_cndmask_b32_e32 v13, v13, v21, vcc
	v_cmp_eq_u32_e32 vcc, 8, v0
	v_cndmask_b32_e32 v13, v13, v22, vcc
	v_cmp_eq_u32_e32 vcc, 9, v0
	;; [unrolled: 2-line block ×3, first 2 shown]
	v_cndmask_b32_e32 v13, v13, v24, vcc
	s_waitcnt lgkmcnt(0)
	v_mul_f32_e32 v49, v13, v48
	s_cbranch_execz .LBB74_21
	s_branch .LBB74_22
.LBB74_20:
                                        ; implicit-def: $vgpr49
.LBB74_21:
	ds_read_b32 v49, v25
.LBB74_22:
	s_and_saveexec_b64 s[6:7], s[0:1]
	s_cbranch_execz .LBB74_32
; %bb.23:
	v_add_u32_e32 v13, -9, v0
	v_cmp_lt_u32_e32 vcc, 6, v13
	v_mov_b32_e32 v48, 8
	s_and_saveexec_b64 s[0:1], vcc
	s_cbranch_execz .LBB74_27
; %bb.24:
	v_and_b32_e32 v13, 8, v0
	v_sub_u32_e32 v50, 0, v13
	s_mov_b64 s[8:9], 15
	s_movk_i32 s12, 0x50
	s_mov_b64 s[10:11], 0
.LBB74_25:                              ; =>This Inner Loop Header: Depth=1
	s_add_i32 s13, s8, -7
	v_mov_b32_e32 v13, s12
	s_add_i32 s14, s8, -6
	s_set_gpr_idx_on s13, gpr_idx(SRC0)
	v_mov_b32_e32 v48, v14
	s_set_gpr_idx_off
	s_add_i32 s15, s8, -5
	ds_read_b128 v[52:55], v13
	ds_read_b128 v[56:59], v13 offset:16
	s_set_gpr_idx_on s14, gpr_idx(SRC0)
	v_mov_b32_e32 v13, v14
	s_set_gpr_idx_off
	s_add_i32 s16, s8, -4
	s_set_gpr_idx_on s15, gpr_idx(SRC0)
	v_mov_b32_e32 v51, v14
	s_set_gpr_idx_off
	s_add_i32 s17, s8, -3
	;; [unrolled: 4-line block ×4, first 2 shown]
	s_waitcnt lgkmcnt(1)
	v_fmac_f32_e32 v49, v48, v52
	s_set_gpr_idx_on s18, gpr_idx(SRC0)
	v_mov_b32_e32 v52, v14
	s_set_gpr_idx_off
	v_fmac_f32_e32 v49, v13, v53
	s_set_gpr_idx_on s19, gpr_idx(SRC0)
	v_mov_b32_e32 v13, v14
	s_set_gpr_idx_off
	;; [unrolled: 4-line block ×3, first 2 shown]
	v_fmac_f32_e32 v49, v60, v55
	s_add_u32 s8, s8, 8
	s_waitcnt lgkmcnt(0)
	v_fmac_f32_e32 v49, v61, v56
	v_add_u32_e32 v48, s8, v50
	v_fmac_f32_e32 v49, v52, v57
	s_addc_u32 s9, s9, 0
	s_add_i32 s12, s12, 32
	s_add_i32 s13, s8, -7
	v_cmp_eq_u32_e32 vcc, 7, v48
	v_fmac_f32_e32 v49, v13, v58
	v_mov_b32_e32 v48, s13
	s_or_b64 s[10:11], vcc, s[10:11]
	v_fmac_f32_e32 v49, v51, v59
	s_andn2_b64 exec, exec, s[10:11]
	s_cbranch_execnz .LBB74_25
; %bb.26:
	s_or_b64 exec, exec, s[10:11]
.LBB74_27:
	s_or_b64 exec, exec, s[0:1]
	v_and_b32_e32 v50, 7, v0
	v_cmp_ne_u32_e32 vcc, 0, v50
	s_and_saveexec_b64 s[8:9], vcc
	s_cbranch_execz .LBB74_31
; %bb.28:
	v_lshl_add_u32 v51, v48, 2, 48
	v_mov_b32_e32 v13, 0
	s_mov_b64 s[10:11], 0
.LBB74_29:                              ; =>This Inner Loop Header: Depth=1
	v_cmp_eq_u32_e32 vcc, 1, v48
	v_cndmask_b32_e32 v52, v14, v15, vcc
	v_add_u32_e32 v50, -1, v50
	v_cmp_eq_u32_e32 vcc, 2, v48
	v_cndmask_b32_e32 v52, v52, v16, vcc
	v_cmp_eq_u32_e32 vcc, 0, v50
	v_cmp_eq_u32_e64 s[0:1], 3, v48
	v_cndmask_b32_e64 v52, v52, v17, s[0:1]
	s_or_b64 s[10:11], vcc, s[10:11]
	v_cmp_eq_u32_e32 vcc, 4, v48
	v_cndmask_b32_e32 v52, v52, v18, vcc
	v_cmp_eq_u32_e32 vcc, 5, v48
	v_cndmask_b32_e32 v52, v52, v19, vcc
	v_cmp_eq_u32_e32 vcc, 6, v48
	ds_read_b32 v53, v51
	v_cndmask_b32_e32 v52, v52, v20, vcc
	v_cmp_eq_u32_e32 vcc, 7, v48
	v_cndmask_b32_e32 v52, v52, v21, vcc
	v_cmp_eq_u32_e32 vcc, 8, v48
	;; [unrolled: 2-line block ×4, first 2 shown]
	v_add_co_u32_e64 v48, s[0:1], 1, v48
	v_cndmask_b32_e32 v52, v52, v24, vcc
	v_add_u32_e32 v51, 4, v51
	v_addc_co_u32_e64 v13, s[0:1], 0, v13, s[0:1]
	s_waitcnt lgkmcnt(0)
	v_fmac_f32_e32 v49, v52, v53
	s_andn2_b64 exec, exec, s[10:11]
	s_cbranch_execnz .LBB74_29
; %bb.30:
	s_or_b64 exec, exec, s[10:11]
.LBB74_31:
	s_or_b64 exec, exec, s[8:9]
.LBB74_32:
	s_or_b64 exec, exec, s[6:7]
	v_mov_b32_e32 v13, 0
	ds_read_b32 v13, v13 offset:28
	s_waitcnt lgkmcnt(0)
	v_mul_f32_e32 v21, v49, v13
.LBB74_33:
	s_or_b64 exec, exec, s[4:5]
	v_cmp_lt_u32_e64 s[0:1], 6, v0
	ds_write_b32 v25, v20
	s_waitcnt lgkmcnt(0)
	; wave barrier
	s_waitcnt lgkmcnt(0)
	s_and_saveexec_b64 s[4:5], s[0:1]
	s_cbranch_execz .LBB74_49
; %bb.34:
	s_andn2_b64 vcc, exec, s[22:23]
	s_cbranch_vccnz .LBB74_36
; %bb.35:
	v_cmp_eq_u32_e32 vcc, 1, v0
	v_cndmask_b32_e32 v13, v14, v15, vcc
	v_cmp_eq_u32_e32 vcc, 2, v0
	v_cndmask_b32_e32 v13, v13, v16, vcc
	v_cmp_eq_u32_e32 vcc, 3, v0
	v_cndmask_b32_e32 v13, v13, v17, vcc
	v_cmp_eq_u32_e32 vcc, 4, v0
	v_cndmask_b32_e32 v13, v13, v18, vcc
	v_cmp_eq_u32_e32 vcc, 5, v0
	v_cndmask_b32_e32 v13, v13, v19, vcc
	v_cmp_eq_u32_e32 vcc, 6, v0
	v_cndmask_b32_e32 v13, v13, v20, vcc
	v_cmp_eq_u32_e32 vcc, 7, v0
	ds_read_b32 v48, v25
	v_cndmask_b32_e32 v13, v13, v21, vcc
	v_cmp_eq_u32_e32 vcc, 8, v0
	v_cndmask_b32_e32 v13, v13, v22, vcc
	v_cmp_eq_u32_e32 vcc, 9, v0
	;; [unrolled: 2-line block ×3, first 2 shown]
	v_cndmask_b32_e32 v13, v13, v24, vcc
	s_waitcnt lgkmcnt(0)
	v_mul_f32_e32 v49, v13, v48
	s_cbranch_execz .LBB74_37
	s_branch .LBB74_38
.LBB74_36:
                                        ; implicit-def: $vgpr49
.LBB74_37:
	ds_read_b32 v49, v25
.LBB74_38:
	s_and_saveexec_b64 s[6:7], s[2:3]
	s_cbranch_execz .LBB74_48
; %bb.39:
	v_add_u32_e32 v48, -8, v0
	v_add_u32_e32 v13, -7, v0
	v_cmp_lt_u32_e32 vcc, 6, v48
	v_mov_b32_e32 v48, 7
	s_and_saveexec_b64 s[2:3], vcc
	s_cbranch_execz .LBB74_43
; %bb.40:
	v_and_b32_e32 v48, -8, v13
	v_sub_u32_e32 v50, 0, v48
	s_mov_b64 s[8:9], 14
	s_movk_i32 s12, 0x4c
	s_mov_b64 s[10:11], 0
.LBB74_41:                              ; =>This Inner Loop Header: Depth=1
	s_add_i32 s13, s8, -7
	v_mov_b32_e32 v48, s12
	s_add_i32 s14, s8, -6
	s_set_gpr_idx_on s13, gpr_idx(SRC0)
	v_mov_b32_e32 v51, v14
	s_set_gpr_idx_off
	ds_read2_b32 v[52:53], v48 offset1:1
	s_add_i32 s15, s8, -5
	s_set_gpr_idx_on s14, gpr_idx(SRC0)
	v_mov_b32_e32 v58, v14
	s_set_gpr_idx_off
	s_add_i32 s16, s8, -4
	s_set_gpr_idx_on s15, gpr_idx(SRC0)
	v_mov_b32_e32 v59, v14
	s_set_gpr_idx_off
	ds_read2_b32 v[54:55], v48 offset0:2 offset1:3
	s_add_i32 s17, s8, -3
	s_set_gpr_idx_on s16, gpr_idx(SRC0)
	v_mov_b32_e32 v60, v14
	s_set_gpr_idx_off
	s_add_i32 s18, s8, -2
	s_set_gpr_idx_on s17, gpr_idx(SRC0)
	v_mov_b32_e32 v61, v14
	s_set_gpr_idx_off
	ds_read2_b32 v[56:57], v48 offset0:4 offset1:5
	s_add_i32 s19, s8, -1
	s_waitcnt lgkmcnt(2)
	v_fmac_f32_e32 v49, v51, v52
	s_set_gpr_idx_on s18, gpr_idx(SRC0)
	v_mov_b32_e32 v51, v14
	s_set_gpr_idx_off
	v_fmac_f32_e32 v49, v58, v53
	s_set_gpr_idx_on s19, gpr_idx(SRC0)
	v_mov_b32_e32 v58, v14
	s_set_gpr_idx_off
	ds_read2_b32 v[52:53], v48 offset0:6 offset1:7
	s_waitcnt lgkmcnt(2)
	v_fmac_f32_e32 v49, v59, v54
	s_set_gpr_idx_on s8, gpr_idx(SRC0)
	v_mov_b32_e32 v54, v14
	s_set_gpr_idx_off
	v_fmac_f32_e32 v49, v60, v55
	s_add_u32 s8, s8, 8
	s_waitcnt lgkmcnt(1)
	v_fmac_f32_e32 v49, v61, v56
	v_add_u32_e32 v48, s8, v50
	v_fmac_f32_e32 v49, v51, v57
	s_addc_u32 s9, s9, 0
	s_add_i32 s12, s12, 32
	s_add_i32 s13, s8, -7
	v_cmp_eq_u32_e32 vcc, 14, v48
	s_waitcnt lgkmcnt(0)
	v_fmac_f32_e32 v49, v58, v52
	v_mov_b32_e32 v48, s13
	s_or_b64 s[10:11], vcc, s[10:11]
	v_fmac_f32_e32 v49, v54, v53
	s_andn2_b64 exec, exec, s[10:11]
	s_cbranch_execnz .LBB74_41
; %bb.42:
	s_or_b64 exec, exec, s[10:11]
.LBB74_43:
	s_or_b64 exec, exec, s[2:3]
	v_and_b32_e32 v50, 7, v13
	v_cmp_ne_u32_e32 vcc, 0, v50
	s_and_saveexec_b64 s[8:9], vcc
	s_cbranch_execz .LBB74_47
; %bb.44:
	v_lshl_add_u32 v51, v48, 2, 48
	v_mov_b32_e32 v13, 0
	s_mov_b64 s[10:11], 0
.LBB74_45:                              ; =>This Inner Loop Header: Depth=1
	v_cmp_eq_u32_e32 vcc, 1, v48
	v_cndmask_b32_e32 v52, v14, v15, vcc
	v_add_u32_e32 v50, -1, v50
	v_cmp_eq_u32_e32 vcc, 2, v48
	v_cndmask_b32_e32 v52, v52, v16, vcc
	v_cmp_eq_u32_e32 vcc, 0, v50
	v_cmp_eq_u32_e64 s[2:3], 3, v48
	v_cndmask_b32_e64 v52, v52, v17, s[2:3]
	s_or_b64 s[10:11], vcc, s[10:11]
	v_cmp_eq_u32_e32 vcc, 4, v48
	v_cndmask_b32_e32 v52, v52, v18, vcc
	v_cmp_eq_u32_e32 vcc, 5, v48
	v_cndmask_b32_e32 v52, v52, v19, vcc
	v_cmp_eq_u32_e32 vcc, 6, v48
	ds_read_b32 v53, v51
	v_cndmask_b32_e32 v52, v52, v20, vcc
	v_cmp_eq_u32_e32 vcc, 7, v48
	v_cndmask_b32_e32 v52, v52, v21, vcc
	v_cmp_eq_u32_e32 vcc, 8, v48
	;; [unrolled: 2-line block ×4, first 2 shown]
	v_add_co_u32_e64 v48, s[2:3], 1, v48
	v_cndmask_b32_e32 v52, v52, v24, vcc
	v_add_u32_e32 v51, 4, v51
	v_addc_co_u32_e64 v13, s[2:3], 0, v13, s[2:3]
	s_waitcnt lgkmcnt(0)
	v_fmac_f32_e32 v49, v52, v53
	s_andn2_b64 exec, exec, s[10:11]
	s_cbranch_execnz .LBB74_45
; %bb.46:
	s_or_b64 exec, exec, s[10:11]
.LBB74_47:
	s_or_b64 exec, exec, s[8:9]
.LBB74_48:
	s_or_b64 exec, exec, s[6:7]
	v_mov_b32_e32 v13, 0
	ds_read_b32 v13, v13 offset:24
	s_waitcnt lgkmcnt(0)
	v_mul_f32_e32 v20, v49, v13
.LBB74_49:
	s_or_b64 exec, exec, s[4:5]
	v_cmp_lt_u32_e64 s[2:3], 5, v0
	ds_write_b32 v25, v19
	s_waitcnt lgkmcnt(0)
	; wave barrier
	s_waitcnt lgkmcnt(0)
	s_and_saveexec_b64 s[4:5], s[2:3]
	s_cbranch_execz .LBB74_65
; %bb.50:
	s_andn2_b64 vcc, exec, s[22:23]
	s_cbranch_vccnz .LBB74_52
; %bb.51:
	v_cmp_eq_u32_e32 vcc, 1, v0
	v_cndmask_b32_e32 v13, v14, v15, vcc
	v_cmp_eq_u32_e32 vcc, 2, v0
	v_cndmask_b32_e32 v13, v13, v16, vcc
	;; [unrolled: 2-line block ×6, first 2 shown]
	v_cmp_eq_u32_e32 vcc, 7, v0
	ds_read_b32 v48, v25
	v_cndmask_b32_e32 v13, v13, v21, vcc
	v_cmp_eq_u32_e32 vcc, 8, v0
	v_cndmask_b32_e32 v13, v13, v22, vcc
	v_cmp_eq_u32_e32 vcc, 9, v0
	;; [unrolled: 2-line block ×3, first 2 shown]
	v_cndmask_b32_e32 v13, v13, v24, vcc
	s_waitcnt lgkmcnt(0)
	v_mul_f32_e32 v49, v13, v48
	s_cbranch_execz .LBB74_53
	s_branch .LBB74_54
.LBB74_52:
                                        ; implicit-def: $vgpr49
.LBB74_53:
	ds_read_b32 v49, v25
.LBB74_54:
	s_and_saveexec_b64 s[6:7], s[0:1]
	s_cbranch_execz .LBB74_64
; %bb.55:
	v_add_u32_e32 v48, -7, v0
	v_add_u32_e32 v13, -6, v0
	v_cmp_lt_u32_e32 vcc, 6, v48
	v_mov_b32_e32 v48, 6
	s_and_saveexec_b64 s[0:1], vcc
	s_cbranch_execz .LBB74_59
; %bb.56:
	v_and_b32_e32 v48, -8, v13
	v_sub_u32_e32 v50, 0, v48
	s_mov_b64 s[8:9], 13
	s_movk_i32 s12, 0x48
	s_mov_b64 s[10:11], 0
.LBB74_57:                              ; =>This Inner Loop Header: Depth=1
	s_add_i32 s13, s8, -7
	v_mov_b32_e32 v48, s12
	s_add_i32 s14, s8, -6
	s_set_gpr_idx_on s13, gpr_idx(SRC0)
	v_mov_b32_e32 v51, v14
	s_set_gpr_idx_off
	ds_read2_b64 v[52:55], v48 offset1:1
	s_add_i32 s15, s8, -5
	s_set_gpr_idx_on s14, gpr_idx(SRC0)
	v_mov_b32_e32 v60, v14
	s_set_gpr_idx_off
	s_add_i32 s16, s8, -4
	s_set_gpr_idx_on s15, gpr_idx(SRC0)
	v_mov_b32_e32 v61, v14
	s_set_gpr_idx_off
	;; [unrolled: 4-line block ×4, first 2 shown]
	ds_read2_b64 v[56:59], v48 offset0:2 offset1:3
	s_add_i32 s19, s8, -1
	s_waitcnt lgkmcnt(1)
	v_fmac_f32_e32 v49, v51, v52
	s_set_gpr_idx_on s18, gpr_idx(SRC0)
	v_mov_b32_e32 v51, v14
	s_set_gpr_idx_off
	v_fmac_f32_e32 v49, v60, v53
	s_set_gpr_idx_on s19, gpr_idx(SRC0)
	v_mov_b32_e32 v52, v14
	s_set_gpr_idx_off
	;; [unrolled: 4-line block ×3, first 2 shown]
	v_fmac_f32_e32 v49, v62, v55
	s_add_u32 s8, s8, 8
	s_waitcnt lgkmcnt(0)
	v_fmac_f32_e32 v49, v63, v56
	v_add_u32_e32 v48, s8, v50
	v_fmac_f32_e32 v49, v51, v57
	s_addc_u32 s9, s9, 0
	s_add_i32 s12, s12, 32
	s_add_i32 s13, s8, -7
	v_cmp_eq_u32_e32 vcc, 13, v48
	v_fmac_f32_e32 v49, v52, v58
	v_mov_b32_e32 v48, s13
	s_or_b64 s[10:11], vcc, s[10:11]
	v_fmac_f32_e32 v49, v53, v59
	s_andn2_b64 exec, exec, s[10:11]
	s_cbranch_execnz .LBB74_57
; %bb.58:
	s_or_b64 exec, exec, s[10:11]
.LBB74_59:
	s_or_b64 exec, exec, s[0:1]
	v_and_b32_e32 v50, 7, v13
	v_cmp_ne_u32_e32 vcc, 0, v50
	s_and_saveexec_b64 s[8:9], vcc
	s_cbranch_execz .LBB74_63
; %bb.60:
	v_lshl_add_u32 v51, v48, 2, 48
	v_mov_b32_e32 v13, 0
	s_mov_b64 s[10:11], 0
.LBB74_61:                              ; =>This Inner Loop Header: Depth=1
	v_cmp_eq_u32_e32 vcc, 1, v48
	v_cndmask_b32_e32 v52, v14, v15, vcc
	v_add_u32_e32 v50, -1, v50
	v_cmp_eq_u32_e32 vcc, 2, v48
	v_cndmask_b32_e32 v52, v52, v16, vcc
	v_cmp_eq_u32_e32 vcc, 0, v50
	v_cmp_eq_u32_e64 s[0:1], 3, v48
	v_cndmask_b32_e64 v52, v52, v17, s[0:1]
	s_or_b64 s[10:11], vcc, s[10:11]
	v_cmp_eq_u32_e32 vcc, 4, v48
	v_cndmask_b32_e32 v52, v52, v18, vcc
	v_cmp_eq_u32_e32 vcc, 5, v48
	v_cndmask_b32_e32 v52, v52, v19, vcc
	v_cmp_eq_u32_e32 vcc, 6, v48
	ds_read_b32 v53, v51
	v_cndmask_b32_e32 v52, v52, v20, vcc
	v_cmp_eq_u32_e32 vcc, 7, v48
	v_cndmask_b32_e32 v52, v52, v21, vcc
	v_cmp_eq_u32_e32 vcc, 8, v48
	;; [unrolled: 2-line block ×4, first 2 shown]
	v_add_co_u32_e64 v48, s[0:1], 1, v48
	v_cndmask_b32_e32 v52, v52, v24, vcc
	v_add_u32_e32 v51, 4, v51
	v_addc_co_u32_e64 v13, s[0:1], 0, v13, s[0:1]
	s_waitcnt lgkmcnt(0)
	v_fmac_f32_e32 v49, v52, v53
	s_andn2_b64 exec, exec, s[10:11]
	s_cbranch_execnz .LBB74_61
; %bb.62:
	s_or_b64 exec, exec, s[10:11]
.LBB74_63:
	s_or_b64 exec, exec, s[8:9]
.LBB74_64:
	s_or_b64 exec, exec, s[6:7]
	v_mov_b32_e32 v13, 0
	ds_read_b32 v13, v13 offset:20
	s_waitcnt lgkmcnt(0)
	v_mul_f32_e32 v19, v49, v13
.LBB74_65:
	s_or_b64 exec, exec, s[4:5]
	v_cmp_lt_u32_e64 s[0:1], 4, v0
	ds_write_b32 v25, v18
	s_waitcnt lgkmcnt(0)
	; wave barrier
	s_waitcnt lgkmcnt(0)
	s_and_saveexec_b64 s[4:5], s[0:1]
	s_cbranch_execz .LBB74_81
; %bb.66:
	s_andn2_b64 vcc, exec, s[22:23]
	s_cbranch_vccnz .LBB74_68
; %bb.67:
	v_cmp_eq_u32_e32 vcc, 1, v0
	v_cndmask_b32_e32 v13, v14, v15, vcc
	v_cmp_eq_u32_e32 vcc, 2, v0
	v_cndmask_b32_e32 v13, v13, v16, vcc
	;; [unrolled: 2-line block ×6, first 2 shown]
	v_cmp_eq_u32_e32 vcc, 7, v0
	ds_read_b32 v48, v25
	v_cndmask_b32_e32 v13, v13, v21, vcc
	v_cmp_eq_u32_e32 vcc, 8, v0
	v_cndmask_b32_e32 v13, v13, v22, vcc
	v_cmp_eq_u32_e32 vcc, 9, v0
	;; [unrolled: 2-line block ×3, first 2 shown]
	v_cndmask_b32_e32 v13, v13, v24, vcc
	s_waitcnt lgkmcnt(0)
	v_mul_f32_e32 v49, v13, v48
	s_cbranch_execz .LBB74_69
	s_branch .LBB74_70
.LBB74_68:
                                        ; implicit-def: $vgpr49
.LBB74_69:
	ds_read_b32 v49, v25
.LBB74_70:
	s_and_saveexec_b64 s[6:7], s[2:3]
	s_cbranch_execz .LBB74_80
; %bb.71:
	v_add_u32_e32 v48, -6, v0
	v_add_u32_e32 v13, -5, v0
	v_cmp_lt_u32_e32 vcc, 6, v48
	v_mov_b32_e32 v48, 5
	s_and_saveexec_b64 s[2:3], vcc
	s_cbranch_execz .LBB74_75
; %bb.72:
	v_and_b32_e32 v48, -8, v13
	v_sub_u32_e32 v50, 0, v48
	s_mov_b64 s[8:9], 12
	s_movk_i32 s12, 0x44
	s_mov_b64 s[10:11], 0
.LBB74_73:                              ; =>This Inner Loop Header: Depth=1
	s_add_i32 s13, s8, -7
	v_mov_b32_e32 v48, s12
	s_add_i32 s14, s8, -6
	s_set_gpr_idx_on s13, gpr_idx(SRC0)
	v_mov_b32_e32 v51, v14
	s_set_gpr_idx_off
	ds_read2_b32 v[52:53], v48 offset1:1
	s_add_i32 s15, s8, -5
	s_set_gpr_idx_on s14, gpr_idx(SRC0)
	v_mov_b32_e32 v58, v14
	s_set_gpr_idx_off
	s_add_i32 s16, s8, -4
	s_set_gpr_idx_on s15, gpr_idx(SRC0)
	v_mov_b32_e32 v59, v14
	s_set_gpr_idx_off
	ds_read2_b32 v[54:55], v48 offset0:2 offset1:3
	s_add_i32 s17, s8, -3
	s_set_gpr_idx_on s16, gpr_idx(SRC0)
	v_mov_b32_e32 v60, v14
	s_set_gpr_idx_off
	s_add_i32 s18, s8, -2
	s_set_gpr_idx_on s17, gpr_idx(SRC0)
	v_mov_b32_e32 v61, v14
	s_set_gpr_idx_off
	ds_read2_b32 v[56:57], v48 offset0:4 offset1:5
	s_add_i32 s19, s8, -1
	s_waitcnt lgkmcnt(2)
	v_fmac_f32_e32 v49, v51, v52
	s_set_gpr_idx_on s18, gpr_idx(SRC0)
	v_mov_b32_e32 v51, v14
	s_set_gpr_idx_off
	v_fmac_f32_e32 v49, v58, v53
	s_set_gpr_idx_on s19, gpr_idx(SRC0)
	v_mov_b32_e32 v58, v14
	s_set_gpr_idx_off
	ds_read2_b32 v[52:53], v48 offset0:6 offset1:7
	s_waitcnt lgkmcnt(2)
	v_fmac_f32_e32 v49, v59, v54
	s_set_gpr_idx_on s8, gpr_idx(SRC0)
	v_mov_b32_e32 v54, v14
	s_set_gpr_idx_off
	v_fmac_f32_e32 v49, v60, v55
	s_add_u32 s8, s8, 8
	s_waitcnt lgkmcnt(1)
	v_fmac_f32_e32 v49, v61, v56
	v_add_u32_e32 v48, s8, v50
	v_fmac_f32_e32 v49, v51, v57
	s_addc_u32 s9, s9, 0
	s_add_i32 s12, s12, 32
	s_add_i32 s13, s8, -7
	v_cmp_eq_u32_e32 vcc, 12, v48
	s_waitcnt lgkmcnt(0)
	v_fmac_f32_e32 v49, v58, v52
	v_mov_b32_e32 v48, s13
	s_or_b64 s[10:11], vcc, s[10:11]
	v_fmac_f32_e32 v49, v54, v53
	s_andn2_b64 exec, exec, s[10:11]
	s_cbranch_execnz .LBB74_73
; %bb.74:
	s_or_b64 exec, exec, s[10:11]
.LBB74_75:
	s_or_b64 exec, exec, s[2:3]
	v_and_b32_e32 v50, 7, v13
	v_cmp_ne_u32_e32 vcc, 0, v50
	s_and_saveexec_b64 s[8:9], vcc
	s_cbranch_execz .LBB74_79
; %bb.76:
	v_lshl_add_u32 v51, v48, 2, 48
	v_mov_b32_e32 v13, 0
	s_mov_b64 s[10:11], 0
.LBB74_77:                              ; =>This Inner Loop Header: Depth=1
	v_cmp_eq_u32_e32 vcc, 1, v48
	v_cndmask_b32_e32 v52, v14, v15, vcc
	v_add_u32_e32 v50, -1, v50
	v_cmp_eq_u32_e32 vcc, 2, v48
	v_cndmask_b32_e32 v52, v52, v16, vcc
	v_cmp_eq_u32_e32 vcc, 0, v50
	v_cmp_eq_u32_e64 s[2:3], 3, v48
	v_cndmask_b32_e64 v52, v52, v17, s[2:3]
	s_or_b64 s[10:11], vcc, s[10:11]
	v_cmp_eq_u32_e32 vcc, 4, v48
	v_cndmask_b32_e32 v52, v52, v18, vcc
	v_cmp_eq_u32_e32 vcc, 5, v48
	v_cndmask_b32_e32 v52, v52, v19, vcc
	v_cmp_eq_u32_e32 vcc, 6, v48
	ds_read_b32 v53, v51
	v_cndmask_b32_e32 v52, v52, v20, vcc
	v_cmp_eq_u32_e32 vcc, 7, v48
	v_cndmask_b32_e32 v52, v52, v21, vcc
	v_cmp_eq_u32_e32 vcc, 8, v48
	;; [unrolled: 2-line block ×4, first 2 shown]
	v_add_co_u32_e64 v48, s[2:3], 1, v48
	v_cndmask_b32_e32 v52, v52, v24, vcc
	v_add_u32_e32 v51, 4, v51
	v_addc_co_u32_e64 v13, s[2:3], 0, v13, s[2:3]
	s_waitcnt lgkmcnt(0)
	v_fmac_f32_e32 v49, v52, v53
	s_andn2_b64 exec, exec, s[10:11]
	s_cbranch_execnz .LBB74_77
; %bb.78:
	s_or_b64 exec, exec, s[10:11]
.LBB74_79:
	s_or_b64 exec, exec, s[8:9]
.LBB74_80:
	s_or_b64 exec, exec, s[6:7]
	v_mov_b32_e32 v13, 0
	ds_read_b32 v13, v13 offset:16
	s_waitcnt lgkmcnt(0)
	v_mul_f32_e32 v18, v49, v13
.LBB74_81:
	s_or_b64 exec, exec, s[4:5]
	v_cmp_lt_u32_e64 s[2:3], 3, v0
	ds_write_b32 v25, v17
	s_waitcnt lgkmcnt(0)
	; wave barrier
	s_waitcnt lgkmcnt(0)
	s_and_saveexec_b64 s[4:5], s[2:3]
	s_cbranch_execz .LBB74_97
; %bb.82:
	s_andn2_b64 vcc, exec, s[22:23]
	s_cbranch_vccnz .LBB74_84
; %bb.83:
	v_cmp_eq_u32_e32 vcc, 1, v0
	v_cndmask_b32_e32 v13, v14, v15, vcc
	v_cmp_eq_u32_e32 vcc, 2, v0
	v_cndmask_b32_e32 v13, v13, v16, vcc
	;; [unrolled: 2-line block ×6, first 2 shown]
	v_cmp_eq_u32_e32 vcc, 7, v0
	ds_read_b32 v48, v25
	v_cndmask_b32_e32 v13, v13, v21, vcc
	v_cmp_eq_u32_e32 vcc, 8, v0
	v_cndmask_b32_e32 v13, v13, v22, vcc
	v_cmp_eq_u32_e32 vcc, 9, v0
	;; [unrolled: 2-line block ×3, first 2 shown]
	v_cndmask_b32_e32 v13, v13, v24, vcc
	s_waitcnt lgkmcnt(0)
	v_mul_f32_e32 v49, v13, v48
	s_cbranch_execz .LBB74_85
	s_branch .LBB74_86
.LBB74_84:
                                        ; implicit-def: $vgpr49
.LBB74_85:
	ds_read_b32 v49, v25
.LBB74_86:
	s_and_saveexec_b64 s[6:7], s[0:1]
	s_cbranch_execz .LBB74_96
; %bb.87:
	v_add_u32_e32 v48, -5, v0
	v_add_u32_e32 v13, -4, v0
	v_cmp_lt_u32_e32 vcc, 6, v48
	v_mov_b32_e32 v48, 4
	s_and_saveexec_b64 s[0:1], vcc
	s_cbranch_execz .LBB74_91
; %bb.88:
	v_and_b32_e32 v48, -8, v13
	v_sub_u32_e32 v50, 0, v48
	s_mov_b64 s[8:9], 5
	s_mov_b32 s12, 64
	s_mov_b64 s[10:11], 0
.LBB74_89:                              ; =>This Inner Loop Header: Depth=1
	s_add_i32 s13, s8, -1
	v_mov_b32_e32 v48, s12
	s_set_gpr_idx_on s13, gpr_idx(SRC0)
	v_mov_b32_e32 v51, v14
	s_set_gpr_idx_off
	s_add_i32 s14, s8, 1
	ds_read_b128 v[52:55], v48
	ds_read_b128 v[56:59], v48 offset:16
	s_set_gpr_idx_on s8, gpr_idx(SRC0)
	v_mov_b32_e32 v60, v14
	s_set_gpr_idx_off
	s_add_i32 s15, s8, 2
	s_set_gpr_idx_on s14, gpr_idx(SRC0)
	v_mov_b32_e32 v61, v14
	s_set_gpr_idx_off
	s_add_i32 s16, s8, 3
	;; [unrolled: 4-line block ×4, first 2 shown]
	s_waitcnt lgkmcnt(1)
	v_fmac_f32_e32 v49, v51, v52
	s_set_gpr_idx_on s17, gpr_idx(SRC0)
	v_mov_b32_e32 v51, v14
	s_set_gpr_idx_off
	s_add_i32 s19, s8, 6
	v_fmac_f32_e32 v49, v60, v53
	s_set_gpr_idx_on s18, gpr_idx(SRC0)
	v_mov_b32_e32 v52, v14
	s_set_gpr_idx_off
	v_fmac_f32_e32 v49, v61, v54
	s_set_gpr_idx_on s19, gpr_idx(SRC0)
	v_mov_b32_e32 v53, v14
	s_set_gpr_idx_off
	v_fmac_f32_e32 v49, v62, v55
	s_add_u32 s8, s8, 8
	s_waitcnt lgkmcnt(0)
	v_fmac_f32_e32 v49, v63, v56
	v_add_u32_e32 v48, s8, v50
	v_fmac_f32_e32 v49, v51, v57
	s_addc_u32 s9, s9, 0
	s_add_i32 s12, s12, 32
	s_add_i32 s13, s8, -1
	v_cmp_eq_u32_e32 vcc, 5, v48
	v_fmac_f32_e32 v49, v52, v58
	v_mov_b32_e32 v48, s13
	s_or_b64 s[10:11], vcc, s[10:11]
	v_fmac_f32_e32 v49, v53, v59
	s_andn2_b64 exec, exec, s[10:11]
	s_cbranch_execnz .LBB74_89
; %bb.90:
	s_or_b64 exec, exec, s[10:11]
.LBB74_91:
	s_or_b64 exec, exec, s[0:1]
	v_and_b32_e32 v50, 7, v13
	v_cmp_ne_u32_e32 vcc, 0, v50
	s_and_saveexec_b64 s[8:9], vcc
	s_cbranch_execz .LBB74_95
; %bb.92:
	v_lshl_add_u32 v51, v48, 2, 48
	v_mov_b32_e32 v13, 0
	s_mov_b64 s[10:11], 0
.LBB74_93:                              ; =>This Inner Loop Header: Depth=1
	v_cmp_eq_u32_e32 vcc, 1, v48
	v_cndmask_b32_e32 v52, v14, v15, vcc
	v_add_u32_e32 v50, -1, v50
	v_cmp_eq_u32_e32 vcc, 2, v48
	v_cndmask_b32_e32 v52, v52, v16, vcc
	v_cmp_eq_u32_e32 vcc, 0, v50
	v_cmp_eq_u32_e64 s[0:1], 3, v48
	v_cndmask_b32_e64 v52, v52, v17, s[0:1]
	s_or_b64 s[10:11], vcc, s[10:11]
	v_cmp_eq_u32_e32 vcc, 4, v48
	v_cndmask_b32_e32 v52, v52, v18, vcc
	v_cmp_eq_u32_e32 vcc, 5, v48
	v_cndmask_b32_e32 v52, v52, v19, vcc
	v_cmp_eq_u32_e32 vcc, 6, v48
	ds_read_b32 v53, v51
	v_cndmask_b32_e32 v52, v52, v20, vcc
	v_cmp_eq_u32_e32 vcc, 7, v48
	v_cndmask_b32_e32 v52, v52, v21, vcc
	v_cmp_eq_u32_e32 vcc, 8, v48
	;; [unrolled: 2-line block ×4, first 2 shown]
	v_add_co_u32_e64 v48, s[0:1], 1, v48
	v_cndmask_b32_e32 v52, v52, v24, vcc
	v_add_u32_e32 v51, 4, v51
	v_addc_co_u32_e64 v13, s[0:1], 0, v13, s[0:1]
	s_waitcnt lgkmcnt(0)
	v_fmac_f32_e32 v49, v52, v53
	s_andn2_b64 exec, exec, s[10:11]
	s_cbranch_execnz .LBB74_93
; %bb.94:
	s_or_b64 exec, exec, s[10:11]
.LBB74_95:
	s_or_b64 exec, exec, s[8:9]
.LBB74_96:
	s_or_b64 exec, exec, s[6:7]
	v_mov_b32_e32 v13, 0
	ds_read_b32 v13, v13 offset:12
	s_waitcnt lgkmcnt(0)
	v_mul_f32_e32 v17, v49, v13
.LBB74_97:
	s_or_b64 exec, exec, s[4:5]
	v_cmp_lt_u32_e64 s[0:1], 2, v0
	ds_write_b32 v25, v16
	s_waitcnt lgkmcnt(0)
	; wave barrier
	s_waitcnt lgkmcnt(0)
	s_and_saveexec_b64 s[4:5], s[0:1]
	s_cbranch_execz .LBB74_113
; %bb.98:
	s_andn2_b64 vcc, exec, s[22:23]
	s_cbranch_vccnz .LBB74_100
; %bb.99:
	v_cmp_eq_u32_e32 vcc, 1, v0
	v_cndmask_b32_e32 v13, v14, v15, vcc
	v_cmp_eq_u32_e32 vcc, 2, v0
	v_cndmask_b32_e32 v13, v13, v16, vcc
	;; [unrolled: 2-line block ×6, first 2 shown]
	v_cmp_eq_u32_e32 vcc, 7, v0
	ds_read_b32 v48, v25
	v_cndmask_b32_e32 v13, v13, v21, vcc
	v_cmp_eq_u32_e32 vcc, 8, v0
	v_cndmask_b32_e32 v13, v13, v22, vcc
	v_cmp_eq_u32_e32 vcc, 9, v0
	;; [unrolled: 2-line block ×3, first 2 shown]
	v_cndmask_b32_e32 v13, v13, v24, vcc
	s_waitcnt lgkmcnt(0)
	v_mul_f32_e32 v49, v13, v48
	s_cbranch_execz .LBB74_101
	s_branch .LBB74_102
.LBB74_100:
                                        ; implicit-def: $vgpr49
.LBB74_101:
	ds_read_b32 v49, v25
.LBB74_102:
	s_and_saveexec_b64 s[6:7], s[2:3]
	s_cbranch_execz .LBB74_112
; %bb.103:
	v_add_u32_e32 v48, -4, v0
	v_add_u32_e32 v13, -3, v0
	v_cmp_lt_u32_e32 vcc, 6, v48
	v_mov_b32_e32 v48, 3
	s_and_saveexec_b64 s[2:3], vcc
	s_cbranch_execz .LBB74_107
; %bb.104:
	v_and_b32_e32 v48, -8, v13
	v_sub_u32_e32 v50, 0, v48
	s_mov_b64 s[8:9], 10
	s_mov_b32 s12, 60
	s_mov_b64 s[10:11], 0
.LBB74_105:                             ; =>This Inner Loop Header: Depth=1
	s_add_i32 s13, s8, -7
	v_mov_b32_e32 v48, s12
	s_add_i32 s14, s8, -6
	s_set_gpr_idx_on s13, gpr_idx(SRC0)
	v_mov_b32_e32 v51, v14
	s_set_gpr_idx_off
	ds_read2_b32 v[52:53], v48 offset1:1
	s_add_i32 s15, s8, -5
	s_set_gpr_idx_on s14, gpr_idx(SRC0)
	v_mov_b32_e32 v58, v14
	s_set_gpr_idx_off
	s_add_i32 s16, s8, -4
	s_set_gpr_idx_on s15, gpr_idx(SRC0)
	v_mov_b32_e32 v59, v14
	s_set_gpr_idx_off
	ds_read2_b32 v[54:55], v48 offset0:2 offset1:3
	s_add_i32 s17, s8, -3
	s_set_gpr_idx_on s16, gpr_idx(SRC0)
	v_mov_b32_e32 v60, v14
	s_set_gpr_idx_off
	s_add_i32 s18, s8, -2
	s_set_gpr_idx_on s17, gpr_idx(SRC0)
	v_mov_b32_e32 v61, v14
	s_set_gpr_idx_off
	ds_read2_b32 v[56:57], v48 offset0:4 offset1:5
	s_add_i32 s19, s8, -1
	s_waitcnt lgkmcnt(2)
	v_fmac_f32_e32 v49, v51, v52
	s_set_gpr_idx_on s18, gpr_idx(SRC0)
	v_mov_b32_e32 v51, v14
	s_set_gpr_idx_off
	v_fmac_f32_e32 v49, v58, v53
	s_set_gpr_idx_on s19, gpr_idx(SRC0)
	v_mov_b32_e32 v58, v14
	s_set_gpr_idx_off
	ds_read2_b32 v[52:53], v48 offset0:6 offset1:7
	s_waitcnt lgkmcnt(2)
	v_fmac_f32_e32 v49, v59, v54
	s_set_gpr_idx_on s8, gpr_idx(SRC0)
	v_mov_b32_e32 v54, v14
	s_set_gpr_idx_off
	v_fmac_f32_e32 v49, v60, v55
	s_add_u32 s8, s8, 8
	s_waitcnt lgkmcnt(1)
	v_fmac_f32_e32 v49, v61, v56
	v_add_u32_e32 v48, s8, v50
	v_fmac_f32_e32 v49, v51, v57
	s_addc_u32 s9, s9, 0
	s_add_i32 s12, s12, 32
	s_add_i32 s13, s8, -7
	v_cmp_eq_u32_e32 vcc, 10, v48
	s_waitcnt lgkmcnt(0)
	v_fmac_f32_e32 v49, v58, v52
	v_mov_b32_e32 v48, s13
	s_or_b64 s[10:11], vcc, s[10:11]
	v_fmac_f32_e32 v49, v54, v53
	s_andn2_b64 exec, exec, s[10:11]
	s_cbranch_execnz .LBB74_105
; %bb.106:
	s_or_b64 exec, exec, s[10:11]
.LBB74_107:
	s_or_b64 exec, exec, s[2:3]
	v_and_b32_e32 v50, 7, v13
	v_cmp_ne_u32_e32 vcc, 0, v50
	s_and_saveexec_b64 s[8:9], vcc
	s_cbranch_execz .LBB74_111
; %bb.108:
	v_lshl_add_u32 v51, v48, 2, 48
	v_mov_b32_e32 v13, 0
	s_mov_b64 s[10:11], 0
.LBB74_109:                             ; =>This Inner Loop Header: Depth=1
	v_cmp_eq_u32_e32 vcc, 1, v48
	v_cndmask_b32_e32 v52, v14, v15, vcc
	v_add_u32_e32 v50, -1, v50
	v_cmp_eq_u32_e32 vcc, 2, v48
	v_cndmask_b32_e32 v52, v52, v16, vcc
	v_cmp_eq_u32_e32 vcc, 0, v50
	v_cmp_eq_u32_e64 s[2:3], 3, v48
	v_cndmask_b32_e64 v52, v52, v17, s[2:3]
	s_or_b64 s[10:11], vcc, s[10:11]
	v_cmp_eq_u32_e32 vcc, 4, v48
	v_cndmask_b32_e32 v52, v52, v18, vcc
	v_cmp_eq_u32_e32 vcc, 5, v48
	v_cndmask_b32_e32 v52, v52, v19, vcc
	v_cmp_eq_u32_e32 vcc, 6, v48
	ds_read_b32 v53, v51
	v_cndmask_b32_e32 v52, v52, v20, vcc
	v_cmp_eq_u32_e32 vcc, 7, v48
	v_cndmask_b32_e32 v52, v52, v21, vcc
	v_cmp_eq_u32_e32 vcc, 8, v48
	;; [unrolled: 2-line block ×4, first 2 shown]
	v_add_co_u32_e64 v48, s[2:3], 1, v48
	v_cndmask_b32_e32 v52, v52, v24, vcc
	v_add_u32_e32 v51, 4, v51
	v_addc_co_u32_e64 v13, s[2:3], 0, v13, s[2:3]
	s_waitcnt lgkmcnt(0)
	v_fmac_f32_e32 v49, v52, v53
	s_andn2_b64 exec, exec, s[10:11]
	s_cbranch_execnz .LBB74_109
; %bb.110:
	s_or_b64 exec, exec, s[10:11]
.LBB74_111:
	s_or_b64 exec, exec, s[8:9]
.LBB74_112:
	s_or_b64 exec, exec, s[6:7]
	v_mov_b32_e32 v13, 0
	ds_read_b32 v13, v13 offset:8
	s_waitcnt lgkmcnt(0)
	v_mul_f32_e32 v16, v49, v13
.LBB74_113:
	s_or_b64 exec, exec, s[4:5]
	v_cmp_lt_u32_e64 s[2:3], 1, v0
	ds_write_b32 v25, v15
	s_waitcnt lgkmcnt(0)
	; wave barrier
	s_waitcnt lgkmcnt(0)
	s_and_saveexec_b64 s[4:5], s[2:3]
	s_cbranch_execz .LBB74_129
; %bb.114:
	s_andn2_b64 vcc, exec, s[22:23]
	s_cbranch_vccnz .LBB74_116
; %bb.115:
	v_cmp_eq_u32_e32 vcc, 1, v0
	v_cndmask_b32_e32 v13, v14, v15, vcc
	v_cmp_eq_u32_e32 vcc, 2, v0
	v_cndmask_b32_e32 v13, v13, v16, vcc
	;; [unrolled: 2-line block ×6, first 2 shown]
	v_cmp_eq_u32_e32 vcc, 7, v0
	ds_read_b32 v48, v25
	v_cndmask_b32_e32 v13, v13, v21, vcc
	v_cmp_eq_u32_e32 vcc, 8, v0
	v_cndmask_b32_e32 v13, v13, v22, vcc
	v_cmp_eq_u32_e32 vcc, 9, v0
	;; [unrolled: 2-line block ×3, first 2 shown]
	v_cndmask_b32_e32 v13, v13, v24, vcc
	s_waitcnt lgkmcnt(0)
	v_mul_f32_e32 v49, v13, v48
	s_cbranch_execz .LBB74_117
	s_branch .LBB74_118
.LBB74_116:
                                        ; implicit-def: $vgpr49
.LBB74_117:
	ds_read_b32 v49, v25
.LBB74_118:
	s_and_saveexec_b64 s[6:7], s[0:1]
	s_cbranch_execz .LBB74_128
; %bb.119:
	v_add_u32_e32 v48, -3, v0
	v_add_u32_e32 v13, -2, v0
	v_cmp_lt_u32_e32 vcc, 6, v48
	v_mov_b32_e32 v48, 2
	s_and_saveexec_b64 s[0:1], vcc
	s_cbranch_execz .LBB74_123
; %bb.120:
	v_and_b32_e32 v48, -8, v13
	v_sub_u32_e32 v50, 0, v48
	s_mov_b64 s[8:9], 9
	s_mov_b32 s12, 56
	s_mov_b64 s[10:11], 0
.LBB74_121:                             ; =>This Inner Loop Header: Depth=1
	s_add_i32 s13, s8, -7
	v_mov_b32_e32 v48, s12
	s_add_i32 s14, s8, -6
	s_set_gpr_idx_on s13, gpr_idx(SRC0)
	v_mov_b32_e32 v51, v14
	s_set_gpr_idx_off
	ds_read2_b64 v[52:55], v48 offset1:1
	s_add_i32 s15, s8, -5
	s_set_gpr_idx_on s14, gpr_idx(SRC0)
	v_mov_b32_e32 v60, v14
	s_set_gpr_idx_off
	s_add_i32 s16, s8, -4
	s_set_gpr_idx_on s15, gpr_idx(SRC0)
	v_mov_b32_e32 v61, v14
	s_set_gpr_idx_off
	;; [unrolled: 4-line block ×4, first 2 shown]
	ds_read2_b64 v[56:59], v48 offset0:2 offset1:3
	s_add_i32 s19, s8, -1
	s_waitcnt lgkmcnt(1)
	v_fmac_f32_e32 v49, v51, v52
	s_set_gpr_idx_on s18, gpr_idx(SRC0)
	v_mov_b32_e32 v51, v14
	s_set_gpr_idx_off
	v_fmac_f32_e32 v49, v60, v53
	s_set_gpr_idx_on s19, gpr_idx(SRC0)
	v_mov_b32_e32 v52, v14
	s_set_gpr_idx_off
	;; [unrolled: 4-line block ×3, first 2 shown]
	v_fmac_f32_e32 v49, v62, v55
	s_add_u32 s8, s8, 8
	s_waitcnt lgkmcnt(0)
	v_fmac_f32_e32 v49, v63, v56
	v_add_u32_e32 v48, s8, v50
	v_fmac_f32_e32 v49, v51, v57
	s_addc_u32 s9, s9, 0
	s_add_i32 s12, s12, 32
	s_add_i32 s13, s8, -7
	v_cmp_eq_u32_e32 vcc, 9, v48
	v_fmac_f32_e32 v49, v52, v58
	v_mov_b32_e32 v48, s13
	s_or_b64 s[10:11], vcc, s[10:11]
	v_fmac_f32_e32 v49, v53, v59
	s_andn2_b64 exec, exec, s[10:11]
	s_cbranch_execnz .LBB74_121
; %bb.122:
	s_or_b64 exec, exec, s[10:11]
.LBB74_123:
	s_or_b64 exec, exec, s[0:1]
	v_and_b32_e32 v50, 7, v13
	v_cmp_ne_u32_e32 vcc, 0, v50
	s_and_saveexec_b64 s[8:9], vcc
	s_cbranch_execz .LBB74_127
; %bb.124:
	v_lshl_add_u32 v51, v48, 2, 48
	v_mov_b32_e32 v13, 0
	s_mov_b64 s[10:11], 0
.LBB74_125:                             ; =>This Inner Loop Header: Depth=1
	v_cmp_eq_u32_e32 vcc, 1, v48
	v_cndmask_b32_e32 v52, v14, v15, vcc
	v_add_u32_e32 v50, -1, v50
	v_cmp_eq_u32_e32 vcc, 2, v48
	v_cndmask_b32_e32 v52, v52, v16, vcc
	v_cmp_eq_u32_e32 vcc, 0, v50
	v_cmp_eq_u32_e64 s[0:1], 3, v48
	v_cndmask_b32_e64 v52, v52, v17, s[0:1]
	s_or_b64 s[10:11], vcc, s[10:11]
	v_cmp_eq_u32_e32 vcc, 4, v48
	v_cndmask_b32_e32 v52, v52, v18, vcc
	v_cmp_eq_u32_e32 vcc, 5, v48
	v_cndmask_b32_e32 v52, v52, v19, vcc
	v_cmp_eq_u32_e32 vcc, 6, v48
	ds_read_b32 v53, v51
	v_cndmask_b32_e32 v52, v52, v20, vcc
	v_cmp_eq_u32_e32 vcc, 7, v48
	v_cndmask_b32_e32 v52, v52, v21, vcc
	v_cmp_eq_u32_e32 vcc, 8, v48
	;; [unrolled: 2-line block ×4, first 2 shown]
	v_add_co_u32_e64 v48, s[0:1], 1, v48
	v_cndmask_b32_e32 v52, v52, v24, vcc
	v_add_u32_e32 v51, 4, v51
	v_addc_co_u32_e64 v13, s[0:1], 0, v13, s[0:1]
	s_waitcnt lgkmcnt(0)
	v_fmac_f32_e32 v49, v52, v53
	s_andn2_b64 exec, exec, s[10:11]
	s_cbranch_execnz .LBB74_125
; %bb.126:
	s_or_b64 exec, exec, s[10:11]
.LBB74_127:
	s_or_b64 exec, exec, s[8:9]
.LBB74_128:
	s_or_b64 exec, exec, s[6:7]
	v_mov_b32_e32 v13, 0
	ds_read_b32 v13, v13 offset:4
	s_waitcnt lgkmcnt(0)
	v_mul_f32_e32 v15, v49, v13
.LBB74_129:
	s_or_b64 exec, exec, s[4:5]
	v_cmp_ne_u32_e32 vcc, 0, v0
	ds_write_b32 v25, v14
	s_waitcnt lgkmcnt(0)
	; wave barrier
	s_waitcnt lgkmcnt(0)
	s_and_saveexec_b64 s[4:5], vcc
	s_cbranch_execz .LBB74_145
; %bb.130:
	s_andn2_b64 vcc, exec, s[22:23]
	s_cbranch_vccnz .LBB74_132
; %bb.131:
	v_cmp_eq_u32_e32 vcc, 1, v0
	v_cndmask_b32_e32 v13, v14, v15, vcc
	v_cmp_eq_u32_e32 vcc, 2, v0
	v_cndmask_b32_e32 v13, v13, v16, vcc
	;; [unrolled: 2-line block ×6, first 2 shown]
	v_cmp_eq_u32_e32 vcc, 7, v0
	ds_read_b32 v48, v25
	v_cndmask_b32_e32 v13, v13, v21, vcc
	v_cmp_eq_u32_e32 vcc, 8, v0
	v_cndmask_b32_e32 v13, v13, v22, vcc
	v_cmp_eq_u32_e32 vcc, 9, v0
	;; [unrolled: 2-line block ×3, first 2 shown]
	v_cndmask_b32_e32 v13, v13, v24, vcc
	s_waitcnt lgkmcnt(0)
	v_mul_f32_e32 v49, v13, v48
	s_cbranch_execz .LBB74_133
	s_branch .LBB74_134
.LBB74_132:
                                        ; implicit-def: $vgpr49
.LBB74_133:
	ds_read_b32 v49, v25
.LBB74_134:
	s_and_saveexec_b64 s[6:7], s[2:3]
	s_cbranch_execz .LBB74_144
; %bb.135:
	v_add_u32_e32 v48, -2, v0
	v_add_u32_e32 v13, -1, v0
	v_cmp_lt_u32_e32 vcc, 6, v48
	v_mov_b32_e32 v48, 1
	s_and_saveexec_b64 s[0:1], vcc
	s_cbranch_execz .LBB74_139
; %bb.136:
	v_and_b32_e32 v48, -8, v13
	v_sub_u32_e32 v50, 0, v48
	s_mov_b64 s[2:3], 8
	s_mov_b32 s10, 52
	s_mov_b64 s[8:9], 0
.LBB74_137:                             ; =>This Inner Loop Header: Depth=1
	s_add_i32 s11, s2, -7
	v_mov_b32_e32 v48, s10
	s_add_i32 s12, s2, -6
	s_set_gpr_idx_on s11, gpr_idx(SRC0)
	v_mov_b32_e32 v51, v14
	s_set_gpr_idx_off
	ds_read2_b32 v[52:53], v48 offset1:1
	s_add_i32 s13, s2, -5
	s_set_gpr_idx_on s12, gpr_idx(SRC0)
	v_mov_b32_e32 v58, v14
	s_set_gpr_idx_off
	s_add_i32 s14, s2, -4
	s_set_gpr_idx_on s13, gpr_idx(SRC0)
	v_mov_b32_e32 v59, v14
	s_set_gpr_idx_off
	ds_read2_b32 v[54:55], v48 offset0:2 offset1:3
	s_add_i32 s15, s2, -3
	s_set_gpr_idx_on s14, gpr_idx(SRC0)
	v_mov_b32_e32 v60, v14
	s_set_gpr_idx_off
	s_add_i32 s16, s2, -2
	s_set_gpr_idx_on s15, gpr_idx(SRC0)
	v_mov_b32_e32 v61, v14
	s_set_gpr_idx_off
	ds_read2_b32 v[56:57], v48 offset0:4 offset1:5
	s_add_i32 s17, s2, -1
	s_waitcnt lgkmcnt(2)
	v_fmac_f32_e32 v49, v51, v52
	s_set_gpr_idx_on s16, gpr_idx(SRC0)
	v_mov_b32_e32 v51, v14
	s_set_gpr_idx_off
	v_fmac_f32_e32 v49, v58, v53
	s_set_gpr_idx_on s17, gpr_idx(SRC0)
	v_mov_b32_e32 v58, v14
	s_set_gpr_idx_off
	ds_read2_b32 v[52:53], v48 offset0:6 offset1:7
	s_waitcnt lgkmcnt(2)
	v_fmac_f32_e32 v49, v59, v54
	s_set_gpr_idx_on s2, gpr_idx(SRC0)
	v_mov_b32_e32 v54, v14
	s_set_gpr_idx_off
	v_fmac_f32_e32 v49, v60, v55
	s_add_u32 s2, s2, 8
	s_waitcnt lgkmcnt(1)
	v_fmac_f32_e32 v49, v61, v56
	v_add_u32_e32 v48, s2, v50
	v_fmac_f32_e32 v49, v51, v57
	s_addc_u32 s3, s3, 0
	s_add_i32 s10, s10, 32
	s_add_i32 s11, s2, -7
	v_cmp_eq_u32_e32 vcc, 8, v48
	s_waitcnt lgkmcnt(0)
	v_fmac_f32_e32 v49, v58, v52
	v_mov_b32_e32 v48, s11
	s_or_b64 s[8:9], vcc, s[8:9]
	v_fmac_f32_e32 v49, v54, v53
	s_andn2_b64 exec, exec, s[8:9]
	s_cbranch_execnz .LBB74_137
; %bb.138:
	s_or_b64 exec, exec, s[8:9]
.LBB74_139:
	s_or_b64 exec, exec, s[0:1]
	v_and_b32_e32 v50, 7, v13
	v_cmp_ne_u32_e32 vcc, 0, v50
	s_and_saveexec_b64 s[2:3], vcc
	s_cbranch_execz .LBB74_143
; %bb.140:
	v_lshl_add_u32 v51, v48, 2, 48
	v_mov_b32_e32 v13, 0
	s_mov_b64 s[8:9], 0
.LBB74_141:                             ; =>This Inner Loop Header: Depth=1
	v_cmp_eq_u32_e32 vcc, 1, v48
	v_cndmask_b32_e32 v52, v14, v15, vcc
	v_add_u32_e32 v50, -1, v50
	v_cmp_eq_u32_e32 vcc, 2, v48
	v_cndmask_b32_e32 v52, v52, v16, vcc
	v_cmp_eq_u32_e32 vcc, 0, v50
	v_cmp_eq_u32_e64 s[0:1], 3, v48
	v_cndmask_b32_e64 v52, v52, v17, s[0:1]
	s_or_b64 s[8:9], vcc, s[8:9]
	v_cmp_eq_u32_e32 vcc, 4, v48
	v_cndmask_b32_e32 v52, v52, v18, vcc
	v_cmp_eq_u32_e32 vcc, 5, v48
	v_cndmask_b32_e32 v52, v52, v19, vcc
	v_cmp_eq_u32_e32 vcc, 6, v48
	ds_read_b32 v53, v51
	v_cndmask_b32_e32 v52, v52, v20, vcc
	v_cmp_eq_u32_e32 vcc, 7, v48
	v_cndmask_b32_e32 v52, v52, v21, vcc
	v_cmp_eq_u32_e32 vcc, 8, v48
	;; [unrolled: 2-line block ×4, first 2 shown]
	v_add_co_u32_e64 v48, s[0:1], 1, v48
	v_cndmask_b32_e32 v52, v52, v24, vcc
	v_add_u32_e32 v51, 4, v51
	v_addc_co_u32_e64 v13, s[0:1], 0, v13, s[0:1]
	s_waitcnt lgkmcnt(0)
	v_fmac_f32_e32 v49, v52, v53
	s_andn2_b64 exec, exec, s[8:9]
	s_cbranch_execnz .LBB74_141
; %bb.142:
	s_or_b64 exec, exec, s[8:9]
.LBB74_143:
	s_or_b64 exec, exec, s[2:3]
.LBB74_144:
	s_or_b64 exec, exec, s[6:7]
	v_mov_b32_e32 v13, 0
	ds_read_b32 v13, v13
	s_waitcnt lgkmcnt(0)
	v_mul_f32_e32 v14, v49, v13
.LBB74_145:
	s_or_b64 exec, exec, s[4:5]
	s_branch .LBB74_251
.LBB74_146:
	v_cmp_eq_u32_e64 s[0:1], 0, v0
	s_waitcnt vmcnt(10)
	ds_write_b32 v25, v3
	s_waitcnt lgkmcnt(0)
	; wave barrier
	s_waitcnt lgkmcnt(0)
	s_and_saveexec_b64 s[2:3], s[0:1]
	s_cbranch_execz .LBB74_152
; %bb.147:
	s_and_b64 vcc, exec, s[22:23]
	s_cbranch_vccz .LBB74_149
; %bb.148:
	v_cmp_eq_u32_e32 vcc, 1, v0
	s_waitcnt vmcnt(1)
	v_cndmask_b32_e32 v3, v2, v3, vcc
	v_cmp_eq_u32_e32 vcc, 2, v0
	v_cndmask_b32_e32 v3, v3, v4, vcc
	v_cmp_eq_u32_e32 vcc, 3, v0
	;; [unrolled: 2-line block ×6, first 2 shown]
	ds_read_b32 v13, v25
	v_cndmask_b32_e32 v3, v3, v9, vcc
	v_cmp_eq_u32_e32 vcc, 8, v0
	v_cndmask_b32_e32 v3, v3, v10, vcc
	v_cmp_eq_u32_e32 vcc, 9, v0
	;; [unrolled: 2-line block ×3, first 2 shown]
	s_waitcnt vmcnt(0)
	v_cndmask_b32_e32 v3, v3, v12, vcc
	s_waitcnt lgkmcnt(0)
	v_mul_f32_e32 v3, v3, v13
	s_cbranch_execz .LBB74_150
	s_branch .LBB74_151
.LBB74_149:
                                        ; implicit-def: $vgpr3
.LBB74_150:
	ds_read_b32 v3, v25
.LBB74_151:
	v_mov_b32_e32 v13, 0
	ds_read_b32 v13, v13 offset:4
	s_waitcnt lgkmcnt(0)
	v_mul_f32_e32 v3, v3, v13
.LBB74_152:
	s_or_b64 exec, exec, s[2:3]
	v_cndmask_b32_e64 v14, 0, 1, s[22:23]
	v_add_u32_e32 v13, 1, v0
	v_cmp_gt_u32_e32 vcc, 2, v0
	v_cmp_ne_u32_e64 s[2:3], 1, v14
	s_waitcnt vmcnt(9)
	ds_write_b32 v25, v4
	s_waitcnt lgkmcnt(0)
	; wave barrier
	s_waitcnt lgkmcnt(0)
	s_and_saveexec_b64 s[4:5], vcc
	s_cbranch_execz .LBB74_160
; %bb.153:
	s_and_b64 vcc, exec, s[2:3]
	s_cbranch_vccnz .LBB74_155
; %bb.154:
	v_cmp_eq_u32_e32 vcc, 1, v0
	s_waitcnt vmcnt(1)
	v_cndmask_b32_e32 v14, v2, v3, vcc
	v_cmp_eq_u32_e32 vcc, 2, v0
	v_cndmask_b32_e32 v14, v14, v4, vcc
	v_cmp_eq_u32_e32 vcc, 3, v0
	;; [unrolled: 2-line block ×6, first 2 shown]
	ds_read_b32 v15, v25
	v_cndmask_b32_e32 v14, v14, v9, vcc
	v_cmp_eq_u32_e32 vcc, 8, v0
	v_cndmask_b32_e32 v14, v14, v10, vcc
	v_cmp_eq_u32_e32 vcc, 9, v0
	;; [unrolled: 2-line block ×3, first 2 shown]
	s_waitcnt vmcnt(0)
	v_cndmask_b32_e32 v14, v14, v12, vcc
	s_waitcnt lgkmcnt(0)
	v_mul_f32_e32 v14, v14, v15
	s_cbranch_execz .LBB74_156
	s_branch .LBB74_157
.LBB74_155:
                                        ; implicit-def: $vgpr14
.LBB74_156:
	ds_read_b32 v14, v25
.LBB74_157:
	s_and_saveexec_b64 s[6:7], s[0:1]
	s_cbranch_execz .LBB74_159
; %bb.158:
	v_cmp_eq_u32_e32 vcc, 1, v13
	s_waitcnt vmcnt(1)
	v_cndmask_b32_e32 v15, v2, v3, vcc
	v_cmp_eq_u32_e32 vcc, 2, v13
	v_cndmask_b32_e32 v4, v15, v4, vcc
	v_cmp_eq_u32_e32 vcc, 3, v13
	;; [unrolled: 2-line block ×6, first 2 shown]
	ds_read_b32 v15, v25 offset:4
	v_cndmask_b32_e32 v4, v4, v9, vcc
	v_cmp_eq_u32_e32 vcc, 8, v13
	v_cndmask_b32_e32 v4, v4, v10, vcc
	v_cmp_eq_u32_e32 vcc, 9, v13
	v_cndmask_b32_e32 v4, v4, v11, vcc
	v_cmp_eq_u32_e32 vcc, 10, v13
	s_waitcnt vmcnt(0)
	v_cndmask_b32_e32 v4, v4, v12, vcc
	s_waitcnt lgkmcnt(0)
	v_fmac_f32_e32 v14, v4, v15
.LBB74_159:
	s_or_b64 exec, exec, s[6:7]
	v_mov_b32_e32 v4, 0
	ds_read_b32 v4, v4 offset:8
	s_waitcnt lgkmcnt(0)
	v_mul_f32_e32 v4, v14, v4
.LBB74_160:
	s_or_b64 exec, exec, s[4:5]
	v_cmp_gt_u32_e64 s[4:5], 3, v0
	s_waitcnt vmcnt(8)
	ds_write_b32 v25, v5
	s_waitcnt lgkmcnt(0)
	; wave barrier
	s_waitcnt lgkmcnt(0)
	s_and_saveexec_b64 s[6:7], s[4:5]
	s_cbranch_execz .LBB74_168
; %bb.161:
	s_and_b64 vcc, exec, s[2:3]
	s_cbranch_vccnz .LBB74_163
; %bb.162:
	v_cmp_eq_u32_e32 vcc, 1, v0
	s_waitcnt vmcnt(1)
	v_cndmask_b32_e32 v14, v2, v3, vcc
	v_cmp_eq_u32_e32 vcc, 2, v0
	v_cndmask_b32_e32 v14, v14, v4, vcc
	v_cmp_eq_u32_e32 vcc, 3, v0
	;; [unrolled: 2-line block ×6, first 2 shown]
	ds_read_b32 v15, v25
	v_cndmask_b32_e32 v14, v14, v9, vcc
	v_cmp_eq_u32_e32 vcc, 8, v0
	v_cndmask_b32_e32 v14, v14, v10, vcc
	v_cmp_eq_u32_e32 vcc, 9, v0
	;; [unrolled: 2-line block ×3, first 2 shown]
	s_waitcnt vmcnt(0)
	v_cndmask_b32_e32 v14, v14, v12, vcc
	s_waitcnt lgkmcnt(0)
	v_mul_f32_e32 v14, v14, v15
	s_cbranch_execz .LBB74_164
	s_branch .LBB74_165
.LBB74_163:
                                        ; implicit-def: $vgpr14
.LBB74_164:
	ds_read_b32 v14, v25
.LBB74_165:
	v_cmp_ne_u32_e32 vcc, 2, v0
	s_and_saveexec_b64 s[8:9], vcc
	s_cbranch_execz .LBB74_167
; %bb.166:
	v_cmp_eq_u32_e32 vcc, 1, v13
	s_waitcnt vmcnt(1)
	v_cndmask_b32_e32 v15, v2, v3, vcc
	v_cmp_eq_u32_e32 vcc, 2, v13
	v_cndmask_b32_e32 v15, v15, v4, vcc
	v_cmp_eq_u32_e32 vcc, 3, v13
	v_cndmask_b32_e32 v5, v15, v5, vcc
	v_cmp_eq_u32_e32 vcc, 4, v13
	v_cndmask_b32_e32 v5, v5, v6, vcc
	v_cmp_eq_u32_e32 vcc, 5, v13
	v_cndmask_b32_e32 v5, v5, v7, vcc
	v_cmp_eq_u32_e32 vcc, 6, v13
	v_cndmask_b32_e32 v5, v5, v8, vcc
	v_cmp_eq_u32_e32 vcc, 7, v13
	v_mov_b32_e32 v15, 0
	v_cndmask_b32_e32 v5, v5, v9, vcc
	v_cmp_eq_u32_e32 vcc, 8, v13
	ds_read_b32 v16, v25 offset:4
	ds_read_b32 v15, v15 offset:56
	v_cndmask_b32_e32 v5, v5, v10, vcc
	v_cmp_eq_u32_e32 vcc, 9, v13
	v_cndmask_b32_e32 v5, v5, v11, vcc
	v_cmp_eq_u32_e32 vcc, 10, v13
	s_waitcnt vmcnt(0)
	v_cndmask_b32_e32 v5, v5, v12, vcc
	s_waitcnt lgkmcnt(1)
	v_fmac_f32_e32 v14, v5, v16
	s_waitcnt lgkmcnt(0)
	v_fma_f32 v5, v4, v15, v14
	v_cndmask_b32_e64 v14, v14, v5, s[0:1]
.LBB74_167:
	s_or_b64 exec, exec, s[8:9]
	v_mov_b32_e32 v5, 0
	ds_read_b32 v5, v5 offset:12
	s_waitcnt lgkmcnt(0)
	v_mul_f32_e32 v5, v14, v5
.LBB74_168:
	s_or_b64 exec, exec, s[6:7]
	v_cmp_gt_u32_e32 vcc, 4, v0
	s_waitcnt vmcnt(7)
	ds_write_b32 v25, v6
	s_waitcnt lgkmcnt(0)
	; wave barrier
	s_waitcnt lgkmcnt(0)
	s_and_saveexec_b64 s[8:9], vcc
	s_cbranch_execz .LBB74_178
; %bb.169:
	s_and_b64 vcc, exec, s[2:3]
	s_cbranch_vccnz .LBB74_171
; %bb.170:
	v_cmp_eq_u32_e32 vcc, 1, v0
	s_waitcnt vmcnt(1)
	v_cndmask_b32_e32 v14, v2, v3, vcc
	v_cmp_eq_u32_e32 vcc, 2, v0
	v_cndmask_b32_e32 v14, v14, v4, vcc
	v_cmp_eq_u32_e32 vcc, 3, v0
	v_cndmask_b32_e32 v14, v14, v5, vcc
	v_cmp_eq_u32_e32 vcc, 4, v0
	v_cndmask_b32_e32 v14, v14, v6, vcc
	v_cmp_eq_u32_e32 vcc, 5, v0
	v_cndmask_b32_e32 v14, v14, v7, vcc
	v_cmp_eq_u32_e32 vcc, 6, v0
	v_cndmask_b32_e32 v14, v14, v8, vcc
	v_cmp_eq_u32_e32 vcc, 7, v0
	ds_read_b32 v15, v25
	v_cndmask_b32_e32 v14, v14, v9, vcc
	v_cmp_eq_u32_e32 vcc, 8, v0
	v_cndmask_b32_e32 v14, v14, v10, vcc
	v_cmp_eq_u32_e32 vcc, 9, v0
	;; [unrolled: 2-line block ×3, first 2 shown]
	s_waitcnt vmcnt(0)
	v_cndmask_b32_e32 v14, v14, v12, vcc
	s_waitcnt lgkmcnt(0)
	v_mul_f32_e32 v16, v14, v15
	s_cbranch_execz .LBB74_172
	s_branch .LBB74_173
.LBB74_171:
                                        ; implicit-def: $vgpr16
.LBB74_172:
	ds_read_b32 v16, v25
.LBB74_173:
	v_cmp_ne_u32_e32 vcc, 3, v0
	s_and_saveexec_b64 s[10:11], vcc
	s_cbranch_execz .LBB74_177
; %bb.174:
	v_lshl_add_u32 v17, v0, 2, 52
	s_mov_b64 s[12:13], 0
	v_pk_mov_b32 v[14:15], v[0:1], v[0:1] op_sel:[0,1]
.LBB74_175:                             ; =>This Inner Loop Header: Depth=1
	v_add_co_u32_e32 v14, vcc, 1, v14
	v_addc_co_u32_e32 v15, vcc, 0, v15, vcc
	v_cmp_eq_u32_e32 vcc, 1, v14
	s_waitcnt vmcnt(1)
	v_cndmask_b32_e32 v19, v2, v3, vcc
	v_cmp_lt_u32_e32 vcc, 2, v14
	v_cmp_eq_u32_e64 s[6:7], 2, v14
	v_cndmask_b32_e64 v19, v19, v4, s[6:7]
	s_or_b64 s[12:13], vcc, s[12:13]
	v_cmp_eq_u32_e32 vcc, 3, v14
	v_cndmask_b32_e32 v19, v19, v5, vcc
	v_cmp_eq_u32_e32 vcc, 4, v14
	v_cndmask_b32_e32 v19, v19, v6, vcc
	;; [unrolled: 2-line block ×3, first 2 shown]
	v_cmp_eq_u32_e32 vcc, 6, v14
	ds_read_b32 v18, v17
	v_cndmask_b32_e32 v19, v19, v8, vcc
	v_cmp_eq_u32_e32 vcc, 7, v14
	v_cndmask_b32_e32 v19, v19, v9, vcc
	v_cmp_eq_u32_e32 vcc, 8, v14
	;; [unrolled: 2-line block ×4, first 2 shown]
	s_waitcnt vmcnt(0)
	v_cndmask_b32_e32 v19, v19, v12, vcc
	v_add_u32_e32 v17, 4, v17
	s_waitcnt lgkmcnt(0)
	v_fmac_f32_e32 v16, v19, v18
	s_andn2_b64 exec, exec, s[12:13]
	s_cbranch_execnz .LBB74_175
; %bb.176:
	s_or_b64 exec, exec, s[12:13]
.LBB74_177:
	s_or_b64 exec, exec, s[10:11]
	v_mov_b32_e32 v6, 0
	ds_read_b32 v6, v6 offset:16
	s_waitcnt lgkmcnt(0)
	v_mul_f32_e32 v6, v16, v6
.LBB74_178:
	s_or_b64 exec, exec, s[8:9]
	v_cmp_gt_u32_e64 s[6:7], 5, v0
	s_waitcnt vmcnt(6)
	ds_write_b32 v25, v7
	s_waitcnt lgkmcnt(0)
	; wave barrier
	s_waitcnt lgkmcnt(0)
	s_and_saveexec_b64 s[10:11], s[6:7]
	s_cbranch_execz .LBB74_188
; %bb.179:
	s_and_b64 vcc, exec, s[2:3]
	s_cbranch_vccnz .LBB74_181
; %bb.180:
	v_cmp_eq_u32_e32 vcc, 1, v0
	s_waitcnt vmcnt(1)
	v_cndmask_b32_e32 v14, v2, v3, vcc
	v_cmp_eq_u32_e32 vcc, 2, v0
	v_cndmask_b32_e32 v14, v14, v4, vcc
	v_cmp_eq_u32_e32 vcc, 3, v0
	;; [unrolled: 2-line block ×6, first 2 shown]
	ds_read_b32 v15, v25
	v_cndmask_b32_e32 v14, v14, v9, vcc
	v_cmp_eq_u32_e32 vcc, 8, v0
	v_cndmask_b32_e32 v14, v14, v10, vcc
	v_cmp_eq_u32_e32 vcc, 9, v0
	;; [unrolled: 2-line block ×3, first 2 shown]
	s_waitcnt vmcnt(0)
	v_cndmask_b32_e32 v14, v14, v12, vcc
	s_waitcnt lgkmcnt(0)
	v_mul_f32_e32 v16, v14, v15
	s_cbranch_execz .LBB74_182
	s_branch .LBB74_183
.LBB74_181:
                                        ; implicit-def: $vgpr16
.LBB74_182:
	ds_read_b32 v16, v25
.LBB74_183:
	v_cmp_ne_u32_e32 vcc, 4, v0
	s_and_saveexec_b64 s[12:13], vcc
	s_cbranch_execz .LBB74_187
; %bb.184:
	v_lshl_add_u32 v17, v0, 2, 52
	s_mov_b64 s[14:15], 0
	v_pk_mov_b32 v[14:15], v[0:1], v[0:1] op_sel:[0,1]
.LBB74_185:                             ; =>This Inner Loop Header: Depth=1
	v_add_co_u32_e32 v14, vcc, 1, v14
	v_addc_co_u32_e32 v15, vcc, 0, v15, vcc
	v_cmp_eq_u32_e32 vcc, 1, v14
	s_waitcnt vmcnt(1)
	v_cndmask_b32_e32 v19, v2, v3, vcc
	v_cmp_lt_u32_e32 vcc, 3, v14
	v_cmp_eq_u32_e64 s[8:9], 2, v14
	v_cndmask_b32_e64 v19, v19, v4, s[8:9]
	s_or_b64 s[14:15], vcc, s[14:15]
	v_cmp_eq_u32_e32 vcc, 3, v14
	v_cndmask_b32_e32 v19, v19, v5, vcc
	v_cmp_eq_u32_e32 vcc, 4, v14
	v_cndmask_b32_e32 v19, v19, v6, vcc
	v_cmp_eq_u32_e32 vcc, 5, v14
	v_cndmask_b32_e32 v19, v19, v7, vcc
	v_cmp_eq_u32_e32 vcc, 6, v14
	ds_read_b32 v18, v17
	v_cndmask_b32_e32 v19, v19, v8, vcc
	v_cmp_eq_u32_e32 vcc, 7, v14
	v_cndmask_b32_e32 v19, v19, v9, vcc
	v_cmp_eq_u32_e32 vcc, 8, v14
	;; [unrolled: 2-line block ×4, first 2 shown]
	s_waitcnt vmcnt(0)
	v_cndmask_b32_e32 v19, v19, v12, vcc
	v_add_u32_e32 v17, 4, v17
	s_waitcnt lgkmcnt(0)
	v_fmac_f32_e32 v16, v19, v18
	s_andn2_b64 exec, exec, s[14:15]
	s_cbranch_execnz .LBB74_185
; %bb.186:
	s_or_b64 exec, exec, s[14:15]
.LBB74_187:
	s_or_b64 exec, exec, s[12:13]
	v_mov_b32_e32 v7, 0
	ds_read_b32 v7, v7 offset:20
	s_waitcnt lgkmcnt(0)
	v_mul_f32_e32 v7, v16, v7
.LBB74_188:
	s_or_b64 exec, exec, s[10:11]
	v_cmp_gt_u32_e32 vcc, 6, v0
	s_waitcnt vmcnt(5)
	ds_write_b32 v25, v8
	s_waitcnt lgkmcnt(0)
	; wave barrier
	s_waitcnt lgkmcnt(0)
	s_and_saveexec_b64 s[10:11], vcc
	s_cbranch_execz .LBB74_198
; %bb.189:
	s_and_b64 vcc, exec, s[2:3]
	s_cbranch_vccnz .LBB74_191
; %bb.190:
	v_cmp_eq_u32_e32 vcc, 1, v0
	s_waitcnt vmcnt(1)
	v_cndmask_b32_e32 v14, v2, v3, vcc
	v_cmp_eq_u32_e32 vcc, 2, v0
	v_cndmask_b32_e32 v14, v14, v4, vcc
	v_cmp_eq_u32_e32 vcc, 3, v0
	v_cndmask_b32_e32 v14, v14, v5, vcc
	v_cmp_eq_u32_e32 vcc, 4, v0
	v_cndmask_b32_e32 v14, v14, v6, vcc
	v_cmp_eq_u32_e32 vcc, 5, v0
	v_cndmask_b32_e32 v14, v14, v7, vcc
	v_cmp_eq_u32_e32 vcc, 6, v0
	v_cndmask_b32_e32 v14, v14, v8, vcc
	v_cmp_eq_u32_e32 vcc, 7, v0
	ds_read_b32 v15, v25
	v_cndmask_b32_e32 v14, v14, v9, vcc
	v_cmp_eq_u32_e32 vcc, 8, v0
	v_cndmask_b32_e32 v14, v14, v10, vcc
	v_cmp_eq_u32_e32 vcc, 9, v0
	;; [unrolled: 2-line block ×3, first 2 shown]
	s_waitcnt vmcnt(0)
	v_cndmask_b32_e32 v14, v14, v12, vcc
	s_waitcnt lgkmcnt(0)
	v_mul_f32_e32 v16, v14, v15
	s_cbranch_execz .LBB74_192
	s_branch .LBB74_193
.LBB74_191:
                                        ; implicit-def: $vgpr16
.LBB74_192:
	ds_read_b32 v16, v25
.LBB74_193:
	v_cmp_ne_u32_e32 vcc, 5, v0
	s_and_saveexec_b64 s[12:13], vcc
	s_cbranch_execz .LBB74_197
; %bb.194:
	v_lshl_add_u32 v17, v0, 2, 52
	s_mov_b64 s[14:15], 0
	v_pk_mov_b32 v[14:15], v[0:1], v[0:1] op_sel:[0,1]
.LBB74_195:                             ; =>This Inner Loop Header: Depth=1
	v_add_co_u32_e32 v14, vcc, 1, v14
	v_addc_co_u32_e32 v15, vcc, 0, v15, vcc
	v_cmp_eq_u32_e32 vcc, 1, v14
	s_waitcnt vmcnt(1)
	v_cndmask_b32_e32 v19, v2, v3, vcc
	v_cmp_lt_u32_e32 vcc, 4, v14
	v_cmp_eq_u32_e64 s[8:9], 2, v14
	v_cndmask_b32_e64 v19, v19, v4, s[8:9]
	s_or_b64 s[14:15], vcc, s[14:15]
	v_cmp_eq_u32_e32 vcc, 3, v14
	v_cndmask_b32_e32 v19, v19, v5, vcc
	v_cmp_eq_u32_e32 vcc, 4, v14
	v_cndmask_b32_e32 v19, v19, v6, vcc
	;; [unrolled: 2-line block ×3, first 2 shown]
	v_cmp_eq_u32_e32 vcc, 6, v14
	ds_read_b32 v18, v17
	v_cndmask_b32_e32 v19, v19, v8, vcc
	v_cmp_eq_u32_e32 vcc, 7, v14
	v_cndmask_b32_e32 v19, v19, v9, vcc
	v_cmp_eq_u32_e32 vcc, 8, v14
	;; [unrolled: 2-line block ×4, first 2 shown]
	s_waitcnt vmcnt(0)
	v_cndmask_b32_e32 v19, v19, v12, vcc
	v_add_u32_e32 v17, 4, v17
	s_waitcnt lgkmcnt(0)
	v_fmac_f32_e32 v16, v19, v18
	s_andn2_b64 exec, exec, s[14:15]
	s_cbranch_execnz .LBB74_195
; %bb.196:
	s_or_b64 exec, exec, s[14:15]
.LBB74_197:
	s_or_b64 exec, exec, s[12:13]
	v_mov_b32_e32 v8, 0
	ds_read_b32 v8, v8 offset:24
	s_waitcnt lgkmcnt(0)
	v_mul_f32_e32 v8, v16, v8
.LBB74_198:
	s_or_b64 exec, exec, s[10:11]
	v_cmp_gt_u32_e64 s[10:11], 7, v0
	s_waitcnt vmcnt(4)
	ds_write_b32 v25, v9
	s_waitcnt lgkmcnt(0)
	; wave barrier
	s_waitcnt lgkmcnt(0)
	s_and_saveexec_b64 s[12:13], s[10:11]
	s_cbranch_execz .LBB74_208
; %bb.199:
	s_and_b64 vcc, exec, s[2:3]
	s_cbranch_vccnz .LBB74_201
; %bb.200:
	v_cmp_eq_u32_e32 vcc, 1, v0
	s_waitcnt vmcnt(1)
	v_cndmask_b32_e32 v14, v2, v3, vcc
	v_cmp_eq_u32_e32 vcc, 2, v0
	v_cndmask_b32_e32 v14, v14, v4, vcc
	v_cmp_eq_u32_e32 vcc, 3, v0
	;; [unrolled: 2-line block ×6, first 2 shown]
	ds_read_b32 v15, v25
	v_cndmask_b32_e32 v14, v14, v9, vcc
	v_cmp_eq_u32_e32 vcc, 8, v0
	v_cndmask_b32_e32 v14, v14, v10, vcc
	v_cmp_eq_u32_e32 vcc, 9, v0
	v_cndmask_b32_e32 v14, v14, v11, vcc
	v_cmp_eq_u32_e32 vcc, 10, v0
	s_waitcnt vmcnt(0)
	v_cndmask_b32_e32 v14, v14, v12, vcc
	s_waitcnt lgkmcnt(0)
	v_mul_f32_e32 v16, v14, v15
	s_cbranch_execz .LBB74_202
	s_branch .LBB74_203
.LBB74_201:
                                        ; implicit-def: $vgpr16
.LBB74_202:
	ds_read_b32 v16, v25
.LBB74_203:
	v_cmp_ne_u32_e32 vcc, 6, v0
	s_and_saveexec_b64 s[14:15], vcc
	s_cbranch_execz .LBB74_207
; %bb.204:
	v_lshl_add_u32 v17, v0, 2, 52
	s_mov_b64 s[16:17], 0
	v_pk_mov_b32 v[14:15], v[0:1], v[0:1] op_sel:[0,1]
.LBB74_205:                             ; =>This Inner Loop Header: Depth=1
	v_add_co_u32_e32 v14, vcc, 1, v14
	v_addc_co_u32_e32 v15, vcc, 0, v15, vcc
	v_cmp_eq_u32_e32 vcc, 1, v14
	s_waitcnt vmcnt(1)
	v_cndmask_b32_e32 v19, v2, v3, vcc
	v_cmp_lt_u32_e32 vcc, 5, v14
	v_cmp_eq_u32_e64 s[8:9], 2, v14
	v_cndmask_b32_e64 v19, v19, v4, s[8:9]
	s_or_b64 s[16:17], vcc, s[16:17]
	v_cmp_eq_u32_e32 vcc, 3, v14
	v_cndmask_b32_e32 v19, v19, v5, vcc
	v_cmp_eq_u32_e32 vcc, 4, v14
	v_cndmask_b32_e32 v19, v19, v6, vcc
	;; [unrolled: 2-line block ×3, first 2 shown]
	v_cmp_eq_u32_e32 vcc, 6, v14
	ds_read_b32 v18, v17
	v_cndmask_b32_e32 v19, v19, v8, vcc
	v_cmp_eq_u32_e32 vcc, 7, v14
	v_cndmask_b32_e32 v19, v19, v9, vcc
	v_cmp_eq_u32_e32 vcc, 8, v14
	;; [unrolled: 2-line block ×4, first 2 shown]
	s_waitcnt vmcnt(0)
	v_cndmask_b32_e32 v19, v19, v12, vcc
	v_add_u32_e32 v17, 4, v17
	s_waitcnt lgkmcnt(0)
	v_fmac_f32_e32 v16, v19, v18
	s_andn2_b64 exec, exec, s[16:17]
	s_cbranch_execnz .LBB74_205
; %bb.206:
	s_or_b64 exec, exec, s[16:17]
.LBB74_207:
	s_or_b64 exec, exec, s[14:15]
	v_mov_b32_e32 v9, 0
	ds_read_b32 v9, v9 offset:28
	s_waitcnt lgkmcnt(0)
	v_mul_f32_e32 v9, v16, v9
.LBB74_208:
	s_or_b64 exec, exec, s[12:13]
	v_cmp_gt_u32_e32 vcc, 8, v0
	s_waitcnt vmcnt(3)
	ds_write_b32 v25, v10
	s_waitcnt lgkmcnt(0)
	; wave barrier
	s_waitcnt lgkmcnt(0)
	s_and_saveexec_b64 s[12:13], vcc
	s_cbranch_execz .LBB74_218
; %bb.209:
	s_and_b64 vcc, exec, s[2:3]
	s_cbranch_vccnz .LBB74_211
; %bb.210:
	v_cmp_eq_u32_e32 vcc, 1, v0
	s_waitcnt vmcnt(1)
	v_cndmask_b32_e32 v14, v2, v3, vcc
	v_cmp_eq_u32_e32 vcc, 2, v0
	v_cndmask_b32_e32 v14, v14, v4, vcc
	v_cmp_eq_u32_e32 vcc, 3, v0
	;; [unrolled: 2-line block ×6, first 2 shown]
	ds_read_b32 v15, v25
	v_cndmask_b32_e32 v14, v14, v9, vcc
	v_cmp_eq_u32_e32 vcc, 8, v0
	v_cndmask_b32_e32 v14, v14, v10, vcc
	v_cmp_eq_u32_e32 vcc, 9, v0
	v_cndmask_b32_e32 v14, v14, v11, vcc
	v_cmp_eq_u32_e32 vcc, 10, v0
	s_waitcnt vmcnt(0)
	v_cndmask_b32_e32 v14, v14, v12, vcc
	s_waitcnt lgkmcnt(0)
	v_mul_f32_e32 v16, v14, v15
	s_cbranch_execz .LBB74_212
	s_branch .LBB74_213
.LBB74_211:
                                        ; implicit-def: $vgpr16
.LBB74_212:
	ds_read_b32 v16, v25
.LBB74_213:
	v_cmp_ne_u32_e32 vcc, 7, v0
	s_and_saveexec_b64 s[14:15], vcc
	s_cbranch_execz .LBB74_217
; %bb.214:
	v_lshl_add_u32 v17, v0, 2, 52
	s_mov_b64 s[16:17], 0
	v_pk_mov_b32 v[14:15], v[0:1], v[0:1] op_sel:[0,1]
.LBB74_215:                             ; =>This Inner Loop Header: Depth=1
	v_add_co_u32_e32 v14, vcc, 1, v14
	v_addc_co_u32_e32 v15, vcc, 0, v15, vcc
	v_cmp_eq_u32_e32 vcc, 1, v14
	s_waitcnt vmcnt(1)
	v_cndmask_b32_e32 v19, v2, v3, vcc
	v_cmp_lt_u32_e32 vcc, 6, v14
	v_cmp_eq_u32_e64 s[8:9], 2, v14
	v_cndmask_b32_e64 v19, v19, v4, s[8:9]
	s_or_b64 s[16:17], vcc, s[16:17]
	v_cmp_eq_u32_e32 vcc, 3, v14
	v_cndmask_b32_e32 v19, v19, v5, vcc
	v_cmp_eq_u32_e32 vcc, 4, v14
	v_cndmask_b32_e32 v19, v19, v6, vcc
	;; [unrolled: 2-line block ×3, first 2 shown]
	v_cmp_eq_u32_e32 vcc, 6, v14
	ds_read_b32 v18, v17
	v_cndmask_b32_e32 v19, v19, v8, vcc
	v_cmp_eq_u32_e32 vcc, 7, v14
	v_cndmask_b32_e32 v19, v19, v9, vcc
	v_cmp_eq_u32_e32 vcc, 8, v14
	v_cndmask_b32_e32 v19, v19, v10, vcc
	v_cmp_eq_u32_e32 vcc, 9, v14
	v_cndmask_b32_e32 v19, v19, v11, vcc
	v_cmp_eq_u32_e32 vcc, 10, v14
	s_waitcnt vmcnt(0)
	v_cndmask_b32_e32 v19, v19, v12, vcc
	v_add_u32_e32 v17, 4, v17
	s_waitcnt lgkmcnt(0)
	v_fmac_f32_e32 v16, v19, v18
	s_andn2_b64 exec, exec, s[16:17]
	s_cbranch_execnz .LBB74_215
; %bb.216:
	s_or_b64 exec, exec, s[16:17]
.LBB74_217:
	s_or_b64 exec, exec, s[14:15]
	v_mov_b32_e32 v10, 0
	ds_read_b32 v10, v10 offset:32
	s_waitcnt lgkmcnt(0)
	v_mul_f32_e32 v10, v16, v10
.LBB74_218:
	s_or_b64 exec, exec, s[12:13]
	v_cmp_gt_u32_e64 s[8:9], 9, v0
	s_waitcnt vmcnt(2)
	ds_write_b32 v25, v11
	s_waitcnt lgkmcnt(0)
	; wave barrier
	s_waitcnt lgkmcnt(0)
	s_and_saveexec_b64 s[12:13], s[8:9]
	s_cbranch_execz .LBB74_240
; %bb.219:
	s_and_b64 vcc, exec, s[2:3]
	s_cbranch_vccnz .LBB74_221
; %bb.220:
	v_cmp_eq_u32_e32 vcc, 1, v0
	s_waitcnt vmcnt(1)
	v_cndmask_b32_e32 v14, v2, v3, vcc
	v_cmp_eq_u32_e32 vcc, 2, v0
	v_cndmask_b32_e32 v14, v14, v4, vcc
	v_cmp_eq_u32_e32 vcc, 3, v0
	;; [unrolled: 2-line block ×6, first 2 shown]
	ds_read_b32 v15, v25
	v_cndmask_b32_e32 v14, v14, v9, vcc
	v_cmp_eq_u32_e32 vcc, 8, v0
	v_cndmask_b32_e32 v14, v14, v10, vcc
	v_cmp_eq_u32_e32 vcc, 9, v0
	;; [unrolled: 2-line block ×3, first 2 shown]
	s_waitcnt vmcnt(0)
	v_cndmask_b32_e32 v14, v14, v12, vcc
	s_waitcnt lgkmcnt(0)
	v_mul_f32_e32 v14, v14, v15
	s_cbranch_execz .LBB74_222
	s_branch .LBB74_223
.LBB74_221:
                                        ; implicit-def: $vgpr14
.LBB74_222:
	ds_read_b32 v14, v25
.LBB74_223:
	v_cmp_ne_u32_e32 vcc, 8, v0
	s_and_saveexec_b64 s[14:15], vcc
	s_cbranch_execz .LBB74_239
; %bb.224:
	v_cmp_eq_u32_e32 vcc, 1, v13
	s_waitcnt vmcnt(1)
	v_cndmask_b32_e32 v15, v2, v3, vcc
	v_cmp_eq_u32_e32 vcc, 2, v13
	v_cndmask_b32_e32 v15, v15, v4, vcc
	v_cmp_eq_u32_e32 vcc, 3, v13
	;; [unrolled: 2-line block ×6, first 2 shown]
	ds_read_b32 v16, v25 offset:4
	v_cndmask_b32_e32 v15, v15, v9, vcc
	v_cmp_eq_u32_e32 vcc, 8, v13
	v_cndmask_b32_e32 v15, v15, v10, vcc
	v_cmp_eq_u32_e32 vcc, 9, v13
	;; [unrolled: 2-line block ×3, first 2 shown]
	s_waitcnt vmcnt(0)
	v_cndmask_b32_e32 v13, v15, v12, vcc
	s_waitcnt lgkmcnt(0)
	v_fmac_f32_e32 v14, v13, v16
	s_and_saveexec_b64 s[16:17], s[10:11]
	s_cbranch_execz .LBB74_238
; %bb.225:
	v_add_u32_e32 v13, 2, v0
	v_cmp_eq_u32_e32 vcc, 1, v13
	v_cndmask_b32_e32 v15, v2, v3, vcc
	v_cmp_eq_u32_e32 vcc, 2, v13
	v_cndmask_b32_e32 v15, v15, v4, vcc
	v_cmp_eq_u32_e32 vcc, 3, v13
	v_cndmask_b32_e32 v15, v15, v5, vcc
	v_cmp_eq_u32_e32 vcc, 4, v13
	v_cndmask_b32_e32 v15, v15, v6, vcc
	v_cmp_eq_u32_e32 vcc, 5, v13
	v_cndmask_b32_e32 v15, v15, v7, vcc
	v_cmp_eq_u32_e32 vcc, 6, v13
	v_cndmask_b32_e32 v15, v15, v8, vcc
	v_cmp_eq_u32_e32 vcc, 7, v13
	ds_read_b32 v16, v25 offset:8
	v_cndmask_b32_e32 v15, v15, v9, vcc
	v_cmp_eq_u32_e32 vcc, 8, v13
	v_cndmask_b32_e32 v15, v15, v10, vcc
	v_cmp_eq_u32_e32 vcc, 9, v13
	v_cndmask_b32_e32 v15, v15, v11, vcc
	v_cmp_eq_u32_e32 vcc, 10, v13
	v_cndmask_b32_e32 v13, v15, v12, vcc
	s_waitcnt lgkmcnt(0)
	v_fmac_f32_e32 v14, v13, v16
	v_cmp_ne_u32_e32 vcc, 6, v0
	s_and_saveexec_b64 s[10:11], vcc
	s_cbranch_execz .LBB74_237
; %bb.226:
	v_add_u32_e32 v13, 3, v0
	v_cmp_eq_u32_e32 vcc, 1, v13
	v_cndmask_b32_e32 v15, v2, v3, vcc
	v_cmp_eq_u32_e32 vcc, 2, v13
	v_cndmask_b32_e32 v15, v15, v4, vcc
	v_cmp_eq_u32_e32 vcc, 3, v13
	v_cndmask_b32_e32 v15, v15, v5, vcc
	v_cmp_eq_u32_e32 vcc, 4, v13
	v_cndmask_b32_e32 v15, v15, v6, vcc
	v_cmp_eq_u32_e32 vcc, 5, v13
	v_cndmask_b32_e32 v15, v15, v7, vcc
	v_cmp_eq_u32_e32 vcc, 6, v13
	v_cndmask_b32_e32 v15, v15, v8, vcc
	v_cmp_eq_u32_e32 vcc, 7, v13
	ds_read_b32 v16, v25 offset:12
	v_cndmask_b32_e32 v15, v15, v9, vcc
	v_cmp_eq_u32_e32 vcc, 8, v13
	v_cndmask_b32_e32 v15, v15, v10, vcc
	v_cmp_eq_u32_e32 vcc, 9, v13
	v_cndmask_b32_e32 v15, v15, v11, vcc
	v_cmp_eq_u32_e32 vcc, 10, v13
	v_cndmask_b32_e32 v13, v15, v12, vcc
	s_waitcnt lgkmcnt(0)
	v_fmac_f32_e32 v14, v13, v16
	s_and_saveexec_b64 s[18:19], s[6:7]
	s_cbranch_execz .LBB74_236
; %bb.227:
	v_add_u32_e32 v13, 4, v0
	v_cmp_eq_u32_e32 vcc, 1, v13
	v_cndmask_b32_e32 v15, v2, v3, vcc
	v_cmp_eq_u32_e32 vcc, 2, v13
	v_cndmask_b32_e32 v15, v15, v4, vcc
	v_cmp_eq_u32_e32 vcc, 3, v13
	v_cndmask_b32_e32 v15, v15, v5, vcc
	v_cmp_eq_u32_e32 vcc, 4, v13
	v_cndmask_b32_e32 v15, v15, v6, vcc
	v_cmp_eq_u32_e32 vcc, 5, v13
	v_cndmask_b32_e32 v15, v15, v7, vcc
	v_cmp_eq_u32_e32 vcc, 6, v13
	v_cndmask_b32_e32 v15, v15, v8, vcc
	v_cmp_eq_u32_e32 vcc, 7, v13
	ds_read_b32 v16, v25 offset:16
	v_cndmask_b32_e32 v15, v15, v9, vcc
	v_cmp_eq_u32_e32 vcc, 8, v13
	v_cndmask_b32_e32 v15, v15, v10, vcc
	v_cmp_eq_u32_e32 vcc, 9, v13
	v_cndmask_b32_e32 v15, v15, v11, vcc
	v_cmp_eq_u32_e32 vcc, 10, v13
	v_cndmask_b32_e32 v13, v15, v12, vcc
	s_waitcnt lgkmcnt(0)
	v_fmac_f32_e32 v14, v13, v16
	v_cmp_ne_u32_e32 vcc, 4, v0
	s_and_saveexec_b64 s[6:7], vcc
	s_cbranch_execz .LBB74_235
; %bb.228:
	v_add_u32_e32 v13, 5, v0
	v_cmp_eq_u32_e32 vcc, 1, v13
	v_cndmask_b32_e32 v15, v2, v3, vcc
	v_cmp_eq_u32_e32 vcc, 2, v13
	v_cndmask_b32_e32 v15, v15, v4, vcc
	v_cmp_eq_u32_e32 vcc, 3, v13
	v_cndmask_b32_e32 v15, v15, v5, vcc
	v_cmp_eq_u32_e32 vcc, 4, v13
	v_cndmask_b32_e32 v15, v15, v6, vcc
	v_cmp_eq_u32_e32 vcc, 5, v13
	v_cndmask_b32_e32 v15, v15, v7, vcc
	v_cmp_eq_u32_e32 vcc, 6, v13
	v_cndmask_b32_e32 v15, v15, v8, vcc
	v_cmp_eq_u32_e32 vcc, 7, v13
	ds_read_b32 v16, v25 offset:20
	v_cndmask_b32_e32 v15, v15, v9, vcc
	v_cmp_eq_u32_e32 vcc, 8, v13
	v_cndmask_b32_e32 v15, v15, v10, vcc
	v_cmp_eq_u32_e32 vcc, 9, v13
	v_cndmask_b32_e32 v15, v15, v11, vcc
	v_cmp_eq_u32_e32 vcc, 10, v13
	;; [unrolled: 55-line block ×3, first 2 shown]
	v_cndmask_b32_e32 v11, v11, v12, vcc
	s_waitcnt lgkmcnt(0)
	v_fmac_f32_e32 v14, v11, v16
	s_and_saveexec_b64 s[22:23], s[0:1]
	s_cbranch_execz .LBB74_232
; %bb.231:
	ds_read_b32 v11, v25 offset:32
	s_waitcnt lgkmcnt(0)
	v_fmac_f32_e32 v14, v10, v11
.LBB74_232:
	s_or_b64 exec, exec, s[22:23]
.LBB74_233:
	s_or_b64 exec, exec, s[4:5]
.LBB74_234:
	s_or_b64 exec, exec, s[20:21]
.LBB74_235:
	s_or_b64 exec, exec, s[6:7]
.LBB74_236:
	s_or_b64 exec, exec, s[18:19]
.LBB74_237:
	s_or_b64 exec, exec, s[10:11]
.LBB74_238:
	s_or_b64 exec, exec, s[16:17]
.LBB74_239:
	s_or_b64 exec, exec, s[14:15]
	v_mov_b32_e32 v11, 0
	ds_read_b32 v11, v11 offset:36
	s_waitcnt lgkmcnt(0)
	v_mul_f32_e32 v11, v14, v11
.LBB74_240:
	s_or_b64 exec, exec, s[12:13]
	v_cmp_ne_u32_e32 vcc, 10, v0
	s_waitcnt vmcnt(0)
	ds_write_b32 v25, v12
	s_waitcnt lgkmcnt(0)
	; wave barrier
	s_waitcnt lgkmcnt(0)
	s_and_saveexec_b64 s[4:5], vcc
	s_cbranch_execz .LBB74_250
; %bb.241:
	s_and_b64 vcc, exec, s[2:3]
	s_cbranch_vccnz .LBB74_243
; %bb.242:
	v_cmp_eq_u32_e32 vcc, 1, v0
	v_cndmask_b32_e32 v13, v2, v3, vcc
	v_cmp_eq_u32_e32 vcc, 2, v0
	v_cndmask_b32_e32 v13, v13, v4, vcc
	;; [unrolled: 2-line block ×6, first 2 shown]
	v_cmp_eq_u32_e32 vcc, 7, v0
	ds_read_b32 v14, v25
	v_cndmask_b32_e32 v13, v13, v9, vcc
	v_cmp_eq_u32_e32 vcc, 8, v0
	v_cndmask_b32_e32 v13, v13, v10, vcc
	v_cmp_eq_u32_e32 vcc, 9, v0
	;; [unrolled: 2-line block ×3, first 2 shown]
	v_cndmask_b32_e32 v13, v13, v12, vcc
	s_waitcnt lgkmcnt(0)
	v_mul_f32_e32 v13, v13, v14
	s_cbranch_execz .LBB74_244
	s_branch .LBB74_245
.LBB74_243:
                                        ; implicit-def: $vgpr13
.LBB74_244:
	ds_read_b32 v13, v25
.LBB74_245:
	s_and_saveexec_b64 s[2:3], s[8:9]
	s_cbranch_execz .LBB74_249
; %bb.246:
	v_lshl_add_u32 v14, v0, 2, 52
	s_mov_b64 s[6:7], 0
.LBB74_247:                             ; =>This Inner Loop Header: Depth=1
	v_add_co_u32_e32 v0, vcc, 1, v0
	v_addc_co_u32_e32 v1, vcc, 0, v1, vcc
	v_cmp_eq_u32_e32 vcc, 1, v0
	v_cndmask_b32_e32 v16, v2, v3, vcc
	v_cmp_lt_u32_e32 vcc, 8, v0
	v_cmp_eq_u32_e64 s[0:1], 2, v0
	v_cndmask_b32_e64 v16, v16, v4, s[0:1]
	s_or_b64 s[6:7], vcc, s[6:7]
	v_cmp_eq_u32_e32 vcc, 3, v0
	v_cndmask_b32_e32 v16, v16, v5, vcc
	v_cmp_eq_u32_e32 vcc, 4, v0
	v_cndmask_b32_e32 v16, v16, v6, vcc
	;; [unrolled: 2-line block ×3, first 2 shown]
	v_cmp_eq_u32_e32 vcc, 6, v0
	ds_read_b32 v15, v14
	v_cndmask_b32_e32 v16, v16, v8, vcc
	v_cmp_eq_u32_e32 vcc, 7, v0
	v_cndmask_b32_e32 v16, v16, v9, vcc
	v_cmp_eq_u32_e32 vcc, 8, v0
	;; [unrolled: 2-line block ×4, first 2 shown]
	v_cndmask_b32_e32 v16, v16, v12, vcc
	v_add_u32_e32 v14, 4, v14
	s_waitcnt lgkmcnt(0)
	v_fmac_f32_e32 v13, v16, v15
	s_andn2_b64 exec, exec, s[6:7]
	s_cbranch_execnz .LBB74_247
; %bb.248:
	s_or_b64 exec, exec, s[6:7]
.LBB74_249:
	s_or_b64 exec, exec, s[2:3]
	v_mov_b32_e32 v0, 0
	ds_read_b32 v0, v0 offset:40
	s_waitcnt lgkmcnt(0)
	v_mul_f32_e32 v12, v13, v0
.LBB74_250:
	s_or_b64 exec, exec, s[4:5]
	v_mov_b32_e32 v24, v12
	v_mov_b32_e32 v23, v11
	;; [unrolled: 1-line block ×11, first 2 shown]
.LBB74_251:
	global_store_dword v[26:27], v14, off
	global_store_dword v[28:29], v15, off
	;; [unrolled: 1-line block ×11, first 2 shown]
.LBB74_252:
	s_endpgm
	.section	.rodata,"a",@progbits
	.p2align	6, 0x0
	.amdhsa_kernel _ZN9rocsolver6v33100L18trti2_kernel_smallILi11EfPKPfEEv13rocblas_fill_17rocblas_diagonal_T1_iil
		.amdhsa_group_segment_fixed_size 92
		.amdhsa_private_segment_fixed_size 0
		.amdhsa_kernarg_size 32
		.amdhsa_user_sgpr_count 6
		.amdhsa_user_sgpr_private_segment_buffer 1
		.amdhsa_user_sgpr_dispatch_ptr 0
		.amdhsa_user_sgpr_queue_ptr 0
		.amdhsa_user_sgpr_kernarg_segment_ptr 1
		.amdhsa_user_sgpr_dispatch_id 0
		.amdhsa_user_sgpr_flat_scratch_init 0
		.amdhsa_user_sgpr_kernarg_preload_length 0
		.amdhsa_user_sgpr_kernarg_preload_offset 0
		.amdhsa_user_sgpr_private_segment_size 0
		.amdhsa_uses_dynamic_stack 0
		.amdhsa_system_sgpr_private_segment_wavefront_offset 0
		.amdhsa_system_sgpr_workgroup_id_x 1
		.amdhsa_system_sgpr_workgroup_id_y 0
		.amdhsa_system_sgpr_workgroup_id_z 0
		.amdhsa_system_sgpr_workgroup_info 0
		.amdhsa_system_vgpr_workitem_id 0
		.amdhsa_next_free_vgpr 64
		.amdhsa_next_free_sgpr 28
		.amdhsa_accum_offset 64
		.amdhsa_reserve_vcc 1
		.amdhsa_reserve_flat_scratch 0
		.amdhsa_float_round_mode_32 0
		.amdhsa_float_round_mode_16_64 0
		.amdhsa_float_denorm_mode_32 3
		.amdhsa_float_denorm_mode_16_64 3
		.amdhsa_dx10_clamp 1
		.amdhsa_ieee_mode 1
		.amdhsa_fp16_overflow 0
		.amdhsa_tg_split 0
		.amdhsa_exception_fp_ieee_invalid_op 0
		.amdhsa_exception_fp_denorm_src 0
		.amdhsa_exception_fp_ieee_div_zero 0
		.amdhsa_exception_fp_ieee_overflow 0
		.amdhsa_exception_fp_ieee_underflow 0
		.amdhsa_exception_fp_ieee_inexact 0
		.amdhsa_exception_int_div_zero 0
	.end_amdhsa_kernel
	.section	.text._ZN9rocsolver6v33100L18trti2_kernel_smallILi11EfPKPfEEv13rocblas_fill_17rocblas_diagonal_T1_iil,"axG",@progbits,_ZN9rocsolver6v33100L18trti2_kernel_smallILi11EfPKPfEEv13rocblas_fill_17rocblas_diagonal_T1_iil,comdat
.Lfunc_end74:
	.size	_ZN9rocsolver6v33100L18trti2_kernel_smallILi11EfPKPfEEv13rocblas_fill_17rocblas_diagonal_T1_iil, .Lfunc_end74-_ZN9rocsolver6v33100L18trti2_kernel_smallILi11EfPKPfEEv13rocblas_fill_17rocblas_diagonal_T1_iil
                                        ; -- End function
	.section	.AMDGPU.csdata,"",@progbits
; Kernel info:
; codeLenInByte = 10736
; NumSgprs: 32
; NumVgprs: 64
; NumAgprs: 0
; TotalNumVgprs: 64
; ScratchSize: 0
; MemoryBound: 0
; FloatMode: 240
; IeeeMode: 1
; LDSByteSize: 92 bytes/workgroup (compile time only)
; SGPRBlocks: 3
; VGPRBlocks: 7
; NumSGPRsForWavesPerEU: 32
; NumVGPRsForWavesPerEU: 64
; AccumOffset: 64
; Occupancy: 8
; WaveLimiterHint : 1
; COMPUTE_PGM_RSRC2:SCRATCH_EN: 0
; COMPUTE_PGM_RSRC2:USER_SGPR: 6
; COMPUTE_PGM_RSRC2:TRAP_HANDLER: 0
; COMPUTE_PGM_RSRC2:TGID_X_EN: 1
; COMPUTE_PGM_RSRC2:TGID_Y_EN: 0
; COMPUTE_PGM_RSRC2:TGID_Z_EN: 0
; COMPUTE_PGM_RSRC2:TIDIG_COMP_CNT: 0
; COMPUTE_PGM_RSRC3_GFX90A:ACCUM_OFFSET: 15
; COMPUTE_PGM_RSRC3_GFX90A:TG_SPLIT: 0
	.section	.text._ZN9rocsolver6v33100L18trti2_kernel_smallILi12EfPKPfEEv13rocblas_fill_17rocblas_diagonal_T1_iil,"axG",@progbits,_ZN9rocsolver6v33100L18trti2_kernel_smallILi12EfPKPfEEv13rocblas_fill_17rocblas_diagonal_T1_iil,comdat
	.globl	_ZN9rocsolver6v33100L18trti2_kernel_smallILi12EfPKPfEEv13rocblas_fill_17rocblas_diagonal_T1_iil ; -- Begin function _ZN9rocsolver6v33100L18trti2_kernel_smallILi12EfPKPfEEv13rocblas_fill_17rocblas_diagonal_T1_iil
	.p2align	8
	.type	_ZN9rocsolver6v33100L18trti2_kernel_smallILi12EfPKPfEEv13rocblas_fill_17rocblas_diagonal_T1_iil,@function
_ZN9rocsolver6v33100L18trti2_kernel_smallILi12EfPKPfEEv13rocblas_fill_17rocblas_diagonal_T1_iil: ; @_ZN9rocsolver6v33100L18trti2_kernel_smallILi12EfPKPfEEv13rocblas_fill_17rocblas_diagonal_T1_iil
; %bb.0:
	v_cmp_gt_u32_e32 vcc, 12, v0
	s_and_saveexec_b64 s[0:1], vcc
	s_cbranch_execz .LBB75_278
; %bb.1:
	s_load_dwordx2 s[0:1], s[4:5], 0x10
	s_load_dwordx4 s[24:27], s[4:5], 0x0
	s_ashr_i32 s7, s6, 31
	s_lshl_b64 s[2:3], s[6:7], 3
	v_lshlrev_b32_e32 v14, 2, v0
	s_waitcnt lgkmcnt(0)
	s_ashr_i32 s5, s0, 31
	s_add_u32 s2, s26, s2
	s_addc_u32 s3, s27, s3
	s_load_dwordx2 s[2:3], s[2:3], 0x0
	s_mov_b32 s4, s0
	s_lshl_b64 s[4:5], s[4:5], 2
	v_mov_b32_e32 v15, -1.0
	s_waitcnt lgkmcnt(0)
	s_add_u32 s2, s2, s4
	s_addc_u32 s3, s3, s5
	v_mov_b32_e32 v1, s3
	v_add_co_u32_e32 v26, vcc, s2, v14
	s_ashr_i32 s5, s1, 31
	s_mov_b32 s4, s1
	s_add_i32 s0, s1, s1
	v_addc_co_u32_e32 v27, vcc, 0, v1, vcc
	s_lshl_b64 s[4:5], s[4:5], 2
	v_add_u32_e32 v2, s0, v0
	v_mov_b32_e32 v1, s5
	v_add_co_u32_e32 v28, vcc, s4, v26
	v_ashrrev_i32_e32 v3, 31, v2
	v_addc_co_u32_e32 v29, vcc, v27, v1, vcc
	v_lshlrev_b64 v[4:5], 2, v[2:3]
	v_add_u32_e32 v2, s1, v2
	v_mov_b32_e32 v1, s3
	v_add_co_u32_e32 v30, vcc, s2, v4
	v_ashrrev_i32_e32 v3, 31, v2
	v_addc_co_u32_e32 v31, vcc, v1, v5, vcc
	v_lshlrev_b64 v[4:5], 2, v[2:3]
	v_add_u32_e32 v2, s1, v2
	v_add_co_u32_e32 v32, vcc, s2, v4
	v_ashrrev_i32_e32 v3, 31, v2
	v_addc_co_u32_e32 v33, vcc, v1, v5, vcc
	v_lshlrev_b64 v[4:5], 2, v[2:3]
	v_add_u32_e32 v2, s1, v2
	;; [unrolled: 5-line block ×6, first 2 shown]
	v_add_co_u32_e32 v42, vcc, s2, v4
	v_ashrrev_i32_e32 v13, 31, v12
	v_addc_co_u32_e32 v43, vcc, v1, v5, vcc
	v_lshlrev_b64 v[16:17], 2, v[12:13]
	global_load_dword v3, v[28:29], off
	global_load_dword v4, v[30:31], off
	;; [unrolled: 1-line block ×8, first 2 shown]
	v_add_co_u32_e32 v44, vcc, s2, v16
	v_add_u32_e32 v16, s1, v12
	v_addc_co_u32_e32 v45, vcc, v1, v17, vcc
	v_ashrrev_i32_e32 v17, 31, v16
	v_lshlrev_b64 v[12:13], 2, v[16:17]
	v_add_u32_e32 v16, s1, v16
	v_add_co_u32_e32 v46, vcc, s2, v12
	v_ashrrev_i32_e32 v17, 31, v16
	v_addc_co_u32_e32 v47, vcc, v1, v13, vcc
	v_lshlrev_b64 v[16:17], 2, v[16:17]
	v_add_co_u32_e32 v48, vcc, s2, v16
	global_load_dword v11, v[44:45], off
	global_load_dword v12, v[46:47], off
	v_addc_co_u32_e32 v49, vcc, v1, v17, vcc
	global_load_dword v2, v14, s[2:3]
	global_load_dword v13, v[48:49], off
	s_cmpk_lg_i32 s25, 0x84
	v_mov_b32_e32 v1, 0
	s_cselect_b64 s[26:27], -1, 0
	s_cmpk_eq_i32 s25, 0x84
	v_cmp_eq_u32_e64 s[0:1], 0, v0
	s_cbranch_scc1 .LBB75_3
; %bb.2:
	v_cmp_eq_u32_e64 s[2:3], 1, v0
	s_waitcnt vmcnt(1)
	v_cndmask_b32_e64 v15, v2, v3, s[2:3]
	v_cmp_eq_u32_e64 s[4:5], 2, v0
	v_cndmask_b32_e64 v15, v15, v4, s[4:5]
	v_cmp_eq_u32_e64 s[6:7], 3, v0
	;; [unrolled: 2-line block ×10, first 2 shown]
	s_waitcnt vmcnt(0)
	v_cndmask_b32_e64 v15, v15, v13, s[22:23]
	v_div_scale_f32 v16, s[28:29], v15, v15, 1.0
	v_rcp_f32_e32 v17, v16
	v_fma_f32 v18, -v16, v17, 1.0
	v_fmac_f32_e32 v17, v18, v17
	v_div_scale_f32 v18, vcc, 1.0, v15, 1.0
	v_mul_f32_e32 v19, v18, v17
	v_fma_f32 v20, -v16, v19, v18
	v_fmac_f32_e32 v19, v20, v17
	v_fma_f32 v16, -v16, v19, v18
	v_div_fmas_f32 v16, v16, v17, v19
	v_div_fixup_f32 v15, v16, v15, 1.0
	v_cndmask_b32_e64 v13, v13, v15, s[22:23]
	v_cndmask_b32_e64 v12, v12, v15, s[20:21]
	;; [unrolled: 1-line block ×12, first 2 shown]
	v_xor_b32_e32 v15, 0x80000000, v15
.LBB75_3:
	s_cmpk_eq_i32 s24, 0x79
	v_add_u32_e32 v53, 48, v14
	ds_write_b32 v14, v15
	s_cbranch_scc1 .LBB75_7
; %bb.4:
	s_waitcnt vmcnt(0)
	v_pk_mov_b32 v[24:25], v[12:13], v[12:13] op_sel:[0,1]
	v_cmp_eq_u32_e64 s[0:1], 11, v0
	v_pk_mov_b32 v[22:23], v[10:11], v[10:11] op_sel:[0,1]
	v_pk_mov_b32 v[20:21], v[8:9], v[8:9] op_sel:[0,1]
	;; [unrolled: 1-line block ×5, first 2 shown]
	ds_write_b32 v53, v12
	s_waitcnt lgkmcnt(0)
	; wave barrier
	s_waitcnt lgkmcnt(0)
	s_and_saveexec_b64 s[2:3], s[0:1]
	s_cbranch_execz .LBB75_11
; %bb.5:
	s_and_b64 vcc, exec, s[26:27]
	s_cbranch_vccz .LBB75_8
; %bb.6:
	v_cmp_eq_u32_e32 vcc, 1, v0
	v_cndmask_b32_e32 v14, v2, v3, vcc
	v_cmp_eq_u32_e32 vcc, 2, v0
	v_cndmask_b32_e32 v14, v14, v4, vcc
	;; [unrolled: 2-line block ×7, first 2 shown]
	v_cmp_eq_u32_e32 vcc, 8, v0
	ds_read_b32 v15, v53
	v_cndmask_b32_e32 v14, v14, v10, vcc
	v_cmp_eq_u32_e32 vcc, 9, v0
	v_cndmask_b32_e32 v14, v14, v11, vcc
	v_cmp_eq_u32_e32 vcc, 10, v0
	;; [unrolled: 2-line block ×3, first 2 shown]
	v_cndmask_b32_e32 v14, v14, v13, vcc
	s_waitcnt lgkmcnt(0)
	v_mul_f32_e32 v14, v14, v15
	s_cbranch_execz .LBB75_9
	s_branch .LBB75_10
.LBB75_7:
                                        ; implicit-def: $vgpr14_vgpr15_vgpr16_vgpr17_vgpr18_vgpr19_vgpr20_vgpr21_vgpr22_vgpr23_vgpr24_vgpr25
	s_cbranch_execnz .LBB75_162
	s_branch .LBB75_277
.LBB75_8:
                                        ; implicit-def: $vgpr14
.LBB75_9:
	ds_read_b32 v14, v53
.LBB75_10:
	v_mov_b32_e32 v15, 0
	ds_read_b32 v15, v15 offset:40
	s_waitcnt lgkmcnt(0)
	v_mul_f32_e32 v50, v14, v15
	v_pk_mov_b32 v[24:25], v[12:13], v[12:13] op_sel:[0,1]
	v_pk_mov_b32 v[22:23], v[10:11], v[10:11] op_sel:[0,1]
	;; [unrolled: 1-line block ×6, first 2 shown]
	v_mov_b32_e32 v24, v50
.LBB75_11:
	s_or_b64 exec, exec, s[2:3]
	v_cmp_lt_u32_e64 s[2:3], 9, v0
	ds_write_b32 v53, v23
	s_waitcnt lgkmcnt(0)
	; wave barrier
	s_waitcnt lgkmcnt(0)
	s_and_saveexec_b64 s[4:5], s[2:3]
	s_cbranch_execz .LBB75_17
; %bb.12:
	s_andn2_b64 vcc, exec, s[26:27]
	s_cbranch_vccnz .LBB75_14
; %bb.13:
	v_cmp_eq_u32_e32 vcc, 1, v0
	v_cndmask_b32_e32 v50, v14, v15, vcc
	v_cmp_eq_u32_e32 vcc, 2, v0
	v_cndmask_b32_e32 v50, v50, v16, vcc
	;; [unrolled: 2-line block ×9, first 2 shown]
	ds_read_b32 v50, v53
	v_cmp_eq_u32_e32 vcc, 10, v0
	v_cndmask_b32_e32 v23, v23, v24, vcc
	v_cmp_eq_u32_e32 vcc, 11, v0
	v_cndmask_b32_e32 v23, v23, v25, vcc
	s_waitcnt lgkmcnt(0)
	v_mul_f32_e32 v23, v23, v50
	s_cbranch_execz .LBB75_15
	s_branch .LBB75_16
.LBB75_14:
                                        ; implicit-def: $vgpr23
.LBB75_15:
	ds_read_b32 v23, v53
.LBB75_16:
	v_mov_b32_e32 v50, 0
	ds_read2_b32 v[50:51], v50 offset0:9 offset1:22
	s_waitcnt lgkmcnt(0)
	v_fma_f32 v51, v24, v51, v23
	v_cndmask_b32_e64 v23, v23, v51, s[0:1]
	v_mul_f32_e32 v23, v23, v50
.LBB75_17:
	s_or_b64 exec, exec, s[4:5]
	v_cmp_lt_u32_e64 s[0:1], 8, v0
	ds_write_b32 v53, v22
	s_waitcnt lgkmcnt(0)
	; wave barrier
	s_waitcnt lgkmcnt(0)
	s_and_saveexec_b64 s[4:5], s[0:1]
	s_cbranch_execz .LBB75_33
; %bb.18:
	s_andn2_b64 vcc, exec, s[26:27]
	s_cbranch_vccnz .LBB75_20
; %bb.19:
	v_cmp_eq_u32_e32 vcc, 1, v0
	v_cndmask_b32_e32 v50, v14, v15, vcc
	v_cmp_eq_u32_e32 vcc, 2, v0
	v_cndmask_b32_e32 v50, v50, v16, vcc
	;; [unrolled: 2-line block ×7, first 2 shown]
	v_cmp_eq_u32_e32 vcc, 8, v0
	ds_read_b32 v51, v53
	v_cndmask_b32_e32 v50, v50, v22, vcc
	v_cmp_eq_u32_e32 vcc, 9, v0
	v_cndmask_b32_e32 v50, v50, v23, vcc
	v_cmp_eq_u32_e32 vcc, 10, v0
	;; [unrolled: 2-line block ×3, first 2 shown]
	v_cndmask_b32_e32 v50, v50, v25, vcc
	s_waitcnt lgkmcnt(0)
	v_mul_f32_e32 v54, v50, v51
	s_cbranch_execz .LBB75_21
	s_branch .LBB75_22
.LBB75_20:
                                        ; implicit-def: $vgpr54
.LBB75_21:
	ds_read_b32 v54, v53
.LBB75_22:
	s_and_saveexec_b64 s[6:7], s[2:3]
	s_cbranch_execz .LBB75_32
; %bb.23:
	v_add_u32_e32 v50, -10, v0
	v_add_u32_e32 v51, -9, v0
	v_cmp_lt_u32_e32 vcc, 6, v50
	v_mov_b32_e32 v50, 9
	s_and_saveexec_b64 s[2:3], vcc
	s_cbranch_execz .LBB75_27
; %bb.24:
	v_and_b32_e32 v50, -8, v51
	v_sub_u32_e32 v52, 0, v50
	s_mov_b64 s[8:9], 16
	s_movk_i32 s12, 0x54
	s_mov_b64 s[10:11], 0
.LBB75_25:                              ; =>This Inner Loop Header: Depth=1
	s_add_i32 s13, s8, -7
	v_mov_b32_e32 v50, s12
	s_add_i32 s14, s8, -6
	s_set_gpr_idx_on s13, gpr_idx(SRC0)
	v_mov_b32_e32 v55, v14
	s_set_gpr_idx_off
	ds_read2_b32 v[56:57], v50 offset1:1
	s_add_i32 s15, s8, -5
	s_set_gpr_idx_on s14, gpr_idx(SRC0)
	v_mov_b32_e32 v62, v14
	s_set_gpr_idx_off
	s_add_i32 s16, s8, -4
	s_set_gpr_idx_on s15, gpr_idx(SRC0)
	v_mov_b32_e32 v63, v14
	s_set_gpr_idx_off
	ds_read2_b32 v[58:59], v50 offset0:2 offset1:3
	s_add_i32 s17, s8, -3
	s_set_gpr_idx_on s16, gpr_idx(SRC0)
	v_mov_b32_e32 v64, v14
	s_set_gpr_idx_off
	s_add_i32 s18, s8, -2
	s_set_gpr_idx_on s17, gpr_idx(SRC0)
	v_mov_b32_e32 v65, v14
	s_set_gpr_idx_off
	ds_read2_b32 v[60:61], v50 offset0:4 offset1:5
	s_add_i32 s19, s8, -1
	s_waitcnt lgkmcnt(2)
	v_fmac_f32_e32 v54, v55, v56
	s_set_gpr_idx_on s18, gpr_idx(SRC0)
	v_mov_b32_e32 v55, v14
	s_set_gpr_idx_off
	v_fmac_f32_e32 v54, v62, v57
	s_set_gpr_idx_on s19, gpr_idx(SRC0)
	v_mov_b32_e32 v62, v14
	s_set_gpr_idx_off
	ds_read2_b32 v[56:57], v50 offset0:6 offset1:7
	s_waitcnt lgkmcnt(2)
	v_fmac_f32_e32 v54, v63, v58
	s_set_gpr_idx_on s8, gpr_idx(SRC0)
	v_mov_b32_e32 v58, v14
	s_set_gpr_idx_off
	v_fmac_f32_e32 v54, v64, v59
	s_add_u32 s8, s8, 8
	s_waitcnt lgkmcnt(1)
	v_fmac_f32_e32 v54, v65, v60
	v_add_u32_e32 v50, s8, v52
	v_fmac_f32_e32 v54, v55, v61
	s_addc_u32 s9, s9, 0
	s_add_i32 s12, s12, 32
	s_add_i32 s13, s8, -7
	v_cmp_eq_u32_e32 vcc, 16, v50
	s_waitcnt lgkmcnt(0)
	v_fmac_f32_e32 v54, v62, v56
	v_mov_b32_e32 v50, s13
	s_or_b64 s[10:11], vcc, s[10:11]
	v_fmac_f32_e32 v54, v58, v57
	s_andn2_b64 exec, exec, s[10:11]
	s_cbranch_execnz .LBB75_25
; %bb.26:
	s_or_b64 exec, exec, s[10:11]
.LBB75_27:
	s_or_b64 exec, exec, s[2:3]
	v_and_b32_e32 v52, 7, v51
	v_cmp_ne_u32_e32 vcc, 0, v52
	s_and_saveexec_b64 s[8:9], vcc
	s_cbranch_execz .LBB75_31
; %bb.28:
	v_lshl_add_u32 v55, v50, 2, 48
	v_mov_b32_e32 v51, 0
	s_mov_b64 s[10:11], 0
.LBB75_29:                              ; =>This Inner Loop Header: Depth=1
	v_cmp_eq_u32_e32 vcc, 1, v50
	v_cndmask_b32_e32 v56, v14, v15, vcc
	v_add_u32_e32 v52, -1, v52
	v_cmp_eq_u32_e32 vcc, 2, v50
	v_cndmask_b32_e32 v56, v56, v16, vcc
	v_cmp_eq_u32_e32 vcc, 0, v52
	v_cmp_eq_u32_e64 s[2:3], 3, v50
	v_cndmask_b32_e64 v56, v56, v17, s[2:3]
	s_or_b64 s[10:11], vcc, s[10:11]
	v_cmp_eq_u32_e32 vcc, 4, v50
	v_cndmask_b32_e32 v56, v56, v18, vcc
	v_cmp_eq_u32_e32 vcc, 5, v50
	v_cndmask_b32_e32 v56, v56, v19, vcc
	v_cmp_eq_u32_e32 vcc, 6, v50
	v_cndmask_b32_e32 v56, v56, v20, vcc
	v_cmp_eq_u32_e32 vcc, 7, v50
	ds_read_b32 v57, v55
	v_cndmask_b32_e32 v56, v56, v21, vcc
	v_cmp_eq_u32_e32 vcc, 8, v50
	v_cndmask_b32_e32 v56, v56, v22, vcc
	v_cmp_eq_u32_e32 vcc, 9, v50
	;; [unrolled: 2-line block ×4, first 2 shown]
	v_add_co_u32_e64 v50, s[2:3], 1, v50
	v_cndmask_b32_e32 v56, v56, v25, vcc
	v_add_u32_e32 v55, 4, v55
	v_addc_co_u32_e64 v51, s[2:3], 0, v51, s[2:3]
	s_waitcnt lgkmcnt(0)
	v_fmac_f32_e32 v54, v56, v57
	s_andn2_b64 exec, exec, s[10:11]
	s_cbranch_execnz .LBB75_29
; %bb.30:
	s_or_b64 exec, exec, s[10:11]
.LBB75_31:
	s_or_b64 exec, exec, s[8:9]
.LBB75_32:
	s_or_b64 exec, exec, s[6:7]
	v_mov_b32_e32 v22, 0
	ds_read_b32 v22, v22 offset:32
	s_waitcnt lgkmcnt(0)
	v_mul_f32_e32 v22, v54, v22
.LBB75_33:
	s_or_b64 exec, exec, s[4:5]
	v_cmp_lt_u32_e64 s[2:3], 7, v0
	ds_write_b32 v53, v21
	s_waitcnt lgkmcnt(0)
	; wave barrier
	s_waitcnt lgkmcnt(0)
	s_and_saveexec_b64 s[4:5], s[2:3]
	s_cbranch_execz .LBB75_49
; %bb.34:
	s_andn2_b64 vcc, exec, s[26:27]
	s_cbranch_vccnz .LBB75_36
; %bb.35:
	v_cmp_eq_u32_e32 vcc, 1, v0
	v_cndmask_b32_e32 v50, v14, v15, vcc
	v_cmp_eq_u32_e32 vcc, 2, v0
	v_cndmask_b32_e32 v50, v50, v16, vcc
	;; [unrolled: 2-line block ×7, first 2 shown]
	v_cmp_eq_u32_e32 vcc, 8, v0
	ds_read_b32 v51, v53
	v_cndmask_b32_e32 v50, v50, v22, vcc
	v_cmp_eq_u32_e32 vcc, 9, v0
	v_cndmask_b32_e32 v50, v50, v23, vcc
	v_cmp_eq_u32_e32 vcc, 10, v0
	v_cndmask_b32_e32 v50, v50, v24, vcc
	v_cmp_eq_u32_e32 vcc, 11, v0
	v_cndmask_b32_e32 v50, v50, v25, vcc
	s_waitcnt lgkmcnt(0)
	v_mul_f32_e32 v54, v50, v51
	s_cbranch_execz .LBB75_37
	s_branch .LBB75_38
.LBB75_36:
                                        ; implicit-def: $vgpr54
.LBB75_37:
	ds_read_b32 v54, v53
.LBB75_38:
	s_and_saveexec_b64 s[6:7], s[0:1]
	s_cbranch_execz .LBB75_48
; %bb.39:
	v_add_u32_e32 v50, -9, v0
	v_cmp_lt_u32_e32 vcc, 6, v50
	v_mov_b32_e32 v50, 8
	s_and_saveexec_b64 s[0:1], vcc
	s_cbranch_execz .LBB75_43
; %bb.40:
	v_and_b32_e32 v50, 8, v0
	v_sub_u32_e32 v52, 0, v50
	s_mov_b64 s[8:9], 15
	s_movk_i32 s12, 0x50
	s_mov_b64 s[10:11], 0
.LBB75_41:                              ; =>This Inner Loop Header: Depth=1
	s_add_i32 s13, s8, -7
	v_mov_b32_e32 v50, s12
	s_add_i32 s14, s8, -6
	s_set_gpr_idx_on s13, gpr_idx(SRC0)
	v_mov_b32_e32 v51, v14
	s_set_gpr_idx_off
	s_add_i32 s15, s8, -5
	ds_read_b128 v[56:59], v50
	ds_read_b128 v[60:63], v50 offset:16
	s_set_gpr_idx_on s14, gpr_idx(SRC0)
	v_mov_b32_e32 v50, v14
	s_set_gpr_idx_off
	s_add_i32 s16, s8, -4
	s_set_gpr_idx_on s15, gpr_idx(SRC0)
	v_mov_b32_e32 v55, v14
	s_set_gpr_idx_off
	s_add_i32 s17, s8, -3
	;; [unrolled: 4-line block ×4, first 2 shown]
	s_waitcnt lgkmcnt(1)
	v_fmac_f32_e32 v54, v51, v56
	s_set_gpr_idx_on s18, gpr_idx(SRC0)
	v_mov_b32_e32 v51, v14
	s_set_gpr_idx_off
	v_fmac_f32_e32 v54, v50, v57
	s_set_gpr_idx_on s19, gpr_idx(SRC0)
	v_mov_b32_e32 v56, v14
	s_set_gpr_idx_off
	;; [unrolled: 4-line block ×3, first 2 shown]
	v_fmac_f32_e32 v54, v64, v59
	s_add_u32 s8, s8, 8
	s_waitcnt lgkmcnt(0)
	v_fmac_f32_e32 v54, v65, v60
	v_add_u32_e32 v50, s8, v52
	v_fmac_f32_e32 v54, v51, v61
	s_addc_u32 s9, s9, 0
	s_add_i32 s12, s12, 32
	s_add_i32 s13, s8, -7
	v_cmp_eq_u32_e32 vcc, 7, v50
	v_fmac_f32_e32 v54, v56, v62
	v_mov_b32_e32 v50, s13
	s_or_b64 s[10:11], vcc, s[10:11]
	v_fmac_f32_e32 v54, v55, v63
	s_andn2_b64 exec, exec, s[10:11]
	s_cbranch_execnz .LBB75_41
; %bb.42:
	s_or_b64 exec, exec, s[10:11]
.LBB75_43:
	s_or_b64 exec, exec, s[0:1]
	v_and_b32_e32 v52, 7, v0
	v_cmp_ne_u32_e32 vcc, 0, v52
	s_and_saveexec_b64 s[8:9], vcc
	s_cbranch_execz .LBB75_47
; %bb.44:
	v_lshl_add_u32 v55, v50, 2, 48
	v_mov_b32_e32 v51, 0
	s_mov_b64 s[10:11], 0
.LBB75_45:                              ; =>This Inner Loop Header: Depth=1
	v_cmp_eq_u32_e32 vcc, 1, v50
	v_cndmask_b32_e32 v56, v14, v15, vcc
	v_add_u32_e32 v52, -1, v52
	v_cmp_eq_u32_e32 vcc, 2, v50
	v_cndmask_b32_e32 v56, v56, v16, vcc
	v_cmp_eq_u32_e32 vcc, 0, v52
	v_cmp_eq_u32_e64 s[0:1], 3, v50
	v_cndmask_b32_e64 v56, v56, v17, s[0:1]
	s_or_b64 s[10:11], vcc, s[10:11]
	v_cmp_eq_u32_e32 vcc, 4, v50
	v_cndmask_b32_e32 v56, v56, v18, vcc
	v_cmp_eq_u32_e32 vcc, 5, v50
	v_cndmask_b32_e32 v56, v56, v19, vcc
	;; [unrolled: 2-line block ×3, first 2 shown]
	v_cmp_eq_u32_e32 vcc, 7, v50
	ds_read_b32 v57, v55
	v_cndmask_b32_e32 v56, v56, v21, vcc
	v_cmp_eq_u32_e32 vcc, 8, v50
	v_cndmask_b32_e32 v56, v56, v22, vcc
	v_cmp_eq_u32_e32 vcc, 9, v50
	;; [unrolled: 2-line block ×4, first 2 shown]
	v_add_co_u32_e64 v50, s[0:1], 1, v50
	v_cndmask_b32_e32 v56, v56, v25, vcc
	v_add_u32_e32 v55, 4, v55
	v_addc_co_u32_e64 v51, s[0:1], 0, v51, s[0:1]
	s_waitcnt lgkmcnt(0)
	v_fmac_f32_e32 v54, v56, v57
	s_andn2_b64 exec, exec, s[10:11]
	s_cbranch_execnz .LBB75_45
; %bb.46:
	s_or_b64 exec, exec, s[10:11]
.LBB75_47:
	s_or_b64 exec, exec, s[8:9]
.LBB75_48:
	s_or_b64 exec, exec, s[6:7]
	v_mov_b32_e32 v21, 0
	ds_read_b32 v21, v21 offset:28
	s_waitcnt lgkmcnt(0)
	v_mul_f32_e32 v21, v54, v21
.LBB75_49:
	s_or_b64 exec, exec, s[4:5]
	v_cmp_lt_u32_e64 s[0:1], 6, v0
	ds_write_b32 v53, v20
	s_waitcnt lgkmcnt(0)
	; wave barrier
	s_waitcnt lgkmcnt(0)
	s_and_saveexec_b64 s[4:5], s[0:1]
	s_cbranch_execz .LBB75_65
; %bb.50:
	s_andn2_b64 vcc, exec, s[26:27]
	s_cbranch_vccnz .LBB75_52
; %bb.51:
	v_cmp_eq_u32_e32 vcc, 1, v0
	v_cndmask_b32_e32 v50, v14, v15, vcc
	v_cmp_eq_u32_e32 vcc, 2, v0
	v_cndmask_b32_e32 v50, v50, v16, vcc
	;; [unrolled: 2-line block ×7, first 2 shown]
	v_cmp_eq_u32_e32 vcc, 8, v0
	ds_read_b32 v51, v53
	v_cndmask_b32_e32 v50, v50, v22, vcc
	v_cmp_eq_u32_e32 vcc, 9, v0
	v_cndmask_b32_e32 v50, v50, v23, vcc
	v_cmp_eq_u32_e32 vcc, 10, v0
	;; [unrolled: 2-line block ×3, first 2 shown]
	v_cndmask_b32_e32 v50, v50, v25, vcc
	s_waitcnt lgkmcnt(0)
	v_mul_f32_e32 v54, v50, v51
	s_cbranch_execz .LBB75_53
	s_branch .LBB75_54
.LBB75_52:
                                        ; implicit-def: $vgpr54
.LBB75_53:
	ds_read_b32 v54, v53
.LBB75_54:
	s_and_saveexec_b64 s[6:7], s[2:3]
	s_cbranch_execz .LBB75_64
; %bb.55:
	v_add_u32_e32 v50, -8, v0
	v_add_u32_e32 v51, -7, v0
	v_cmp_lt_u32_e32 vcc, 6, v50
	v_mov_b32_e32 v50, 7
	s_and_saveexec_b64 s[2:3], vcc
	s_cbranch_execz .LBB75_59
; %bb.56:
	v_and_b32_e32 v50, -8, v51
	v_sub_u32_e32 v52, 0, v50
	s_mov_b64 s[8:9], 14
	s_movk_i32 s12, 0x4c
	s_mov_b64 s[10:11], 0
.LBB75_57:                              ; =>This Inner Loop Header: Depth=1
	s_add_i32 s13, s8, -7
	v_mov_b32_e32 v50, s12
	s_add_i32 s14, s8, -6
	s_set_gpr_idx_on s13, gpr_idx(SRC0)
	v_mov_b32_e32 v55, v14
	s_set_gpr_idx_off
	ds_read2_b32 v[56:57], v50 offset1:1
	s_add_i32 s15, s8, -5
	s_set_gpr_idx_on s14, gpr_idx(SRC0)
	v_mov_b32_e32 v62, v14
	s_set_gpr_idx_off
	s_add_i32 s16, s8, -4
	s_set_gpr_idx_on s15, gpr_idx(SRC0)
	v_mov_b32_e32 v63, v14
	s_set_gpr_idx_off
	ds_read2_b32 v[58:59], v50 offset0:2 offset1:3
	s_add_i32 s17, s8, -3
	s_set_gpr_idx_on s16, gpr_idx(SRC0)
	v_mov_b32_e32 v64, v14
	s_set_gpr_idx_off
	s_add_i32 s18, s8, -2
	s_set_gpr_idx_on s17, gpr_idx(SRC0)
	v_mov_b32_e32 v65, v14
	s_set_gpr_idx_off
	ds_read2_b32 v[60:61], v50 offset0:4 offset1:5
	s_add_i32 s19, s8, -1
	s_waitcnt lgkmcnt(2)
	v_fmac_f32_e32 v54, v55, v56
	s_set_gpr_idx_on s18, gpr_idx(SRC0)
	v_mov_b32_e32 v55, v14
	s_set_gpr_idx_off
	v_fmac_f32_e32 v54, v62, v57
	s_set_gpr_idx_on s19, gpr_idx(SRC0)
	v_mov_b32_e32 v62, v14
	s_set_gpr_idx_off
	ds_read2_b32 v[56:57], v50 offset0:6 offset1:7
	s_waitcnt lgkmcnt(2)
	v_fmac_f32_e32 v54, v63, v58
	s_set_gpr_idx_on s8, gpr_idx(SRC0)
	v_mov_b32_e32 v58, v14
	s_set_gpr_idx_off
	v_fmac_f32_e32 v54, v64, v59
	s_add_u32 s8, s8, 8
	s_waitcnt lgkmcnt(1)
	v_fmac_f32_e32 v54, v65, v60
	v_add_u32_e32 v50, s8, v52
	v_fmac_f32_e32 v54, v55, v61
	s_addc_u32 s9, s9, 0
	s_add_i32 s12, s12, 32
	s_add_i32 s13, s8, -7
	v_cmp_eq_u32_e32 vcc, 14, v50
	s_waitcnt lgkmcnt(0)
	v_fmac_f32_e32 v54, v62, v56
	v_mov_b32_e32 v50, s13
	s_or_b64 s[10:11], vcc, s[10:11]
	v_fmac_f32_e32 v54, v58, v57
	s_andn2_b64 exec, exec, s[10:11]
	s_cbranch_execnz .LBB75_57
; %bb.58:
	s_or_b64 exec, exec, s[10:11]
.LBB75_59:
	s_or_b64 exec, exec, s[2:3]
	v_and_b32_e32 v52, 7, v51
	v_cmp_ne_u32_e32 vcc, 0, v52
	s_and_saveexec_b64 s[8:9], vcc
	s_cbranch_execz .LBB75_63
; %bb.60:
	v_lshl_add_u32 v55, v50, 2, 48
	v_mov_b32_e32 v51, 0
	s_mov_b64 s[10:11], 0
.LBB75_61:                              ; =>This Inner Loop Header: Depth=1
	v_cmp_eq_u32_e32 vcc, 1, v50
	v_cndmask_b32_e32 v56, v14, v15, vcc
	v_add_u32_e32 v52, -1, v52
	v_cmp_eq_u32_e32 vcc, 2, v50
	v_cndmask_b32_e32 v56, v56, v16, vcc
	v_cmp_eq_u32_e32 vcc, 0, v52
	v_cmp_eq_u32_e64 s[2:3], 3, v50
	v_cndmask_b32_e64 v56, v56, v17, s[2:3]
	s_or_b64 s[10:11], vcc, s[10:11]
	v_cmp_eq_u32_e32 vcc, 4, v50
	v_cndmask_b32_e32 v56, v56, v18, vcc
	v_cmp_eq_u32_e32 vcc, 5, v50
	v_cndmask_b32_e32 v56, v56, v19, vcc
	;; [unrolled: 2-line block ×3, first 2 shown]
	v_cmp_eq_u32_e32 vcc, 7, v50
	ds_read_b32 v57, v55
	v_cndmask_b32_e32 v56, v56, v21, vcc
	v_cmp_eq_u32_e32 vcc, 8, v50
	v_cndmask_b32_e32 v56, v56, v22, vcc
	v_cmp_eq_u32_e32 vcc, 9, v50
	;; [unrolled: 2-line block ×4, first 2 shown]
	v_add_co_u32_e64 v50, s[2:3], 1, v50
	v_cndmask_b32_e32 v56, v56, v25, vcc
	v_add_u32_e32 v55, 4, v55
	v_addc_co_u32_e64 v51, s[2:3], 0, v51, s[2:3]
	s_waitcnt lgkmcnt(0)
	v_fmac_f32_e32 v54, v56, v57
	s_andn2_b64 exec, exec, s[10:11]
	s_cbranch_execnz .LBB75_61
; %bb.62:
	s_or_b64 exec, exec, s[10:11]
.LBB75_63:
	s_or_b64 exec, exec, s[8:9]
.LBB75_64:
	s_or_b64 exec, exec, s[6:7]
	v_mov_b32_e32 v20, 0
	ds_read_b32 v20, v20 offset:24
	s_waitcnt lgkmcnt(0)
	v_mul_f32_e32 v20, v54, v20
.LBB75_65:
	s_or_b64 exec, exec, s[4:5]
	v_cmp_lt_u32_e64 s[2:3], 5, v0
	ds_write_b32 v53, v19
	s_waitcnt lgkmcnt(0)
	; wave barrier
	s_waitcnt lgkmcnt(0)
	s_and_saveexec_b64 s[4:5], s[2:3]
	s_cbranch_execz .LBB75_81
; %bb.66:
	s_andn2_b64 vcc, exec, s[26:27]
	s_cbranch_vccnz .LBB75_68
; %bb.67:
	v_cmp_eq_u32_e32 vcc, 1, v0
	v_cndmask_b32_e32 v50, v14, v15, vcc
	v_cmp_eq_u32_e32 vcc, 2, v0
	v_cndmask_b32_e32 v50, v50, v16, vcc
	;; [unrolled: 2-line block ×7, first 2 shown]
	v_cmp_eq_u32_e32 vcc, 8, v0
	ds_read_b32 v51, v53
	v_cndmask_b32_e32 v50, v50, v22, vcc
	v_cmp_eq_u32_e32 vcc, 9, v0
	v_cndmask_b32_e32 v50, v50, v23, vcc
	v_cmp_eq_u32_e32 vcc, 10, v0
	;; [unrolled: 2-line block ×3, first 2 shown]
	v_cndmask_b32_e32 v50, v50, v25, vcc
	s_waitcnt lgkmcnt(0)
	v_mul_f32_e32 v54, v50, v51
	s_cbranch_execz .LBB75_69
	s_branch .LBB75_70
.LBB75_68:
                                        ; implicit-def: $vgpr54
.LBB75_69:
	ds_read_b32 v54, v53
.LBB75_70:
	s_and_saveexec_b64 s[6:7], s[0:1]
	s_cbranch_execz .LBB75_80
; %bb.71:
	v_add_u32_e32 v50, -7, v0
	v_add_u32_e32 v51, -6, v0
	v_cmp_lt_u32_e32 vcc, 6, v50
	v_mov_b32_e32 v50, 6
	s_and_saveexec_b64 s[0:1], vcc
	s_cbranch_execz .LBB75_75
; %bb.72:
	v_and_b32_e32 v50, -8, v51
	v_sub_u32_e32 v52, 0, v50
	s_mov_b64 s[8:9], 13
	s_movk_i32 s12, 0x48
	s_mov_b64 s[10:11], 0
.LBB75_73:                              ; =>This Inner Loop Header: Depth=1
	s_add_i32 s13, s8, -7
	v_mov_b32_e32 v50, s12
	s_add_i32 s14, s8, -6
	s_set_gpr_idx_on s13, gpr_idx(SRC0)
	v_mov_b32_e32 v55, v14
	s_set_gpr_idx_off
	ds_read2_b64 v[56:59], v50 offset1:1
	s_add_i32 s15, s8, -5
	s_set_gpr_idx_on s14, gpr_idx(SRC0)
	v_mov_b32_e32 v64, v14
	s_set_gpr_idx_off
	s_add_i32 s16, s8, -4
	s_set_gpr_idx_on s15, gpr_idx(SRC0)
	v_mov_b32_e32 v65, v14
	s_set_gpr_idx_off
	;; [unrolled: 4-line block ×4, first 2 shown]
	ds_read2_b64 v[60:63], v50 offset0:2 offset1:3
	s_add_i32 s19, s8, -1
	s_waitcnt lgkmcnt(1)
	v_fmac_f32_e32 v54, v55, v56
	s_set_gpr_idx_on s18, gpr_idx(SRC0)
	v_mov_b32_e32 v55, v14
	s_set_gpr_idx_off
	v_fmac_f32_e32 v54, v64, v57
	s_set_gpr_idx_on s19, gpr_idx(SRC0)
	v_mov_b32_e32 v56, v14
	s_set_gpr_idx_off
	;; [unrolled: 4-line block ×3, first 2 shown]
	v_fmac_f32_e32 v54, v66, v59
	s_add_u32 s8, s8, 8
	s_waitcnt lgkmcnt(0)
	v_fmac_f32_e32 v54, v67, v60
	v_add_u32_e32 v50, s8, v52
	v_fmac_f32_e32 v54, v55, v61
	s_addc_u32 s9, s9, 0
	s_add_i32 s12, s12, 32
	s_add_i32 s13, s8, -7
	v_cmp_eq_u32_e32 vcc, 13, v50
	v_fmac_f32_e32 v54, v56, v62
	v_mov_b32_e32 v50, s13
	s_or_b64 s[10:11], vcc, s[10:11]
	v_fmac_f32_e32 v54, v57, v63
	s_andn2_b64 exec, exec, s[10:11]
	s_cbranch_execnz .LBB75_73
; %bb.74:
	s_or_b64 exec, exec, s[10:11]
.LBB75_75:
	s_or_b64 exec, exec, s[0:1]
	v_and_b32_e32 v52, 7, v51
	v_cmp_ne_u32_e32 vcc, 0, v52
	s_and_saveexec_b64 s[8:9], vcc
	s_cbranch_execz .LBB75_79
; %bb.76:
	v_lshl_add_u32 v55, v50, 2, 48
	v_mov_b32_e32 v51, 0
	s_mov_b64 s[10:11], 0
.LBB75_77:                              ; =>This Inner Loop Header: Depth=1
	v_cmp_eq_u32_e32 vcc, 1, v50
	v_cndmask_b32_e32 v56, v14, v15, vcc
	v_add_u32_e32 v52, -1, v52
	v_cmp_eq_u32_e32 vcc, 2, v50
	v_cndmask_b32_e32 v56, v56, v16, vcc
	v_cmp_eq_u32_e32 vcc, 0, v52
	v_cmp_eq_u32_e64 s[0:1], 3, v50
	v_cndmask_b32_e64 v56, v56, v17, s[0:1]
	s_or_b64 s[10:11], vcc, s[10:11]
	v_cmp_eq_u32_e32 vcc, 4, v50
	v_cndmask_b32_e32 v56, v56, v18, vcc
	v_cmp_eq_u32_e32 vcc, 5, v50
	v_cndmask_b32_e32 v56, v56, v19, vcc
	;; [unrolled: 2-line block ×3, first 2 shown]
	v_cmp_eq_u32_e32 vcc, 7, v50
	ds_read_b32 v57, v55
	v_cndmask_b32_e32 v56, v56, v21, vcc
	v_cmp_eq_u32_e32 vcc, 8, v50
	v_cndmask_b32_e32 v56, v56, v22, vcc
	v_cmp_eq_u32_e32 vcc, 9, v50
	;; [unrolled: 2-line block ×4, first 2 shown]
	v_add_co_u32_e64 v50, s[0:1], 1, v50
	v_cndmask_b32_e32 v56, v56, v25, vcc
	v_add_u32_e32 v55, 4, v55
	v_addc_co_u32_e64 v51, s[0:1], 0, v51, s[0:1]
	s_waitcnt lgkmcnt(0)
	v_fmac_f32_e32 v54, v56, v57
	s_andn2_b64 exec, exec, s[10:11]
	s_cbranch_execnz .LBB75_77
; %bb.78:
	s_or_b64 exec, exec, s[10:11]
.LBB75_79:
	s_or_b64 exec, exec, s[8:9]
.LBB75_80:
	s_or_b64 exec, exec, s[6:7]
	v_mov_b32_e32 v19, 0
	ds_read_b32 v19, v19 offset:20
	s_waitcnt lgkmcnt(0)
	v_mul_f32_e32 v19, v54, v19
.LBB75_81:
	s_or_b64 exec, exec, s[4:5]
	v_cmp_lt_u32_e64 s[0:1], 4, v0
	ds_write_b32 v53, v18
	s_waitcnt lgkmcnt(0)
	; wave barrier
	s_waitcnt lgkmcnt(0)
	s_and_saveexec_b64 s[4:5], s[0:1]
	s_cbranch_execz .LBB75_97
; %bb.82:
	s_andn2_b64 vcc, exec, s[26:27]
	s_cbranch_vccnz .LBB75_84
; %bb.83:
	v_cmp_eq_u32_e32 vcc, 1, v0
	v_cndmask_b32_e32 v50, v14, v15, vcc
	v_cmp_eq_u32_e32 vcc, 2, v0
	v_cndmask_b32_e32 v50, v50, v16, vcc
	;; [unrolled: 2-line block ×7, first 2 shown]
	v_cmp_eq_u32_e32 vcc, 8, v0
	ds_read_b32 v51, v53
	v_cndmask_b32_e32 v50, v50, v22, vcc
	v_cmp_eq_u32_e32 vcc, 9, v0
	v_cndmask_b32_e32 v50, v50, v23, vcc
	v_cmp_eq_u32_e32 vcc, 10, v0
	;; [unrolled: 2-line block ×3, first 2 shown]
	v_cndmask_b32_e32 v50, v50, v25, vcc
	s_waitcnt lgkmcnt(0)
	v_mul_f32_e32 v54, v50, v51
	s_cbranch_execz .LBB75_85
	s_branch .LBB75_86
.LBB75_84:
                                        ; implicit-def: $vgpr54
.LBB75_85:
	ds_read_b32 v54, v53
.LBB75_86:
	s_and_saveexec_b64 s[6:7], s[2:3]
	s_cbranch_execz .LBB75_96
; %bb.87:
	v_add_u32_e32 v50, -6, v0
	v_add_u32_e32 v51, -5, v0
	v_cmp_lt_u32_e32 vcc, 6, v50
	v_mov_b32_e32 v50, 5
	s_and_saveexec_b64 s[2:3], vcc
	s_cbranch_execz .LBB75_91
; %bb.88:
	v_and_b32_e32 v50, -8, v51
	v_sub_u32_e32 v52, 0, v50
	s_mov_b64 s[8:9], 12
	s_movk_i32 s12, 0x44
	s_mov_b64 s[10:11], 0
.LBB75_89:                              ; =>This Inner Loop Header: Depth=1
	s_add_i32 s13, s8, -7
	v_mov_b32_e32 v50, s12
	s_add_i32 s14, s8, -6
	s_set_gpr_idx_on s13, gpr_idx(SRC0)
	v_mov_b32_e32 v55, v14
	s_set_gpr_idx_off
	ds_read2_b32 v[56:57], v50 offset1:1
	s_add_i32 s15, s8, -5
	s_set_gpr_idx_on s14, gpr_idx(SRC0)
	v_mov_b32_e32 v62, v14
	s_set_gpr_idx_off
	s_add_i32 s16, s8, -4
	s_set_gpr_idx_on s15, gpr_idx(SRC0)
	v_mov_b32_e32 v63, v14
	s_set_gpr_idx_off
	ds_read2_b32 v[58:59], v50 offset0:2 offset1:3
	s_add_i32 s17, s8, -3
	s_set_gpr_idx_on s16, gpr_idx(SRC0)
	v_mov_b32_e32 v64, v14
	s_set_gpr_idx_off
	s_add_i32 s18, s8, -2
	s_set_gpr_idx_on s17, gpr_idx(SRC0)
	v_mov_b32_e32 v65, v14
	s_set_gpr_idx_off
	ds_read2_b32 v[60:61], v50 offset0:4 offset1:5
	s_add_i32 s19, s8, -1
	s_waitcnt lgkmcnt(2)
	v_fmac_f32_e32 v54, v55, v56
	s_set_gpr_idx_on s18, gpr_idx(SRC0)
	v_mov_b32_e32 v55, v14
	s_set_gpr_idx_off
	v_fmac_f32_e32 v54, v62, v57
	s_set_gpr_idx_on s19, gpr_idx(SRC0)
	v_mov_b32_e32 v62, v14
	s_set_gpr_idx_off
	ds_read2_b32 v[56:57], v50 offset0:6 offset1:7
	s_waitcnt lgkmcnt(2)
	v_fmac_f32_e32 v54, v63, v58
	s_set_gpr_idx_on s8, gpr_idx(SRC0)
	v_mov_b32_e32 v58, v14
	s_set_gpr_idx_off
	v_fmac_f32_e32 v54, v64, v59
	s_add_u32 s8, s8, 8
	s_waitcnt lgkmcnt(1)
	v_fmac_f32_e32 v54, v65, v60
	v_add_u32_e32 v50, s8, v52
	v_fmac_f32_e32 v54, v55, v61
	s_addc_u32 s9, s9, 0
	s_add_i32 s12, s12, 32
	s_add_i32 s13, s8, -7
	v_cmp_eq_u32_e32 vcc, 12, v50
	s_waitcnt lgkmcnt(0)
	v_fmac_f32_e32 v54, v62, v56
	v_mov_b32_e32 v50, s13
	s_or_b64 s[10:11], vcc, s[10:11]
	v_fmac_f32_e32 v54, v58, v57
	s_andn2_b64 exec, exec, s[10:11]
	s_cbranch_execnz .LBB75_89
; %bb.90:
	s_or_b64 exec, exec, s[10:11]
.LBB75_91:
	s_or_b64 exec, exec, s[2:3]
	v_and_b32_e32 v52, 7, v51
	v_cmp_ne_u32_e32 vcc, 0, v52
	s_and_saveexec_b64 s[8:9], vcc
	s_cbranch_execz .LBB75_95
; %bb.92:
	v_lshl_add_u32 v55, v50, 2, 48
	v_mov_b32_e32 v51, 0
	s_mov_b64 s[10:11], 0
.LBB75_93:                              ; =>This Inner Loop Header: Depth=1
	v_cmp_eq_u32_e32 vcc, 1, v50
	v_cndmask_b32_e32 v56, v14, v15, vcc
	v_add_u32_e32 v52, -1, v52
	v_cmp_eq_u32_e32 vcc, 2, v50
	v_cndmask_b32_e32 v56, v56, v16, vcc
	v_cmp_eq_u32_e32 vcc, 0, v52
	v_cmp_eq_u32_e64 s[2:3], 3, v50
	v_cndmask_b32_e64 v56, v56, v17, s[2:3]
	s_or_b64 s[10:11], vcc, s[10:11]
	v_cmp_eq_u32_e32 vcc, 4, v50
	v_cndmask_b32_e32 v56, v56, v18, vcc
	v_cmp_eq_u32_e32 vcc, 5, v50
	v_cndmask_b32_e32 v56, v56, v19, vcc
	;; [unrolled: 2-line block ×3, first 2 shown]
	v_cmp_eq_u32_e32 vcc, 7, v50
	ds_read_b32 v57, v55
	v_cndmask_b32_e32 v56, v56, v21, vcc
	v_cmp_eq_u32_e32 vcc, 8, v50
	v_cndmask_b32_e32 v56, v56, v22, vcc
	v_cmp_eq_u32_e32 vcc, 9, v50
	;; [unrolled: 2-line block ×4, first 2 shown]
	v_add_co_u32_e64 v50, s[2:3], 1, v50
	v_cndmask_b32_e32 v56, v56, v25, vcc
	v_add_u32_e32 v55, 4, v55
	v_addc_co_u32_e64 v51, s[2:3], 0, v51, s[2:3]
	s_waitcnt lgkmcnt(0)
	v_fmac_f32_e32 v54, v56, v57
	s_andn2_b64 exec, exec, s[10:11]
	s_cbranch_execnz .LBB75_93
; %bb.94:
	s_or_b64 exec, exec, s[10:11]
.LBB75_95:
	s_or_b64 exec, exec, s[8:9]
.LBB75_96:
	s_or_b64 exec, exec, s[6:7]
	v_mov_b32_e32 v18, 0
	ds_read_b32 v18, v18 offset:16
	s_waitcnt lgkmcnt(0)
	v_mul_f32_e32 v18, v54, v18
.LBB75_97:
	s_or_b64 exec, exec, s[4:5]
	v_cmp_lt_u32_e64 s[2:3], 3, v0
	ds_write_b32 v53, v17
	s_waitcnt lgkmcnt(0)
	; wave barrier
	s_waitcnt lgkmcnt(0)
	s_and_saveexec_b64 s[4:5], s[2:3]
	s_cbranch_execz .LBB75_113
; %bb.98:
	s_andn2_b64 vcc, exec, s[26:27]
	s_cbranch_vccnz .LBB75_100
; %bb.99:
	v_cmp_eq_u32_e32 vcc, 1, v0
	v_cndmask_b32_e32 v50, v14, v15, vcc
	v_cmp_eq_u32_e32 vcc, 2, v0
	v_cndmask_b32_e32 v50, v50, v16, vcc
	;; [unrolled: 2-line block ×7, first 2 shown]
	v_cmp_eq_u32_e32 vcc, 8, v0
	ds_read_b32 v51, v53
	v_cndmask_b32_e32 v50, v50, v22, vcc
	v_cmp_eq_u32_e32 vcc, 9, v0
	v_cndmask_b32_e32 v50, v50, v23, vcc
	v_cmp_eq_u32_e32 vcc, 10, v0
	;; [unrolled: 2-line block ×3, first 2 shown]
	v_cndmask_b32_e32 v50, v50, v25, vcc
	s_waitcnt lgkmcnt(0)
	v_mul_f32_e32 v54, v50, v51
	s_cbranch_execz .LBB75_101
	s_branch .LBB75_102
.LBB75_100:
                                        ; implicit-def: $vgpr54
.LBB75_101:
	ds_read_b32 v54, v53
.LBB75_102:
	s_and_saveexec_b64 s[6:7], s[0:1]
	s_cbranch_execz .LBB75_112
; %bb.103:
	v_add_u32_e32 v50, -5, v0
	v_add_u32_e32 v51, -4, v0
	v_cmp_lt_u32_e32 vcc, 6, v50
	v_mov_b32_e32 v50, 4
	s_and_saveexec_b64 s[0:1], vcc
	s_cbranch_execz .LBB75_107
; %bb.104:
	v_and_b32_e32 v50, -8, v51
	v_sub_u32_e32 v52, 0, v50
	s_mov_b64 s[8:9], 5
	s_mov_b32 s12, 64
	s_mov_b64 s[10:11], 0
.LBB75_105:                             ; =>This Inner Loop Header: Depth=1
	s_add_i32 s13, s8, -1
	v_mov_b32_e32 v50, s12
	s_set_gpr_idx_on s13, gpr_idx(SRC0)
	v_mov_b32_e32 v55, v14
	s_set_gpr_idx_off
	s_add_i32 s14, s8, 1
	ds_read_b128 v[56:59], v50
	ds_read_b128 v[60:63], v50 offset:16
	s_set_gpr_idx_on s8, gpr_idx(SRC0)
	v_mov_b32_e32 v64, v14
	s_set_gpr_idx_off
	s_add_i32 s15, s8, 2
	s_set_gpr_idx_on s14, gpr_idx(SRC0)
	v_mov_b32_e32 v65, v14
	s_set_gpr_idx_off
	s_add_i32 s16, s8, 3
	;; [unrolled: 4-line block ×4, first 2 shown]
	s_waitcnt lgkmcnt(1)
	v_fmac_f32_e32 v54, v55, v56
	s_set_gpr_idx_on s17, gpr_idx(SRC0)
	v_mov_b32_e32 v55, v14
	s_set_gpr_idx_off
	s_add_i32 s19, s8, 6
	v_fmac_f32_e32 v54, v64, v57
	s_set_gpr_idx_on s18, gpr_idx(SRC0)
	v_mov_b32_e32 v56, v14
	s_set_gpr_idx_off
	v_fmac_f32_e32 v54, v65, v58
	s_set_gpr_idx_on s19, gpr_idx(SRC0)
	v_mov_b32_e32 v57, v14
	s_set_gpr_idx_off
	v_fmac_f32_e32 v54, v66, v59
	s_add_u32 s8, s8, 8
	s_waitcnt lgkmcnt(0)
	v_fmac_f32_e32 v54, v67, v60
	v_add_u32_e32 v50, s8, v52
	v_fmac_f32_e32 v54, v55, v61
	s_addc_u32 s9, s9, 0
	s_add_i32 s12, s12, 32
	s_add_i32 s13, s8, -1
	v_cmp_eq_u32_e32 vcc, 5, v50
	v_fmac_f32_e32 v54, v56, v62
	v_mov_b32_e32 v50, s13
	s_or_b64 s[10:11], vcc, s[10:11]
	v_fmac_f32_e32 v54, v57, v63
	s_andn2_b64 exec, exec, s[10:11]
	s_cbranch_execnz .LBB75_105
; %bb.106:
	s_or_b64 exec, exec, s[10:11]
.LBB75_107:
	s_or_b64 exec, exec, s[0:1]
	v_and_b32_e32 v52, 7, v51
	v_cmp_ne_u32_e32 vcc, 0, v52
	s_and_saveexec_b64 s[8:9], vcc
	s_cbranch_execz .LBB75_111
; %bb.108:
	v_lshl_add_u32 v55, v50, 2, 48
	v_mov_b32_e32 v51, 0
	s_mov_b64 s[10:11], 0
.LBB75_109:                             ; =>This Inner Loop Header: Depth=1
	v_cmp_eq_u32_e32 vcc, 1, v50
	v_cndmask_b32_e32 v56, v14, v15, vcc
	v_add_u32_e32 v52, -1, v52
	v_cmp_eq_u32_e32 vcc, 2, v50
	v_cndmask_b32_e32 v56, v56, v16, vcc
	v_cmp_eq_u32_e32 vcc, 0, v52
	v_cmp_eq_u32_e64 s[0:1], 3, v50
	v_cndmask_b32_e64 v56, v56, v17, s[0:1]
	s_or_b64 s[10:11], vcc, s[10:11]
	v_cmp_eq_u32_e32 vcc, 4, v50
	v_cndmask_b32_e32 v56, v56, v18, vcc
	v_cmp_eq_u32_e32 vcc, 5, v50
	v_cndmask_b32_e32 v56, v56, v19, vcc
	;; [unrolled: 2-line block ×3, first 2 shown]
	v_cmp_eq_u32_e32 vcc, 7, v50
	ds_read_b32 v57, v55
	v_cndmask_b32_e32 v56, v56, v21, vcc
	v_cmp_eq_u32_e32 vcc, 8, v50
	v_cndmask_b32_e32 v56, v56, v22, vcc
	v_cmp_eq_u32_e32 vcc, 9, v50
	;; [unrolled: 2-line block ×4, first 2 shown]
	v_add_co_u32_e64 v50, s[0:1], 1, v50
	v_cndmask_b32_e32 v56, v56, v25, vcc
	v_add_u32_e32 v55, 4, v55
	v_addc_co_u32_e64 v51, s[0:1], 0, v51, s[0:1]
	s_waitcnt lgkmcnt(0)
	v_fmac_f32_e32 v54, v56, v57
	s_andn2_b64 exec, exec, s[10:11]
	s_cbranch_execnz .LBB75_109
; %bb.110:
	s_or_b64 exec, exec, s[10:11]
.LBB75_111:
	s_or_b64 exec, exec, s[8:9]
.LBB75_112:
	s_or_b64 exec, exec, s[6:7]
	v_mov_b32_e32 v17, 0
	ds_read_b32 v17, v17 offset:12
	s_waitcnt lgkmcnt(0)
	v_mul_f32_e32 v17, v54, v17
.LBB75_113:
	s_or_b64 exec, exec, s[4:5]
	v_cmp_lt_u32_e64 s[0:1], 2, v0
	ds_write_b32 v53, v16
	s_waitcnt lgkmcnt(0)
	; wave barrier
	s_waitcnt lgkmcnt(0)
	s_and_saveexec_b64 s[4:5], s[0:1]
	s_cbranch_execz .LBB75_129
; %bb.114:
	s_andn2_b64 vcc, exec, s[26:27]
	s_cbranch_vccnz .LBB75_116
; %bb.115:
	v_cmp_eq_u32_e32 vcc, 1, v0
	v_cndmask_b32_e32 v50, v14, v15, vcc
	v_cmp_eq_u32_e32 vcc, 2, v0
	v_cndmask_b32_e32 v50, v50, v16, vcc
	;; [unrolled: 2-line block ×7, first 2 shown]
	v_cmp_eq_u32_e32 vcc, 8, v0
	ds_read_b32 v51, v53
	v_cndmask_b32_e32 v50, v50, v22, vcc
	v_cmp_eq_u32_e32 vcc, 9, v0
	v_cndmask_b32_e32 v50, v50, v23, vcc
	v_cmp_eq_u32_e32 vcc, 10, v0
	;; [unrolled: 2-line block ×3, first 2 shown]
	v_cndmask_b32_e32 v50, v50, v25, vcc
	s_waitcnt lgkmcnt(0)
	v_mul_f32_e32 v54, v50, v51
	s_cbranch_execz .LBB75_117
	s_branch .LBB75_118
.LBB75_116:
                                        ; implicit-def: $vgpr54
.LBB75_117:
	ds_read_b32 v54, v53
.LBB75_118:
	s_and_saveexec_b64 s[6:7], s[2:3]
	s_cbranch_execz .LBB75_128
; %bb.119:
	v_add_u32_e32 v50, -4, v0
	v_add_u32_e32 v51, -3, v0
	v_cmp_lt_u32_e32 vcc, 6, v50
	v_mov_b32_e32 v50, 3
	s_and_saveexec_b64 s[2:3], vcc
	s_cbranch_execz .LBB75_123
; %bb.120:
	v_and_b32_e32 v50, -8, v51
	v_sub_u32_e32 v52, 0, v50
	s_mov_b64 s[8:9], 10
	s_mov_b32 s12, 60
	s_mov_b64 s[10:11], 0
.LBB75_121:                             ; =>This Inner Loop Header: Depth=1
	s_add_i32 s13, s8, -7
	v_mov_b32_e32 v50, s12
	s_add_i32 s14, s8, -6
	s_set_gpr_idx_on s13, gpr_idx(SRC0)
	v_mov_b32_e32 v55, v14
	s_set_gpr_idx_off
	ds_read2_b32 v[56:57], v50 offset1:1
	s_add_i32 s15, s8, -5
	s_set_gpr_idx_on s14, gpr_idx(SRC0)
	v_mov_b32_e32 v62, v14
	s_set_gpr_idx_off
	s_add_i32 s16, s8, -4
	s_set_gpr_idx_on s15, gpr_idx(SRC0)
	v_mov_b32_e32 v63, v14
	s_set_gpr_idx_off
	ds_read2_b32 v[58:59], v50 offset0:2 offset1:3
	s_add_i32 s17, s8, -3
	s_set_gpr_idx_on s16, gpr_idx(SRC0)
	v_mov_b32_e32 v64, v14
	s_set_gpr_idx_off
	s_add_i32 s18, s8, -2
	s_set_gpr_idx_on s17, gpr_idx(SRC0)
	v_mov_b32_e32 v65, v14
	s_set_gpr_idx_off
	ds_read2_b32 v[60:61], v50 offset0:4 offset1:5
	s_add_i32 s19, s8, -1
	s_waitcnt lgkmcnt(2)
	v_fmac_f32_e32 v54, v55, v56
	s_set_gpr_idx_on s18, gpr_idx(SRC0)
	v_mov_b32_e32 v55, v14
	s_set_gpr_idx_off
	v_fmac_f32_e32 v54, v62, v57
	s_set_gpr_idx_on s19, gpr_idx(SRC0)
	v_mov_b32_e32 v62, v14
	s_set_gpr_idx_off
	ds_read2_b32 v[56:57], v50 offset0:6 offset1:7
	s_waitcnt lgkmcnt(2)
	v_fmac_f32_e32 v54, v63, v58
	s_set_gpr_idx_on s8, gpr_idx(SRC0)
	v_mov_b32_e32 v58, v14
	s_set_gpr_idx_off
	v_fmac_f32_e32 v54, v64, v59
	s_add_u32 s8, s8, 8
	s_waitcnt lgkmcnt(1)
	v_fmac_f32_e32 v54, v65, v60
	v_add_u32_e32 v50, s8, v52
	v_fmac_f32_e32 v54, v55, v61
	s_addc_u32 s9, s9, 0
	s_add_i32 s12, s12, 32
	s_add_i32 s13, s8, -7
	v_cmp_eq_u32_e32 vcc, 10, v50
	s_waitcnt lgkmcnt(0)
	v_fmac_f32_e32 v54, v62, v56
	v_mov_b32_e32 v50, s13
	s_or_b64 s[10:11], vcc, s[10:11]
	v_fmac_f32_e32 v54, v58, v57
	s_andn2_b64 exec, exec, s[10:11]
	s_cbranch_execnz .LBB75_121
; %bb.122:
	s_or_b64 exec, exec, s[10:11]
.LBB75_123:
	s_or_b64 exec, exec, s[2:3]
	v_and_b32_e32 v52, 7, v51
	v_cmp_ne_u32_e32 vcc, 0, v52
	s_and_saveexec_b64 s[8:9], vcc
	s_cbranch_execz .LBB75_127
; %bb.124:
	v_lshl_add_u32 v55, v50, 2, 48
	v_mov_b32_e32 v51, 0
	s_mov_b64 s[10:11], 0
.LBB75_125:                             ; =>This Inner Loop Header: Depth=1
	v_cmp_eq_u32_e32 vcc, 1, v50
	v_cndmask_b32_e32 v56, v14, v15, vcc
	v_add_u32_e32 v52, -1, v52
	v_cmp_eq_u32_e32 vcc, 2, v50
	v_cndmask_b32_e32 v56, v56, v16, vcc
	v_cmp_eq_u32_e32 vcc, 0, v52
	v_cmp_eq_u32_e64 s[2:3], 3, v50
	v_cndmask_b32_e64 v56, v56, v17, s[2:3]
	s_or_b64 s[10:11], vcc, s[10:11]
	v_cmp_eq_u32_e32 vcc, 4, v50
	v_cndmask_b32_e32 v56, v56, v18, vcc
	v_cmp_eq_u32_e32 vcc, 5, v50
	v_cndmask_b32_e32 v56, v56, v19, vcc
	;; [unrolled: 2-line block ×3, first 2 shown]
	v_cmp_eq_u32_e32 vcc, 7, v50
	ds_read_b32 v57, v55
	v_cndmask_b32_e32 v56, v56, v21, vcc
	v_cmp_eq_u32_e32 vcc, 8, v50
	v_cndmask_b32_e32 v56, v56, v22, vcc
	v_cmp_eq_u32_e32 vcc, 9, v50
	;; [unrolled: 2-line block ×4, first 2 shown]
	v_add_co_u32_e64 v50, s[2:3], 1, v50
	v_cndmask_b32_e32 v56, v56, v25, vcc
	v_add_u32_e32 v55, 4, v55
	v_addc_co_u32_e64 v51, s[2:3], 0, v51, s[2:3]
	s_waitcnt lgkmcnt(0)
	v_fmac_f32_e32 v54, v56, v57
	s_andn2_b64 exec, exec, s[10:11]
	s_cbranch_execnz .LBB75_125
; %bb.126:
	s_or_b64 exec, exec, s[10:11]
.LBB75_127:
	s_or_b64 exec, exec, s[8:9]
.LBB75_128:
	s_or_b64 exec, exec, s[6:7]
	v_mov_b32_e32 v16, 0
	ds_read_b32 v16, v16 offset:8
	s_waitcnt lgkmcnt(0)
	v_mul_f32_e32 v16, v54, v16
.LBB75_129:
	s_or_b64 exec, exec, s[4:5]
	v_cmp_lt_u32_e64 s[2:3], 1, v0
	ds_write_b32 v53, v15
	s_waitcnt lgkmcnt(0)
	; wave barrier
	s_waitcnt lgkmcnt(0)
	s_and_saveexec_b64 s[4:5], s[2:3]
	s_cbranch_execz .LBB75_145
; %bb.130:
	s_andn2_b64 vcc, exec, s[26:27]
	s_cbranch_vccnz .LBB75_132
; %bb.131:
	v_cmp_eq_u32_e32 vcc, 1, v0
	v_cndmask_b32_e32 v50, v14, v15, vcc
	v_cmp_eq_u32_e32 vcc, 2, v0
	v_cndmask_b32_e32 v50, v50, v16, vcc
	;; [unrolled: 2-line block ×7, first 2 shown]
	v_cmp_eq_u32_e32 vcc, 8, v0
	ds_read_b32 v51, v53
	v_cndmask_b32_e32 v50, v50, v22, vcc
	v_cmp_eq_u32_e32 vcc, 9, v0
	v_cndmask_b32_e32 v50, v50, v23, vcc
	v_cmp_eq_u32_e32 vcc, 10, v0
	;; [unrolled: 2-line block ×3, first 2 shown]
	v_cndmask_b32_e32 v50, v50, v25, vcc
	s_waitcnt lgkmcnt(0)
	v_mul_f32_e32 v54, v50, v51
	s_cbranch_execz .LBB75_133
	s_branch .LBB75_134
.LBB75_132:
                                        ; implicit-def: $vgpr54
.LBB75_133:
	ds_read_b32 v54, v53
.LBB75_134:
	s_and_saveexec_b64 s[6:7], s[0:1]
	s_cbranch_execz .LBB75_144
; %bb.135:
	v_add_u32_e32 v50, -3, v0
	v_add_u32_e32 v51, -2, v0
	v_cmp_lt_u32_e32 vcc, 6, v50
	v_mov_b32_e32 v50, 2
	s_and_saveexec_b64 s[0:1], vcc
	s_cbranch_execz .LBB75_139
; %bb.136:
	v_and_b32_e32 v50, -8, v51
	v_sub_u32_e32 v52, 0, v50
	s_mov_b64 s[8:9], 9
	s_mov_b32 s12, 56
	s_mov_b64 s[10:11], 0
.LBB75_137:                             ; =>This Inner Loop Header: Depth=1
	s_add_i32 s13, s8, -7
	v_mov_b32_e32 v50, s12
	s_add_i32 s14, s8, -6
	s_set_gpr_idx_on s13, gpr_idx(SRC0)
	v_mov_b32_e32 v55, v14
	s_set_gpr_idx_off
	ds_read2_b64 v[56:59], v50 offset1:1
	s_add_i32 s15, s8, -5
	s_set_gpr_idx_on s14, gpr_idx(SRC0)
	v_mov_b32_e32 v64, v14
	s_set_gpr_idx_off
	s_add_i32 s16, s8, -4
	s_set_gpr_idx_on s15, gpr_idx(SRC0)
	v_mov_b32_e32 v65, v14
	s_set_gpr_idx_off
	;; [unrolled: 4-line block ×4, first 2 shown]
	ds_read2_b64 v[60:63], v50 offset0:2 offset1:3
	s_add_i32 s19, s8, -1
	s_waitcnt lgkmcnt(1)
	v_fmac_f32_e32 v54, v55, v56
	s_set_gpr_idx_on s18, gpr_idx(SRC0)
	v_mov_b32_e32 v55, v14
	s_set_gpr_idx_off
	v_fmac_f32_e32 v54, v64, v57
	s_set_gpr_idx_on s19, gpr_idx(SRC0)
	v_mov_b32_e32 v56, v14
	s_set_gpr_idx_off
	;; [unrolled: 4-line block ×3, first 2 shown]
	v_fmac_f32_e32 v54, v66, v59
	s_add_u32 s8, s8, 8
	s_waitcnt lgkmcnt(0)
	v_fmac_f32_e32 v54, v67, v60
	v_add_u32_e32 v50, s8, v52
	v_fmac_f32_e32 v54, v55, v61
	s_addc_u32 s9, s9, 0
	s_add_i32 s12, s12, 32
	s_add_i32 s13, s8, -7
	v_cmp_eq_u32_e32 vcc, 9, v50
	v_fmac_f32_e32 v54, v56, v62
	v_mov_b32_e32 v50, s13
	s_or_b64 s[10:11], vcc, s[10:11]
	v_fmac_f32_e32 v54, v57, v63
	s_andn2_b64 exec, exec, s[10:11]
	s_cbranch_execnz .LBB75_137
; %bb.138:
	s_or_b64 exec, exec, s[10:11]
.LBB75_139:
	s_or_b64 exec, exec, s[0:1]
	v_and_b32_e32 v52, 7, v51
	v_cmp_ne_u32_e32 vcc, 0, v52
	s_and_saveexec_b64 s[8:9], vcc
	s_cbranch_execz .LBB75_143
; %bb.140:
	v_lshl_add_u32 v55, v50, 2, 48
	v_mov_b32_e32 v51, 0
	s_mov_b64 s[10:11], 0
.LBB75_141:                             ; =>This Inner Loop Header: Depth=1
	v_cmp_eq_u32_e32 vcc, 1, v50
	v_cndmask_b32_e32 v56, v14, v15, vcc
	v_add_u32_e32 v52, -1, v52
	v_cmp_eq_u32_e32 vcc, 2, v50
	v_cndmask_b32_e32 v56, v56, v16, vcc
	v_cmp_eq_u32_e32 vcc, 0, v52
	v_cmp_eq_u32_e64 s[0:1], 3, v50
	v_cndmask_b32_e64 v56, v56, v17, s[0:1]
	s_or_b64 s[10:11], vcc, s[10:11]
	v_cmp_eq_u32_e32 vcc, 4, v50
	v_cndmask_b32_e32 v56, v56, v18, vcc
	v_cmp_eq_u32_e32 vcc, 5, v50
	v_cndmask_b32_e32 v56, v56, v19, vcc
	;; [unrolled: 2-line block ×3, first 2 shown]
	v_cmp_eq_u32_e32 vcc, 7, v50
	ds_read_b32 v57, v55
	v_cndmask_b32_e32 v56, v56, v21, vcc
	v_cmp_eq_u32_e32 vcc, 8, v50
	v_cndmask_b32_e32 v56, v56, v22, vcc
	v_cmp_eq_u32_e32 vcc, 9, v50
	;; [unrolled: 2-line block ×4, first 2 shown]
	v_add_co_u32_e64 v50, s[0:1], 1, v50
	v_cndmask_b32_e32 v56, v56, v25, vcc
	v_add_u32_e32 v55, 4, v55
	v_addc_co_u32_e64 v51, s[0:1], 0, v51, s[0:1]
	s_waitcnt lgkmcnt(0)
	v_fmac_f32_e32 v54, v56, v57
	s_andn2_b64 exec, exec, s[10:11]
	s_cbranch_execnz .LBB75_141
; %bb.142:
	s_or_b64 exec, exec, s[10:11]
.LBB75_143:
	s_or_b64 exec, exec, s[8:9]
.LBB75_144:
	s_or_b64 exec, exec, s[6:7]
	v_mov_b32_e32 v15, 0
	ds_read_b32 v15, v15 offset:4
	s_waitcnt lgkmcnt(0)
	v_mul_f32_e32 v15, v54, v15
.LBB75_145:
	s_or_b64 exec, exec, s[4:5]
	v_cmp_ne_u32_e32 vcc, 0, v0
	ds_write_b32 v53, v14
	s_waitcnt lgkmcnt(0)
	; wave barrier
	s_waitcnt lgkmcnt(0)
	s_and_saveexec_b64 s[4:5], vcc
	s_cbranch_execz .LBB75_161
; %bb.146:
	s_andn2_b64 vcc, exec, s[26:27]
	s_cbranch_vccnz .LBB75_148
; %bb.147:
	v_cmp_eq_u32_e32 vcc, 1, v0
	v_cndmask_b32_e32 v50, v14, v15, vcc
	v_cmp_eq_u32_e32 vcc, 2, v0
	v_cndmask_b32_e32 v50, v50, v16, vcc
	;; [unrolled: 2-line block ×7, first 2 shown]
	v_cmp_eq_u32_e32 vcc, 8, v0
	ds_read_b32 v51, v53
	v_cndmask_b32_e32 v50, v50, v22, vcc
	v_cmp_eq_u32_e32 vcc, 9, v0
	v_cndmask_b32_e32 v50, v50, v23, vcc
	v_cmp_eq_u32_e32 vcc, 10, v0
	;; [unrolled: 2-line block ×3, first 2 shown]
	v_cndmask_b32_e32 v50, v50, v25, vcc
	s_waitcnt lgkmcnt(0)
	v_mul_f32_e32 v54, v50, v51
	s_cbranch_execz .LBB75_149
	s_branch .LBB75_150
.LBB75_148:
                                        ; implicit-def: $vgpr54
.LBB75_149:
	ds_read_b32 v54, v53
.LBB75_150:
	s_and_saveexec_b64 s[6:7], s[2:3]
	s_cbranch_execz .LBB75_160
; %bb.151:
	v_add_u32_e32 v50, -2, v0
	v_add_u32_e32 v51, -1, v0
	v_cmp_lt_u32_e32 vcc, 6, v50
	v_mov_b32_e32 v50, 1
	s_and_saveexec_b64 s[0:1], vcc
	s_cbranch_execz .LBB75_155
; %bb.152:
	v_and_b32_e32 v50, -8, v51
	v_sub_u32_e32 v52, 0, v50
	s_mov_b64 s[2:3], 8
	s_mov_b32 s10, 52
	s_mov_b64 s[8:9], 0
.LBB75_153:                             ; =>This Inner Loop Header: Depth=1
	s_add_i32 s11, s2, -7
	v_mov_b32_e32 v50, s10
	s_add_i32 s12, s2, -6
	s_set_gpr_idx_on s11, gpr_idx(SRC0)
	v_mov_b32_e32 v55, v14
	s_set_gpr_idx_off
	ds_read2_b32 v[56:57], v50 offset1:1
	s_add_i32 s13, s2, -5
	s_set_gpr_idx_on s12, gpr_idx(SRC0)
	v_mov_b32_e32 v62, v14
	s_set_gpr_idx_off
	s_add_i32 s14, s2, -4
	s_set_gpr_idx_on s13, gpr_idx(SRC0)
	v_mov_b32_e32 v63, v14
	s_set_gpr_idx_off
	ds_read2_b32 v[58:59], v50 offset0:2 offset1:3
	s_add_i32 s15, s2, -3
	s_set_gpr_idx_on s14, gpr_idx(SRC0)
	v_mov_b32_e32 v64, v14
	s_set_gpr_idx_off
	s_add_i32 s16, s2, -2
	s_set_gpr_idx_on s15, gpr_idx(SRC0)
	v_mov_b32_e32 v65, v14
	s_set_gpr_idx_off
	ds_read2_b32 v[60:61], v50 offset0:4 offset1:5
	s_add_i32 s17, s2, -1
	s_waitcnt lgkmcnt(2)
	v_fmac_f32_e32 v54, v55, v56
	s_set_gpr_idx_on s16, gpr_idx(SRC0)
	v_mov_b32_e32 v55, v14
	s_set_gpr_idx_off
	v_fmac_f32_e32 v54, v62, v57
	s_set_gpr_idx_on s17, gpr_idx(SRC0)
	v_mov_b32_e32 v62, v14
	s_set_gpr_idx_off
	ds_read2_b32 v[56:57], v50 offset0:6 offset1:7
	s_waitcnt lgkmcnt(2)
	v_fmac_f32_e32 v54, v63, v58
	s_set_gpr_idx_on s2, gpr_idx(SRC0)
	v_mov_b32_e32 v58, v14
	s_set_gpr_idx_off
	v_fmac_f32_e32 v54, v64, v59
	s_add_u32 s2, s2, 8
	s_waitcnt lgkmcnt(1)
	v_fmac_f32_e32 v54, v65, v60
	v_add_u32_e32 v50, s2, v52
	v_fmac_f32_e32 v54, v55, v61
	s_addc_u32 s3, s3, 0
	s_add_i32 s10, s10, 32
	s_add_i32 s11, s2, -7
	v_cmp_eq_u32_e32 vcc, 8, v50
	s_waitcnt lgkmcnt(0)
	v_fmac_f32_e32 v54, v62, v56
	v_mov_b32_e32 v50, s11
	s_or_b64 s[8:9], vcc, s[8:9]
	v_fmac_f32_e32 v54, v58, v57
	s_andn2_b64 exec, exec, s[8:9]
	s_cbranch_execnz .LBB75_153
; %bb.154:
	s_or_b64 exec, exec, s[8:9]
.LBB75_155:
	s_or_b64 exec, exec, s[0:1]
	v_and_b32_e32 v52, 7, v51
	v_cmp_ne_u32_e32 vcc, 0, v52
	s_and_saveexec_b64 s[2:3], vcc
	s_cbranch_execz .LBB75_159
; %bb.156:
	v_lshl_add_u32 v55, v50, 2, 48
	v_mov_b32_e32 v51, 0
	s_mov_b64 s[8:9], 0
.LBB75_157:                             ; =>This Inner Loop Header: Depth=1
	v_cmp_eq_u32_e32 vcc, 1, v50
	v_cndmask_b32_e32 v56, v14, v15, vcc
	v_add_u32_e32 v52, -1, v52
	v_cmp_eq_u32_e32 vcc, 2, v50
	v_cndmask_b32_e32 v56, v56, v16, vcc
	v_cmp_eq_u32_e32 vcc, 0, v52
	v_cmp_eq_u32_e64 s[0:1], 3, v50
	v_cndmask_b32_e64 v56, v56, v17, s[0:1]
	s_or_b64 s[8:9], vcc, s[8:9]
	v_cmp_eq_u32_e32 vcc, 4, v50
	v_cndmask_b32_e32 v56, v56, v18, vcc
	v_cmp_eq_u32_e32 vcc, 5, v50
	v_cndmask_b32_e32 v56, v56, v19, vcc
	;; [unrolled: 2-line block ×3, first 2 shown]
	v_cmp_eq_u32_e32 vcc, 7, v50
	ds_read_b32 v57, v55
	v_cndmask_b32_e32 v56, v56, v21, vcc
	v_cmp_eq_u32_e32 vcc, 8, v50
	v_cndmask_b32_e32 v56, v56, v22, vcc
	v_cmp_eq_u32_e32 vcc, 9, v50
	v_cndmask_b32_e32 v56, v56, v23, vcc
	v_cmp_eq_u32_e32 vcc, 10, v50
	v_cndmask_b32_e32 v56, v56, v24, vcc
	v_cmp_eq_u32_e32 vcc, 11, v50
	v_add_co_u32_e64 v50, s[0:1], 1, v50
	v_cndmask_b32_e32 v56, v56, v25, vcc
	v_add_u32_e32 v55, 4, v55
	v_addc_co_u32_e64 v51, s[0:1], 0, v51, s[0:1]
	s_waitcnt lgkmcnt(0)
	v_fmac_f32_e32 v54, v56, v57
	s_andn2_b64 exec, exec, s[8:9]
	s_cbranch_execnz .LBB75_157
; %bb.158:
	s_or_b64 exec, exec, s[8:9]
.LBB75_159:
	s_or_b64 exec, exec, s[2:3]
.LBB75_160:
	s_or_b64 exec, exec, s[6:7]
	v_mov_b32_e32 v14, 0
	ds_read_b32 v14, v14
	s_waitcnt lgkmcnt(0)
	v_mul_f32_e32 v14, v54, v14
.LBB75_161:
	s_or_b64 exec, exec, s[4:5]
	s_branch .LBB75_277
.LBB75_162:
	v_cmp_eq_u32_e64 s[2:3], 0, v0
	s_waitcnt vmcnt(11)
	ds_write_b32 v53, v3
	s_waitcnt lgkmcnt(0)
	; wave barrier
	s_waitcnt lgkmcnt(0)
	s_and_saveexec_b64 s[0:1], s[2:3]
	s_cbranch_execz .LBB75_168
; %bb.163:
	s_and_b64 vcc, exec, s[26:27]
	s_cbranch_vccz .LBB75_165
; %bb.164:
	v_cmp_eq_u32_e32 vcc, 1, v0
	s_waitcnt vmcnt(1)
	v_cndmask_b32_e32 v3, v2, v3, vcc
	v_cmp_eq_u32_e32 vcc, 2, v0
	v_cndmask_b32_e32 v3, v3, v4, vcc
	v_cmp_eq_u32_e32 vcc, 3, v0
	;; [unrolled: 2-line block ×7, first 2 shown]
	ds_read_b32 v14, v53
	v_cndmask_b32_e32 v3, v3, v10, vcc
	v_cmp_eq_u32_e32 vcc, 9, v0
	v_cndmask_b32_e32 v3, v3, v11, vcc
	v_cmp_eq_u32_e32 vcc, 10, v0
	;; [unrolled: 2-line block ×3, first 2 shown]
	s_waitcnt vmcnt(0)
	v_cndmask_b32_e32 v3, v3, v13, vcc
	s_waitcnt lgkmcnt(0)
	v_mul_f32_e32 v3, v3, v14
	s_cbranch_execz .LBB75_166
	s_branch .LBB75_167
.LBB75_165:
                                        ; implicit-def: $vgpr3
.LBB75_166:
	ds_read_b32 v3, v53
.LBB75_167:
	v_mov_b32_e32 v14, 0
	ds_read_b32 v14, v14 offset:4
	s_waitcnt lgkmcnt(0)
	v_mul_f32_e32 v3, v3, v14
.LBB75_168:
	s_or_b64 exec, exec, s[0:1]
	v_cndmask_b32_e64 v14, 0, 1, s[26:27]
	v_add_u32_e32 v16, 1, v0
	v_cmp_gt_u32_e32 vcc, 2, v0
	v_cmp_ne_u32_e64 s[0:1], 1, v14
	s_waitcnt vmcnt(10)
	ds_write_b32 v53, v4
	s_waitcnt lgkmcnt(0)
	; wave barrier
	s_waitcnt lgkmcnt(0)
	s_and_saveexec_b64 s[4:5], vcc
	s_cbranch_execz .LBB75_176
; %bb.169:
	s_and_b64 vcc, exec, s[0:1]
	s_cbranch_vccnz .LBB75_171
; %bb.170:
	v_cmp_eq_u32_e32 vcc, 1, v0
	s_waitcnt vmcnt(1)
	v_cndmask_b32_e32 v14, v2, v3, vcc
	v_cmp_eq_u32_e32 vcc, 2, v0
	v_cndmask_b32_e32 v14, v14, v4, vcc
	v_cmp_eq_u32_e32 vcc, 3, v0
	;; [unrolled: 2-line block ×7, first 2 shown]
	ds_read_b32 v15, v53
	v_cndmask_b32_e32 v14, v14, v10, vcc
	v_cmp_eq_u32_e32 vcc, 9, v0
	v_cndmask_b32_e32 v14, v14, v11, vcc
	v_cmp_eq_u32_e32 vcc, 10, v0
	;; [unrolled: 2-line block ×3, first 2 shown]
	s_waitcnt vmcnt(0)
	v_cndmask_b32_e32 v14, v14, v13, vcc
	s_waitcnt lgkmcnt(0)
	v_mul_f32_e32 v14, v14, v15
	s_cbranch_execz .LBB75_172
	s_branch .LBB75_173
.LBB75_171:
                                        ; implicit-def: $vgpr14
.LBB75_172:
	ds_read_b32 v14, v53
.LBB75_173:
	s_and_saveexec_b64 s[6:7], s[2:3]
	s_cbranch_execz .LBB75_175
; %bb.174:
	v_cmp_eq_u32_e32 vcc, 1, v16
	s_waitcnt vmcnt(1)
	v_cndmask_b32_e32 v15, v2, v3, vcc
	v_cmp_eq_u32_e32 vcc, 2, v16
	v_cndmask_b32_e32 v4, v15, v4, vcc
	v_cmp_eq_u32_e32 vcc, 3, v16
	;; [unrolled: 2-line block ×7, first 2 shown]
	ds_read_b32 v15, v53 offset:4
	v_cndmask_b32_e32 v4, v4, v10, vcc
	v_cmp_eq_u32_e32 vcc, 9, v16
	v_cndmask_b32_e32 v4, v4, v11, vcc
	v_cmp_eq_u32_e32 vcc, 10, v16
	;; [unrolled: 2-line block ×3, first 2 shown]
	s_waitcnt vmcnt(0)
	v_cndmask_b32_e32 v4, v4, v13, vcc
	s_waitcnt lgkmcnt(0)
	v_fmac_f32_e32 v14, v4, v15
.LBB75_175:
	s_or_b64 exec, exec, s[6:7]
	v_mov_b32_e32 v4, 0
	ds_read_b32 v4, v4 offset:8
	s_waitcnt lgkmcnt(0)
	v_mul_f32_e32 v4, v14, v4
.LBB75_176:
	s_or_b64 exec, exec, s[4:5]
	v_cmp_gt_u32_e64 s[4:5], 3, v0
	s_waitcnt vmcnt(9)
	ds_write_b32 v53, v5
	s_waitcnt lgkmcnt(0)
	; wave barrier
	s_waitcnt lgkmcnt(0)
	s_and_saveexec_b64 s[6:7], s[4:5]
	s_cbranch_execz .LBB75_184
; %bb.177:
	s_and_b64 vcc, exec, s[0:1]
	s_cbranch_vccnz .LBB75_179
; %bb.178:
	v_cmp_eq_u32_e32 vcc, 1, v0
	s_waitcnt vmcnt(1)
	v_cndmask_b32_e32 v14, v2, v3, vcc
	v_cmp_eq_u32_e32 vcc, 2, v0
	v_cndmask_b32_e32 v14, v14, v4, vcc
	v_cmp_eq_u32_e32 vcc, 3, v0
	;; [unrolled: 2-line block ×7, first 2 shown]
	ds_read_b32 v15, v53
	v_cndmask_b32_e32 v14, v14, v10, vcc
	v_cmp_eq_u32_e32 vcc, 9, v0
	v_cndmask_b32_e32 v14, v14, v11, vcc
	v_cmp_eq_u32_e32 vcc, 10, v0
	;; [unrolled: 2-line block ×3, first 2 shown]
	s_waitcnt vmcnt(0)
	v_cndmask_b32_e32 v14, v14, v13, vcc
	s_waitcnt lgkmcnt(0)
	v_mul_f32_e32 v14, v14, v15
	s_cbranch_execz .LBB75_180
	s_branch .LBB75_181
.LBB75_179:
                                        ; implicit-def: $vgpr14
.LBB75_180:
	ds_read_b32 v14, v53
.LBB75_181:
	v_cmp_ne_u32_e32 vcc, 2, v0
	s_and_saveexec_b64 s[8:9], vcc
	s_cbranch_execz .LBB75_183
; %bb.182:
	v_cmp_eq_u32_e32 vcc, 1, v16
	s_waitcnt vmcnt(1)
	v_cndmask_b32_e32 v15, v2, v3, vcc
	v_cmp_eq_u32_e32 vcc, 2, v16
	v_cndmask_b32_e32 v15, v15, v4, vcc
	v_cmp_eq_u32_e32 vcc, 3, v16
	;; [unrolled: 2-line block ×7, first 2 shown]
	v_mov_b32_e32 v15, 0
	v_cndmask_b32_e32 v5, v5, v10, vcc
	v_cmp_eq_u32_e32 vcc, 9, v16
	ds_read_b32 v17, v53 offset:4
	ds_read_b32 v15, v15 offset:56
	v_cndmask_b32_e32 v5, v5, v11, vcc
	v_cmp_eq_u32_e32 vcc, 10, v16
	v_cndmask_b32_e32 v5, v5, v12, vcc
	v_cmp_eq_u32_e32 vcc, 11, v16
	s_waitcnt vmcnt(0)
	v_cndmask_b32_e32 v5, v5, v13, vcc
	s_waitcnt lgkmcnt(1)
	v_fmac_f32_e32 v14, v5, v17
	s_waitcnt lgkmcnt(0)
	v_fma_f32 v5, v4, v15, v14
	v_cndmask_b32_e64 v14, v14, v5, s[2:3]
.LBB75_183:
	s_or_b64 exec, exec, s[8:9]
	v_mov_b32_e32 v5, 0
	ds_read_b32 v5, v5 offset:12
	s_waitcnt lgkmcnt(0)
	v_mul_f32_e32 v5, v14, v5
.LBB75_184:
	s_or_b64 exec, exec, s[6:7]
	v_cmp_gt_u32_e32 vcc, 4, v0
	s_waitcnt vmcnt(8)
	ds_write_b32 v53, v6
	s_waitcnt lgkmcnt(0)
	; wave barrier
	s_waitcnt lgkmcnt(0)
	s_and_saveexec_b64 s[8:9], vcc
	s_cbranch_execz .LBB75_194
; %bb.185:
	s_and_b64 vcc, exec, s[0:1]
	s_cbranch_vccnz .LBB75_187
; %bb.186:
	v_cmp_eq_u32_e32 vcc, 1, v0
	s_waitcnt vmcnt(1)
	v_cndmask_b32_e32 v14, v2, v3, vcc
	v_cmp_eq_u32_e32 vcc, 2, v0
	v_cndmask_b32_e32 v14, v14, v4, vcc
	v_cmp_eq_u32_e32 vcc, 3, v0
	;; [unrolled: 2-line block ×7, first 2 shown]
	ds_read_b32 v15, v53
	v_cndmask_b32_e32 v14, v14, v10, vcc
	v_cmp_eq_u32_e32 vcc, 9, v0
	v_cndmask_b32_e32 v14, v14, v11, vcc
	v_cmp_eq_u32_e32 vcc, 10, v0
	;; [unrolled: 2-line block ×3, first 2 shown]
	s_waitcnt vmcnt(0)
	v_cndmask_b32_e32 v14, v14, v13, vcc
	s_waitcnt lgkmcnt(0)
	v_mul_f32_e32 v17, v14, v15
	s_cbranch_execz .LBB75_188
	s_branch .LBB75_189
.LBB75_187:
                                        ; implicit-def: $vgpr17
.LBB75_188:
	ds_read_b32 v17, v53
.LBB75_189:
	v_cmp_ne_u32_e32 vcc, 3, v0
	s_and_saveexec_b64 s[10:11], vcc
	s_cbranch_execz .LBB75_193
; %bb.190:
	v_lshl_add_u32 v18, v0, 2, 52
	s_mov_b64 s[12:13], 0
	v_pk_mov_b32 v[14:15], v[0:1], v[0:1] op_sel:[0,1]
.LBB75_191:                             ; =>This Inner Loop Header: Depth=1
	v_add_co_u32_e32 v14, vcc, 1, v14
	v_addc_co_u32_e32 v15, vcc, 0, v15, vcc
	v_cmp_eq_u32_e32 vcc, 1, v14
	s_waitcnt vmcnt(1)
	v_cndmask_b32_e32 v20, v2, v3, vcc
	v_cmp_lt_u32_e32 vcc, 2, v14
	v_cmp_eq_u32_e64 s[6:7], 2, v14
	v_cndmask_b32_e64 v20, v20, v4, s[6:7]
	s_or_b64 s[12:13], vcc, s[12:13]
	v_cmp_eq_u32_e32 vcc, 3, v14
	v_cndmask_b32_e32 v20, v20, v5, vcc
	v_cmp_eq_u32_e32 vcc, 4, v14
	v_cndmask_b32_e32 v20, v20, v6, vcc
	;; [unrolled: 2-line block ×4, first 2 shown]
	v_cmp_eq_u32_e32 vcc, 7, v14
	ds_read_b32 v19, v18
	v_cndmask_b32_e32 v20, v20, v9, vcc
	v_cmp_eq_u32_e32 vcc, 8, v14
	v_cndmask_b32_e32 v20, v20, v10, vcc
	v_cmp_eq_u32_e32 vcc, 9, v14
	;; [unrolled: 2-line block ×4, first 2 shown]
	s_waitcnt vmcnt(0)
	v_cndmask_b32_e32 v20, v20, v13, vcc
	v_add_u32_e32 v18, 4, v18
	s_waitcnt lgkmcnt(0)
	v_fmac_f32_e32 v17, v20, v19
	s_andn2_b64 exec, exec, s[12:13]
	s_cbranch_execnz .LBB75_191
; %bb.192:
	s_or_b64 exec, exec, s[12:13]
.LBB75_193:
	s_or_b64 exec, exec, s[10:11]
	v_mov_b32_e32 v6, 0
	ds_read_b32 v6, v6 offset:16
	s_waitcnt lgkmcnt(0)
	v_mul_f32_e32 v6, v17, v6
.LBB75_194:
	s_or_b64 exec, exec, s[8:9]
	v_cmp_gt_u32_e64 s[6:7], 5, v0
	s_waitcnt vmcnt(7)
	ds_write_b32 v53, v7
	s_waitcnt lgkmcnt(0)
	; wave barrier
	s_waitcnt lgkmcnt(0)
	s_and_saveexec_b64 s[10:11], s[6:7]
	s_cbranch_execz .LBB75_204
; %bb.195:
	s_and_b64 vcc, exec, s[0:1]
	s_cbranch_vccnz .LBB75_197
; %bb.196:
	v_cmp_eq_u32_e32 vcc, 1, v0
	s_waitcnt vmcnt(1)
	v_cndmask_b32_e32 v14, v2, v3, vcc
	v_cmp_eq_u32_e32 vcc, 2, v0
	v_cndmask_b32_e32 v14, v14, v4, vcc
	v_cmp_eq_u32_e32 vcc, 3, v0
	;; [unrolled: 2-line block ×7, first 2 shown]
	ds_read_b32 v15, v53
	v_cndmask_b32_e32 v14, v14, v10, vcc
	v_cmp_eq_u32_e32 vcc, 9, v0
	v_cndmask_b32_e32 v14, v14, v11, vcc
	v_cmp_eq_u32_e32 vcc, 10, v0
	;; [unrolled: 2-line block ×3, first 2 shown]
	s_waitcnt vmcnt(0)
	v_cndmask_b32_e32 v14, v14, v13, vcc
	s_waitcnt lgkmcnt(0)
	v_mul_f32_e32 v17, v14, v15
	s_cbranch_execz .LBB75_198
	s_branch .LBB75_199
.LBB75_197:
                                        ; implicit-def: $vgpr17
.LBB75_198:
	ds_read_b32 v17, v53
.LBB75_199:
	v_cmp_ne_u32_e32 vcc, 4, v0
	s_and_saveexec_b64 s[12:13], vcc
	s_cbranch_execz .LBB75_203
; %bb.200:
	v_lshl_add_u32 v18, v0, 2, 52
	s_mov_b64 s[14:15], 0
	v_pk_mov_b32 v[14:15], v[0:1], v[0:1] op_sel:[0,1]
.LBB75_201:                             ; =>This Inner Loop Header: Depth=1
	v_add_co_u32_e32 v14, vcc, 1, v14
	v_addc_co_u32_e32 v15, vcc, 0, v15, vcc
	v_cmp_eq_u32_e32 vcc, 1, v14
	s_waitcnt vmcnt(1)
	v_cndmask_b32_e32 v20, v2, v3, vcc
	v_cmp_lt_u32_e32 vcc, 3, v14
	v_cmp_eq_u32_e64 s[8:9], 2, v14
	v_cndmask_b32_e64 v20, v20, v4, s[8:9]
	s_or_b64 s[14:15], vcc, s[14:15]
	v_cmp_eq_u32_e32 vcc, 3, v14
	v_cndmask_b32_e32 v20, v20, v5, vcc
	v_cmp_eq_u32_e32 vcc, 4, v14
	v_cndmask_b32_e32 v20, v20, v6, vcc
	;; [unrolled: 2-line block ×4, first 2 shown]
	v_cmp_eq_u32_e32 vcc, 7, v14
	ds_read_b32 v19, v18
	v_cndmask_b32_e32 v20, v20, v9, vcc
	v_cmp_eq_u32_e32 vcc, 8, v14
	v_cndmask_b32_e32 v20, v20, v10, vcc
	v_cmp_eq_u32_e32 vcc, 9, v14
	;; [unrolled: 2-line block ×4, first 2 shown]
	s_waitcnt vmcnt(0)
	v_cndmask_b32_e32 v20, v20, v13, vcc
	v_add_u32_e32 v18, 4, v18
	s_waitcnt lgkmcnt(0)
	v_fmac_f32_e32 v17, v20, v19
	s_andn2_b64 exec, exec, s[14:15]
	s_cbranch_execnz .LBB75_201
; %bb.202:
	s_or_b64 exec, exec, s[14:15]
.LBB75_203:
	s_or_b64 exec, exec, s[12:13]
	v_mov_b32_e32 v7, 0
	ds_read_b32 v7, v7 offset:20
	s_waitcnt lgkmcnt(0)
	v_mul_f32_e32 v7, v17, v7
.LBB75_204:
	s_or_b64 exec, exec, s[10:11]
	v_cmp_gt_u32_e32 vcc, 6, v0
	s_waitcnt vmcnt(6)
	ds_write_b32 v53, v8
	s_waitcnt lgkmcnt(0)
	; wave barrier
	s_waitcnt lgkmcnt(0)
	s_and_saveexec_b64 s[10:11], vcc
	s_cbranch_execz .LBB75_214
; %bb.205:
	s_and_b64 vcc, exec, s[0:1]
	s_cbranch_vccnz .LBB75_207
; %bb.206:
	v_cmp_eq_u32_e32 vcc, 1, v0
	s_waitcnt vmcnt(1)
	v_cndmask_b32_e32 v14, v2, v3, vcc
	v_cmp_eq_u32_e32 vcc, 2, v0
	v_cndmask_b32_e32 v14, v14, v4, vcc
	v_cmp_eq_u32_e32 vcc, 3, v0
	;; [unrolled: 2-line block ×7, first 2 shown]
	ds_read_b32 v15, v53
	v_cndmask_b32_e32 v14, v14, v10, vcc
	v_cmp_eq_u32_e32 vcc, 9, v0
	v_cndmask_b32_e32 v14, v14, v11, vcc
	v_cmp_eq_u32_e32 vcc, 10, v0
	;; [unrolled: 2-line block ×3, first 2 shown]
	s_waitcnt vmcnt(0)
	v_cndmask_b32_e32 v14, v14, v13, vcc
	s_waitcnt lgkmcnt(0)
	v_mul_f32_e32 v17, v14, v15
	s_cbranch_execz .LBB75_208
	s_branch .LBB75_209
.LBB75_207:
                                        ; implicit-def: $vgpr17
.LBB75_208:
	ds_read_b32 v17, v53
.LBB75_209:
	v_cmp_ne_u32_e32 vcc, 5, v0
	s_and_saveexec_b64 s[12:13], vcc
	s_cbranch_execz .LBB75_213
; %bb.210:
	v_lshl_add_u32 v18, v0, 2, 52
	s_mov_b64 s[14:15], 0
	v_pk_mov_b32 v[14:15], v[0:1], v[0:1] op_sel:[0,1]
.LBB75_211:                             ; =>This Inner Loop Header: Depth=1
	v_add_co_u32_e32 v14, vcc, 1, v14
	v_addc_co_u32_e32 v15, vcc, 0, v15, vcc
	v_cmp_eq_u32_e32 vcc, 1, v14
	s_waitcnt vmcnt(1)
	v_cndmask_b32_e32 v20, v2, v3, vcc
	v_cmp_lt_u32_e32 vcc, 4, v14
	v_cmp_eq_u32_e64 s[8:9], 2, v14
	v_cndmask_b32_e64 v20, v20, v4, s[8:9]
	s_or_b64 s[14:15], vcc, s[14:15]
	v_cmp_eq_u32_e32 vcc, 3, v14
	v_cndmask_b32_e32 v20, v20, v5, vcc
	v_cmp_eq_u32_e32 vcc, 4, v14
	v_cndmask_b32_e32 v20, v20, v6, vcc
	;; [unrolled: 2-line block ×4, first 2 shown]
	v_cmp_eq_u32_e32 vcc, 7, v14
	ds_read_b32 v19, v18
	v_cndmask_b32_e32 v20, v20, v9, vcc
	v_cmp_eq_u32_e32 vcc, 8, v14
	v_cndmask_b32_e32 v20, v20, v10, vcc
	v_cmp_eq_u32_e32 vcc, 9, v14
	;; [unrolled: 2-line block ×4, first 2 shown]
	s_waitcnt vmcnt(0)
	v_cndmask_b32_e32 v20, v20, v13, vcc
	v_add_u32_e32 v18, 4, v18
	s_waitcnt lgkmcnt(0)
	v_fmac_f32_e32 v17, v20, v19
	s_andn2_b64 exec, exec, s[14:15]
	s_cbranch_execnz .LBB75_211
; %bb.212:
	s_or_b64 exec, exec, s[14:15]
.LBB75_213:
	s_or_b64 exec, exec, s[12:13]
	v_mov_b32_e32 v8, 0
	ds_read_b32 v8, v8 offset:24
	s_waitcnt lgkmcnt(0)
	v_mul_f32_e32 v8, v17, v8
.LBB75_214:
	s_or_b64 exec, exec, s[10:11]
	v_cmp_gt_u32_e64 s[8:9], 7, v0
	s_waitcnt vmcnt(5)
	ds_write_b32 v53, v9
	s_waitcnt lgkmcnt(0)
	; wave barrier
	s_waitcnt lgkmcnt(0)
	s_and_saveexec_b64 s[12:13], s[8:9]
	s_cbranch_execz .LBB75_224
; %bb.215:
	s_and_b64 vcc, exec, s[0:1]
	s_cbranch_vccnz .LBB75_217
; %bb.216:
	v_cmp_eq_u32_e32 vcc, 1, v0
	s_waitcnt vmcnt(1)
	v_cndmask_b32_e32 v14, v2, v3, vcc
	v_cmp_eq_u32_e32 vcc, 2, v0
	v_cndmask_b32_e32 v14, v14, v4, vcc
	v_cmp_eq_u32_e32 vcc, 3, v0
	;; [unrolled: 2-line block ×7, first 2 shown]
	ds_read_b32 v15, v53
	v_cndmask_b32_e32 v14, v14, v10, vcc
	v_cmp_eq_u32_e32 vcc, 9, v0
	v_cndmask_b32_e32 v14, v14, v11, vcc
	v_cmp_eq_u32_e32 vcc, 10, v0
	;; [unrolled: 2-line block ×3, first 2 shown]
	s_waitcnt vmcnt(0)
	v_cndmask_b32_e32 v14, v14, v13, vcc
	s_waitcnt lgkmcnt(0)
	v_mul_f32_e32 v17, v14, v15
	s_cbranch_execz .LBB75_218
	s_branch .LBB75_219
.LBB75_217:
                                        ; implicit-def: $vgpr17
.LBB75_218:
	ds_read_b32 v17, v53
.LBB75_219:
	v_cmp_ne_u32_e32 vcc, 6, v0
	s_and_saveexec_b64 s[14:15], vcc
	s_cbranch_execz .LBB75_223
; %bb.220:
	v_lshl_add_u32 v18, v0, 2, 52
	s_mov_b64 s[16:17], 0
	v_pk_mov_b32 v[14:15], v[0:1], v[0:1] op_sel:[0,1]
.LBB75_221:                             ; =>This Inner Loop Header: Depth=1
	v_add_co_u32_e32 v14, vcc, 1, v14
	v_addc_co_u32_e32 v15, vcc, 0, v15, vcc
	v_cmp_eq_u32_e32 vcc, 1, v14
	s_waitcnt vmcnt(1)
	v_cndmask_b32_e32 v20, v2, v3, vcc
	v_cmp_lt_u32_e32 vcc, 5, v14
	v_cmp_eq_u32_e64 s[10:11], 2, v14
	v_cndmask_b32_e64 v20, v20, v4, s[10:11]
	s_or_b64 s[16:17], vcc, s[16:17]
	v_cmp_eq_u32_e32 vcc, 3, v14
	v_cndmask_b32_e32 v20, v20, v5, vcc
	v_cmp_eq_u32_e32 vcc, 4, v14
	v_cndmask_b32_e32 v20, v20, v6, vcc
	;; [unrolled: 2-line block ×4, first 2 shown]
	v_cmp_eq_u32_e32 vcc, 7, v14
	ds_read_b32 v19, v18
	v_cndmask_b32_e32 v20, v20, v9, vcc
	v_cmp_eq_u32_e32 vcc, 8, v14
	v_cndmask_b32_e32 v20, v20, v10, vcc
	v_cmp_eq_u32_e32 vcc, 9, v14
	;; [unrolled: 2-line block ×4, first 2 shown]
	s_waitcnt vmcnt(0)
	v_cndmask_b32_e32 v20, v20, v13, vcc
	v_add_u32_e32 v18, 4, v18
	s_waitcnt lgkmcnt(0)
	v_fmac_f32_e32 v17, v20, v19
	s_andn2_b64 exec, exec, s[16:17]
	s_cbranch_execnz .LBB75_221
; %bb.222:
	s_or_b64 exec, exec, s[16:17]
.LBB75_223:
	s_or_b64 exec, exec, s[14:15]
	v_mov_b32_e32 v9, 0
	ds_read_b32 v9, v9 offset:28
	s_waitcnt lgkmcnt(0)
	v_mul_f32_e32 v9, v17, v9
.LBB75_224:
	s_or_b64 exec, exec, s[12:13]
	v_cmp_gt_u32_e32 vcc, 8, v0
	s_waitcnt vmcnt(4)
	ds_write_b32 v53, v10
	s_waitcnt lgkmcnt(0)
	; wave barrier
	s_waitcnt lgkmcnt(0)
	s_and_saveexec_b64 s[12:13], vcc
	s_cbranch_execz .LBB75_234
; %bb.225:
	s_and_b64 vcc, exec, s[0:1]
	s_cbranch_vccnz .LBB75_227
; %bb.226:
	v_cmp_eq_u32_e32 vcc, 1, v0
	s_waitcnt vmcnt(1)
	v_cndmask_b32_e32 v14, v2, v3, vcc
	v_cmp_eq_u32_e32 vcc, 2, v0
	v_cndmask_b32_e32 v14, v14, v4, vcc
	v_cmp_eq_u32_e32 vcc, 3, v0
	v_cndmask_b32_e32 v14, v14, v5, vcc
	v_cmp_eq_u32_e32 vcc, 4, v0
	v_cndmask_b32_e32 v14, v14, v6, vcc
	v_cmp_eq_u32_e32 vcc, 5, v0
	v_cndmask_b32_e32 v14, v14, v7, vcc
	v_cmp_eq_u32_e32 vcc, 6, v0
	v_cndmask_b32_e32 v14, v14, v8, vcc
	v_cmp_eq_u32_e32 vcc, 7, v0
	v_cndmask_b32_e32 v14, v14, v9, vcc
	v_cmp_eq_u32_e32 vcc, 8, v0
	ds_read_b32 v15, v53
	v_cndmask_b32_e32 v14, v14, v10, vcc
	v_cmp_eq_u32_e32 vcc, 9, v0
	v_cndmask_b32_e32 v14, v14, v11, vcc
	v_cmp_eq_u32_e32 vcc, 10, v0
	;; [unrolled: 2-line block ×3, first 2 shown]
	s_waitcnt vmcnt(0)
	v_cndmask_b32_e32 v14, v14, v13, vcc
	s_waitcnt lgkmcnt(0)
	v_mul_f32_e32 v17, v14, v15
	s_cbranch_execz .LBB75_228
	s_branch .LBB75_229
.LBB75_227:
                                        ; implicit-def: $vgpr17
.LBB75_228:
	ds_read_b32 v17, v53
.LBB75_229:
	v_cmp_ne_u32_e32 vcc, 7, v0
	s_and_saveexec_b64 s[14:15], vcc
	s_cbranch_execz .LBB75_233
; %bb.230:
	v_lshl_add_u32 v18, v0, 2, 52
	s_mov_b64 s[16:17], 0
	v_pk_mov_b32 v[14:15], v[0:1], v[0:1] op_sel:[0,1]
.LBB75_231:                             ; =>This Inner Loop Header: Depth=1
	v_add_co_u32_e32 v14, vcc, 1, v14
	v_addc_co_u32_e32 v15, vcc, 0, v15, vcc
	v_cmp_eq_u32_e32 vcc, 1, v14
	s_waitcnt vmcnt(1)
	v_cndmask_b32_e32 v20, v2, v3, vcc
	v_cmp_lt_u32_e32 vcc, 6, v14
	v_cmp_eq_u32_e64 s[10:11], 2, v14
	v_cndmask_b32_e64 v20, v20, v4, s[10:11]
	s_or_b64 s[16:17], vcc, s[16:17]
	v_cmp_eq_u32_e32 vcc, 3, v14
	v_cndmask_b32_e32 v20, v20, v5, vcc
	v_cmp_eq_u32_e32 vcc, 4, v14
	v_cndmask_b32_e32 v20, v20, v6, vcc
	;; [unrolled: 2-line block ×4, first 2 shown]
	v_cmp_eq_u32_e32 vcc, 7, v14
	ds_read_b32 v19, v18
	v_cndmask_b32_e32 v20, v20, v9, vcc
	v_cmp_eq_u32_e32 vcc, 8, v14
	v_cndmask_b32_e32 v20, v20, v10, vcc
	v_cmp_eq_u32_e32 vcc, 9, v14
	;; [unrolled: 2-line block ×4, first 2 shown]
	s_waitcnt vmcnt(0)
	v_cndmask_b32_e32 v20, v20, v13, vcc
	v_add_u32_e32 v18, 4, v18
	s_waitcnt lgkmcnt(0)
	v_fmac_f32_e32 v17, v20, v19
	s_andn2_b64 exec, exec, s[16:17]
	s_cbranch_execnz .LBB75_231
; %bb.232:
	s_or_b64 exec, exec, s[16:17]
.LBB75_233:
	s_or_b64 exec, exec, s[14:15]
	v_mov_b32_e32 v10, 0
	ds_read_b32 v10, v10 offset:32
	s_waitcnt lgkmcnt(0)
	v_mul_f32_e32 v10, v17, v10
.LBB75_234:
	s_or_b64 exec, exec, s[12:13]
	v_cmp_gt_u32_e32 vcc, 9, v0
	s_waitcnt vmcnt(3)
	ds_write_b32 v53, v11
	s_waitcnt lgkmcnt(0)
	; wave barrier
	s_waitcnt lgkmcnt(0)
	s_and_saveexec_b64 s[10:11], vcc
	s_cbranch_execz .LBB75_256
; %bb.235:
	s_and_b64 vcc, exec, s[0:1]
	s_cbranch_vccnz .LBB75_237
; %bb.236:
	v_cmp_eq_u32_e32 vcc, 1, v0
	s_waitcnt vmcnt(1)
	v_cndmask_b32_e32 v14, v2, v3, vcc
	v_cmp_eq_u32_e32 vcc, 2, v0
	v_cndmask_b32_e32 v14, v14, v4, vcc
	v_cmp_eq_u32_e32 vcc, 3, v0
	v_cndmask_b32_e32 v14, v14, v5, vcc
	v_cmp_eq_u32_e32 vcc, 4, v0
	v_cndmask_b32_e32 v14, v14, v6, vcc
	v_cmp_eq_u32_e32 vcc, 5, v0
	v_cndmask_b32_e32 v14, v14, v7, vcc
	v_cmp_eq_u32_e32 vcc, 6, v0
	v_cndmask_b32_e32 v14, v14, v8, vcc
	v_cmp_eq_u32_e32 vcc, 7, v0
	v_cndmask_b32_e32 v14, v14, v9, vcc
	v_cmp_eq_u32_e32 vcc, 8, v0
	ds_read_b32 v15, v53
	v_cndmask_b32_e32 v14, v14, v10, vcc
	v_cmp_eq_u32_e32 vcc, 9, v0
	v_cndmask_b32_e32 v14, v14, v11, vcc
	v_cmp_eq_u32_e32 vcc, 10, v0
	;; [unrolled: 2-line block ×3, first 2 shown]
	s_waitcnt vmcnt(0)
	v_cndmask_b32_e32 v14, v14, v13, vcc
	s_waitcnt lgkmcnt(0)
	v_mul_f32_e32 v14, v14, v15
	s_cbranch_execz .LBB75_238
	s_branch .LBB75_239
.LBB75_237:
                                        ; implicit-def: $vgpr14
.LBB75_238:
	ds_read_b32 v14, v53
.LBB75_239:
	v_cmp_ne_u32_e32 vcc, 8, v0
	s_and_saveexec_b64 s[12:13], vcc
	s_cbranch_execz .LBB75_255
; %bb.240:
	v_cmp_eq_u32_e32 vcc, 1, v16
	s_waitcnt vmcnt(1)
	v_cndmask_b32_e32 v15, v2, v3, vcc
	v_cmp_eq_u32_e32 vcc, 2, v16
	v_cndmask_b32_e32 v15, v15, v4, vcc
	v_cmp_eq_u32_e32 vcc, 3, v16
	;; [unrolled: 2-line block ×7, first 2 shown]
	ds_read_b32 v17, v53 offset:4
	v_cndmask_b32_e32 v15, v15, v10, vcc
	v_cmp_eq_u32_e32 vcc, 9, v16
	v_cndmask_b32_e32 v15, v15, v11, vcc
	v_cmp_eq_u32_e32 vcc, 10, v16
	;; [unrolled: 2-line block ×3, first 2 shown]
	s_waitcnt vmcnt(0)
	v_cndmask_b32_e32 v15, v15, v13, vcc
	s_waitcnt lgkmcnt(0)
	v_fmac_f32_e32 v14, v15, v17
	s_and_saveexec_b64 s[14:15], s[8:9]
	s_cbranch_execz .LBB75_254
; %bb.241:
	v_add_u32_e32 v15, 2, v0
	v_cmp_eq_u32_e32 vcc, 1, v15
	v_cndmask_b32_e32 v16, v2, v3, vcc
	v_cmp_eq_u32_e32 vcc, 2, v15
	v_cndmask_b32_e32 v16, v16, v4, vcc
	;; [unrolled: 2-line block ×7, first 2 shown]
	v_cmp_eq_u32_e32 vcc, 8, v15
	ds_read_b32 v17, v53 offset:8
	v_cndmask_b32_e32 v16, v16, v10, vcc
	v_cmp_eq_u32_e32 vcc, 9, v15
	v_cndmask_b32_e32 v16, v16, v11, vcc
	v_cmp_eq_u32_e32 vcc, 10, v15
	;; [unrolled: 2-line block ×3, first 2 shown]
	v_cndmask_b32_e32 v15, v16, v13, vcc
	s_waitcnt lgkmcnt(0)
	v_fmac_f32_e32 v14, v15, v17
	v_cmp_ne_u32_e32 vcc, 6, v0
	s_and_saveexec_b64 s[8:9], vcc
	s_cbranch_execz .LBB75_253
; %bb.242:
	v_add_u32_e32 v15, 3, v0
	v_cmp_eq_u32_e32 vcc, 1, v15
	v_cndmask_b32_e32 v16, v2, v3, vcc
	v_cmp_eq_u32_e32 vcc, 2, v15
	v_cndmask_b32_e32 v16, v16, v4, vcc
	;; [unrolled: 2-line block ×7, first 2 shown]
	v_cmp_eq_u32_e32 vcc, 8, v15
	ds_read_b32 v17, v53 offset:12
	v_cndmask_b32_e32 v16, v16, v10, vcc
	v_cmp_eq_u32_e32 vcc, 9, v15
	v_cndmask_b32_e32 v16, v16, v11, vcc
	v_cmp_eq_u32_e32 vcc, 10, v15
	;; [unrolled: 2-line block ×3, first 2 shown]
	v_cndmask_b32_e32 v15, v16, v13, vcc
	s_waitcnt lgkmcnt(0)
	v_fmac_f32_e32 v14, v15, v17
	s_and_saveexec_b64 s[16:17], s[6:7]
	s_cbranch_execz .LBB75_252
; %bb.243:
	v_add_u32_e32 v15, 4, v0
	v_cmp_eq_u32_e32 vcc, 1, v15
	v_cndmask_b32_e32 v16, v2, v3, vcc
	v_cmp_eq_u32_e32 vcc, 2, v15
	v_cndmask_b32_e32 v16, v16, v4, vcc
	v_cmp_eq_u32_e32 vcc, 3, v15
	v_cndmask_b32_e32 v16, v16, v5, vcc
	v_cmp_eq_u32_e32 vcc, 4, v15
	v_cndmask_b32_e32 v16, v16, v6, vcc
	v_cmp_eq_u32_e32 vcc, 5, v15
	v_cndmask_b32_e32 v16, v16, v7, vcc
	v_cmp_eq_u32_e32 vcc, 6, v15
	v_cndmask_b32_e32 v16, v16, v8, vcc
	v_cmp_eq_u32_e32 vcc, 7, v15
	v_cndmask_b32_e32 v16, v16, v9, vcc
	v_cmp_eq_u32_e32 vcc, 8, v15
	ds_read_b32 v17, v53 offset:16
	v_cndmask_b32_e32 v16, v16, v10, vcc
	v_cmp_eq_u32_e32 vcc, 9, v15
	v_cndmask_b32_e32 v16, v16, v11, vcc
	v_cmp_eq_u32_e32 vcc, 10, v15
	;; [unrolled: 2-line block ×3, first 2 shown]
	v_cndmask_b32_e32 v15, v16, v13, vcc
	s_waitcnt lgkmcnt(0)
	v_fmac_f32_e32 v14, v15, v17
	v_cmp_ne_u32_e32 vcc, 4, v0
	s_and_saveexec_b64 s[6:7], vcc
	s_cbranch_execz .LBB75_251
; %bb.244:
	v_add_u32_e32 v15, 5, v0
	v_cmp_eq_u32_e32 vcc, 1, v15
	v_cndmask_b32_e32 v16, v2, v3, vcc
	v_cmp_eq_u32_e32 vcc, 2, v15
	v_cndmask_b32_e32 v16, v16, v4, vcc
	;; [unrolled: 2-line block ×7, first 2 shown]
	v_cmp_eq_u32_e32 vcc, 8, v15
	ds_read_b32 v17, v53 offset:20
	v_cndmask_b32_e32 v16, v16, v10, vcc
	v_cmp_eq_u32_e32 vcc, 9, v15
	v_cndmask_b32_e32 v16, v16, v11, vcc
	v_cmp_eq_u32_e32 vcc, 10, v15
	;; [unrolled: 2-line block ×3, first 2 shown]
	v_cndmask_b32_e32 v15, v16, v13, vcc
	s_waitcnt lgkmcnt(0)
	v_fmac_f32_e32 v14, v15, v17
	s_and_saveexec_b64 s[18:19], s[4:5]
	s_cbranch_execz .LBB75_250
; %bb.245:
	v_add_u32_e32 v15, 6, v0
	v_cmp_eq_u32_e32 vcc, 1, v15
	v_cndmask_b32_e32 v16, v2, v3, vcc
	v_cmp_eq_u32_e32 vcc, 2, v15
	v_cndmask_b32_e32 v16, v16, v4, vcc
	;; [unrolled: 2-line block ×7, first 2 shown]
	v_cmp_eq_u32_e32 vcc, 8, v15
	ds_read_b32 v17, v53 offset:24
	v_cndmask_b32_e32 v16, v16, v10, vcc
	v_cmp_eq_u32_e32 vcc, 9, v15
	v_cndmask_b32_e32 v16, v16, v11, vcc
	v_cmp_eq_u32_e32 vcc, 10, v15
	;; [unrolled: 2-line block ×3, first 2 shown]
	v_cndmask_b32_e32 v15, v16, v13, vcc
	s_waitcnt lgkmcnt(0)
	v_fmac_f32_e32 v14, v15, v17
	v_cmp_ne_u32_e32 vcc, 2, v0
	s_and_saveexec_b64 s[4:5], vcc
	s_cbranch_execz .LBB75_249
; %bb.246:
	v_add_u32_e32 v15, 7, v0
	v_cmp_eq_u32_e32 vcc, 1, v15
	v_cndmask_b32_e32 v16, v2, v3, vcc
	v_cmp_eq_u32_e32 vcc, 2, v15
	v_cndmask_b32_e32 v16, v16, v4, vcc
	;; [unrolled: 2-line block ×9, first 2 shown]
	ds_read_b32 v16, v53 offset:28
	v_cmp_eq_u32_e32 vcc, 10, v15
	v_cndmask_b32_e32 v11, v11, v12, vcc
	v_cmp_eq_u32_e32 vcc, 11, v15
	v_cndmask_b32_e32 v11, v11, v13, vcc
	s_waitcnt lgkmcnt(0)
	v_fmac_f32_e32 v14, v11, v16
	s_and_saveexec_b64 s[20:21], s[2:3]
	s_cbranch_execz .LBB75_248
; %bb.247:
	ds_read_b32 v11, v53 offset:32
	s_waitcnt lgkmcnt(0)
	v_fmac_f32_e32 v14, v10, v11
.LBB75_248:
	s_or_b64 exec, exec, s[20:21]
.LBB75_249:
	s_or_b64 exec, exec, s[4:5]
.LBB75_250:
	s_or_b64 exec, exec, s[18:19]
.LBB75_251:
	s_or_b64 exec, exec, s[6:7]
.LBB75_252:
	s_or_b64 exec, exec, s[16:17]
.LBB75_253:
	s_or_b64 exec, exec, s[8:9]
.LBB75_254:
	s_or_b64 exec, exec, s[14:15]
.LBB75_255:
	s_or_b64 exec, exec, s[12:13]
	v_mov_b32_e32 v11, 0
	ds_read_b32 v11, v11 offset:36
	s_waitcnt lgkmcnt(0)
	v_mul_f32_e32 v11, v14, v11
.LBB75_256:
	s_or_b64 exec, exec, s[10:11]
	v_cmp_gt_u32_e64 s[2:3], 10, v0
	s_waitcnt vmcnt(2)
	ds_write_b32 v53, v12
	s_waitcnt lgkmcnt(0)
	; wave barrier
	s_waitcnt lgkmcnt(0)
	s_and_saveexec_b64 s[6:7], s[2:3]
	s_cbranch_execz .LBB75_266
; %bb.257:
	s_and_b64 vcc, exec, s[0:1]
	s_cbranch_vccnz .LBB75_259
; %bb.258:
	v_cmp_eq_u32_e32 vcc, 1, v0
	s_waitcnt vmcnt(1)
	v_cndmask_b32_e32 v14, v2, v3, vcc
	v_cmp_eq_u32_e32 vcc, 2, v0
	v_cndmask_b32_e32 v14, v14, v4, vcc
	v_cmp_eq_u32_e32 vcc, 3, v0
	;; [unrolled: 2-line block ×7, first 2 shown]
	ds_read_b32 v15, v53
	v_cndmask_b32_e32 v14, v14, v10, vcc
	v_cmp_eq_u32_e32 vcc, 9, v0
	v_cndmask_b32_e32 v14, v14, v11, vcc
	v_cmp_eq_u32_e32 vcc, 10, v0
	;; [unrolled: 2-line block ×3, first 2 shown]
	s_waitcnt vmcnt(0)
	v_cndmask_b32_e32 v14, v14, v13, vcc
	s_waitcnt lgkmcnt(0)
	v_mul_f32_e32 v16, v14, v15
	s_cbranch_execz .LBB75_260
	s_branch .LBB75_261
.LBB75_259:
                                        ; implicit-def: $vgpr16
.LBB75_260:
	ds_read_b32 v16, v53
.LBB75_261:
	v_cmp_ne_u32_e32 vcc, 9, v0
	s_and_saveexec_b64 s[8:9], vcc
	s_cbranch_execz .LBB75_265
; %bb.262:
	v_lshl_add_u32 v17, v0, 2, 52
	s_mov_b64 s[10:11], 0
	v_pk_mov_b32 v[14:15], v[0:1], v[0:1] op_sel:[0,1]
.LBB75_263:                             ; =>This Inner Loop Header: Depth=1
	v_add_co_u32_e32 v14, vcc, 1, v14
	v_addc_co_u32_e32 v15, vcc, 0, v15, vcc
	v_cmp_eq_u32_e32 vcc, 1, v14
	s_waitcnt vmcnt(1)
	v_cndmask_b32_e32 v19, v2, v3, vcc
	v_cmp_lt_u32_e32 vcc, 8, v14
	v_cmp_eq_u32_e64 s[4:5], 2, v14
	v_cndmask_b32_e64 v19, v19, v4, s[4:5]
	s_or_b64 s[10:11], vcc, s[10:11]
	v_cmp_eq_u32_e32 vcc, 3, v14
	v_cndmask_b32_e32 v19, v19, v5, vcc
	v_cmp_eq_u32_e32 vcc, 4, v14
	v_cndmask_b32_e32 v19, v19, v6, vcc
	;; [unrolled: 2-line block ×4, first 2 shown]
	v_cmp_eq_u32_e32 vcc, 7, v14
	ds_read_b32 v18, v17
	v_cndmask_b32_e32 v19, v19, v9, vcc
	v_cmp_eq_u32_e32 vcc, 8, v14
	v_cndmask_b32_e32 v19, v19, v10, vcc
	v_cmp_eq_u32_e32 vcc, 9, v14
	;; [unrolled: 2-line block ×4, first 2 shown]
	s_waitcnt vmcnt(0)
	v_cndmask_b32_e32 v19, v19, v13, vcc
	v_add_u32_e32 v17, 4, v17
	s_waitcnt lgkmcnt(0)
	v_fmac_f32_e32 v16, v19, v18
	s_andn2_b64 exec, exec, s[10:11]
	s_cbranch_execnz .LBB75_263
; %bb.264:
	s_or_b64 exec, exec, s[10:11]
.LBB75_265:
	s_or_b64 exec, exec, s[8:9]
	v_mov_b32_e32 v12, 0
	ds_read_b32 v12, v12 offset:40
	s_waitcnt lgkmcnt(0)
	v_mul_f32_e32 v12, v16, v12
.LBB75_266:
	s_or_b64 exec, exec, s[6:7]
	v_cmp_ne_u32_e32 vcc, 11, v0
	s_waitcnt vmcnt(0)
	ds_write_b32 v53, v13
	s_waitcnt lgkmcnt(0)
	; wave barrier
	s_waitcnt lgkmcnt(0)
	s_and_saveexec_b64 s[4:5], vcc
	s_cbranch_execz .LBB75_276
; %bb.267:
	s_and_b64 vcc, exec, s[0:1]
	s_cbranch_vccnz .LBB75_269
; %bb.268:
	v_cmp_eq_u32_e32 vcc, 1, v0
	v_cndmask_b32_e32 v14, v2, v3, vcc
	v_cmp_eq_u32_e32 vcc, 2, v0
	v_cndmask_b32_e32 v14, v14, v4, vcc
	;; [unrolled: 2-line block ×7, first 2 shown]
	v_cmp_eq_u32_e32 vcc, 8, v0
	ds_read_b32 v15, v53
	v_cndmask_b32_e32 v14, v14, v10, vcc
	v_cmp_eq_u32_e32 vcc, 9, v0
	v_cndmask_b32_e32 v14, v14, v11, vcc
	v_cmp_eq_u32_e32 vcc, 10, v0
	;; [unrolled: 2-line block ×3, first 2 shown]
	v_cndmask_b32_e32 v14, v14, v13, vcc
	s_waitcnt lgkmcnt(0)
	v_mul_f32_e32 v14, v14, v15
	s_cbranch_execz .LBB75_270
	s_branch .LBB75_271
.LBB75_269:
                                        ; implicit-def: $vgpr14
.LBB75_270:
	ds_read_b32 v14, v53
.LBB75_271:
	s_and_saveexec_b64 s[6:7], s[2:3]
	s_cbranch_execz .LBB75_275
; %bb.272:
	v_lshl_add_u32 v15, v0, 2, 52
	s_mov_b64 s[2:3], 0
.LBB75_273:                             ; =>This Inner Loop Header: Depth=1
	v_add_co_u32_e32 v0, vcc, 1, v0
	v_addc_co_u32_e32 v1, vcc, 0, v1, vcc
	v_cmp_eq_u32_e32 vcc, 1, v0
	v_cndmask_b32_e32 v17, v2, v3, vcc
	v_cmp_lt_u32_e32 vcc, 9, v0
	v_cmp_eq_u32_e64 s[0:1], 2, v0
	v_cndmask_b32_e64 v17, v17, v4, s[0:1]
	s_or_b64 s[2:3], vcc, s[2:3]
	v_cmp_eq_u32_e32 vcc, 3, v0
	v_cndmask_b32_e32 v17, v17, v5, vcc
	v_cmp_eq_u32_e32 vcc, 4, v0
	v_cndmask_b32_e32 v17, v17, v6, vcc
	v_cmp_eq_u32_e32 vcc, 5, v0
	v_cndmask_b32_e32 v17, v17, v7, vcc
	v_cmp_eq_u32_e32 vcc, 6, v0
	v_cndmask_b32_e32 v17, v17, v8, vcc
	v_cmp_eq_u32_e32 vcc, 7, v0
	ds_read_b32 v16, v15
	v_cndmask_b32_e32 v17, v17, v9, vcc
	v_cmp_eq_u32_e32 vcc, 8, v0
	v_cndmask_b32_e32 v17, v17, v10, vcc
	v_cmp_eq_u32_e32 vcc, 9, v0
	;; [unrolled: 2-line block ×4, first 2 shown]
	v_cndmask_b32_e32 v17, v17, v13, vcc
	v_add_u32_e32 v15, 4, v15
	s_waitcnt lgkmcnt(0)
	v_fmac_f32_e32 v14, v17, v16
	s_andn2_b64 exec, exec, s[2:3]
	s_cbranch_execnz .LBB75_273
; %bb.274:
	s_or_b64 exec, exec, s[2:3]
.LBB75_275:
	s_or_b64 exec, exec, s[6:7]
	v_mov_b32_e32 v0, 0
	ds_read_b32 v0, v0 offset:44
	s_waitcnt lgkmcnt(0)
	v_mul_f32_e32 v13, v14, v0
.LBB75_276:
	s_or_b64 exec, exec, s[4:5]
	v_pk_mov_b32 v[24:25], v[12:13], v[12:13] op_sel:[0,1]
	v_pk_mov_b32 v[22:23], v[10:11], v[10:11] op_sel:[0,1]
	;; [unrolled: 1-line block ×6, first 2 shown]
.LBB75_277:
	global_store_dword v[26:27], v14, off
	global_store_dword v[28:29], v15, off
	;; [unrolled: 1-line block ×12, first 2 shown]
.LBB75_278:
	s_endpgm
	.section	.rodata,"a",@progbits
	.p2align	6, 0x0
	.amdhsa_kernel _ZN9rocsolver6v33100L18trti2_kernel_smallILi12EfPKPfEEv13rocblas_fill_17rocblas_diagonal_T1_iil
		.amdhsa_group_segment_fixed_size 96
		.amdhsa_private_segment_fixed_size 0
		.amdhsa_kernarg_size 32
		.amdhsa_user_sgpr_count 6
		.amdhsa_user_sgpr_private_segment_buffer 1
		.amdhsa_user_sgpr_dispatch_ptr 0
		.amdhsa_user_sgpr_queue_ptr 0
		.amdhsa_user_sgpr_kernarg_segment_ptr 1
		.amdhsa_user_sgpr_dispatch_id 0
		.amdhsa_user_sgpr_flat_scratch_init 0
		.amdhsa_user_sgpr_kernarg_preload_length 0
		.amdhsa_user_sgpr_kernarg_preload_offset 0
		.amdhsa_user_sgpr_private_segment_size 0
		.amdhsa_uses_dynamic_stack 0
		.amdhsa_system_sgpr_private_segment_wavefront_offset 0
		.amdhsa_system_sgpr_workgroup_id_x 1
		.amdhsa_system_sgpr_workgroup_id_y 0
		.amdhsa_system_sgpr_workgroup_id_z 0
		.amdhsa_system_sgpr_workgroup_info 0
		.amdhsa_system_vgpr_workitem_id 0
		.amdhsa_next_free_vgpr 68
		.amdhsa_next_free_sgpr 30
		.amdhsa_accum_offset 68
		.amdhsa_reserve_vcc 1
		.amdhsa_reserve_flat_scratch 0
		.amdhsa_float_round_mode_32 0
		.amdhsa_float_round_mode_16_64 0
		.amdhsa_float_denorm_mode_32 3
		.amdhsa_float_denorm_mode_16_64 3
		.amdhsa_dx10_clamp 1
		.amdhsa_ieee_mode 1
		.amdhsa_fp16_overflow 0
		.amdhsa_tg_split 0
		.amdhsa_exception_fp_ieee_invalid_op 0
		.amdhsa_exception_fp_denorm_src 0
		.amdhsa_exception_fp_ieee_div_zero 0
		.amdhsa_exception_fp_ieee_overflow 0
		.amdhsa_exception_fp_ieee_underflow 0
		.amdhsa_exception_fp_ieee_inexact 0
		.amdhsa_exception_int_div_zero 0
	.end_amdhsa_kernel
	.section	.text._ZN9rocsolver6v33100L18trti2_kernel_smallILi12EfPKPfEEv13rocblas_fill_17rocblas_diagonal_T1_iil,"axG",@progbits,_ZN9rocsolver6v33100L18trti2_kernel_smallILi12EfPKPfEEv13rocblas_fill_17rocblas_diagonal_T1_iil,comdat
.Lfunc_end75:
	.size	_ZN9rocsolver6v33100L18trti2_kernel_smallILi12EfPKPfEEv13rocblas_fill_17rocblas_diagonal_T1_iil, .Lfunc_end75-_ZN9rocsolver6v33100L18trti2_kernel_smallILi12EfPKPfEEv13rocblas_fill_17rocblas_diagonal_T1_iil
                                        ; -- End function
	.section	.AMDGPU.csdata,"",@progbits
; Kernel info:
; codeLenInByte = 12224
; NumSgprs: 34
; NumVgprs: 68
; NumAgprs: 0
; TotalNumVgprs: 68
; ScratchSize: 0
; MemoryBound: 0
; FloatMode: 240
; IeeeMode: 1
; LDSByteSize: 96 bytes/workgroup (compile time only)
; SGPRBlocks: 4
; VGPRBlocks: 8
; NumSGPRsForWavesPerEU: 34
; NumVGPRsForWavesPerEU: 68
; AccumOffset: 68
; Occupancy: 7
; WaveLimiterHint : 1
; COMPUTE_PGM_RSRC2:SCRATCH_EN: 0
; COMPUTE_PGM_RSRC2:USER_SGPR: 6
; COMPUTE_PGM_RSRC2:TRAP_HANDLER: 0
; COMPUTE_PGM_RSRC2:TGID_X_EN: 1
; COMPUTE_PGM_RSRC2:TGID_Y_EN: 0
; COMPUTE_PGM_RSRC2:TGID_Z_EN: 0
; COMPUTE_PGM_RSRC2:TIDIG_COMP_CNT: 0
; COMPUTE_PGM_RSRC3_GFX90A:ACCUM_OFFSET: 16
; COMPUTE_PGM_RSRC3_GFX90A:TG_SPLIT: 0
	.section	.text._ZN9rocsolver6v33100L18trti2_kernel_smallILi13EfPKPfEEv13rocblas_fill_17rocblas_diagonal_T1_iil,"axG",@progbits,_ZN9rocsolver6v33100L18trti2_kernel_smallILi13EfPKPfEEv13rocblas_fill_17rocblas_diagonal_T1_iil,comdat
	.globl	_ZN9rocsolver6v33100L18trti2_kernel_smallILi13EfPKPfEEv13rocblas_fill_17rocblas_diagonal_T1_iil ; -- Begin function _ZN9rocsolver6v33100L18trti2_kernel_smallILi13EfPKPfEEv13rocblas_fill_17rocblas_diagonal_T1_iil
	.p2align	8
	.type	_ZN9rocsolver6v33100L18trti2_kernel_smallILi13EfPKPfEEv13rocblas_fill_17rocblas_diagonal_T1_iil,@function
_ZN9rocsolver6v33100L18trti2_kernel_smallILi13EfPKPfEEv13rocblas_fill_17rocblas_diagonal_T1_iil: ; @_ZN9rocsolver6v33100L18trti2_kernel_smallILi13EfPKPfEEv13rocblas_fill_17rocblas_diagonal_T1_iil
; %bb.0:
	v_cmp_gt_u32_e32 vcc, 13, v0
	s_and_saveexec_b64 s[0:1], vcc
	s_cbranch_execz .LBB76_304
; %bb.1:
	s_load_dwordx2 s[0:1], s[4:5], 0x10
	s_load_dwordx4 s[28:31], s[4:5], 0x0
	s_ashr_i32 s7, s6, 31
	s_lshl_b64 s[2:3], s[6:7], 3
	v_lshlrev_b32_e32 v15, 2, v0
	s_waitcnt lgkmcnt(0)
	s_ashr_i32 s5, s0, 31
	s_add_u32 s2, s30, s2
	s_addc_u32 s3, s31, s3
	s_load_dwordx2 s[2:3], s[2:3], 0x0
	s_mov_b32 s4, s0
	s_lshl_b64 s[4:5], s[4:5], 2
	s_waitcnt lgkmcnt(0)
	s_add_u32 s2, s2, s4
	s_addc_u32 s3, s3, s5
	v_mov_b32_e32 v1, s3
	v_add_co_u32_e32 v32, vcc, s2, v15
	s_ashr_i32 s5, s1, 31
	s_mov_b32 s4, s1
	s_add_i32 s0, s1, s1
	v_addc_co_u32_e32 v33, vcc, 0, v1, vcc
	s_lshl_b64 s[4:5], s[4:5], 2
	v_add_u32_e32 v2, s0, v0
	v_mov_b32_e32 v1, s5
	v_add_co_u32_e32 v34, vcc, s4, v32
	v_ashrrev_i32_e32 v3, 31, v2
	v_addc_co_u32_e32 v35, vcc, v33, v1, vcc
	v_lshlrev_b64 v[4:5], 2, v[2:3]
	v_add_u32_e32 v2, s1, v2
	v_mov_b32_e32 v1, s3
	v_add_co_u32_e32 v36, vcc, s2, v4
	v_ashrrev_i32_e32 v3, 31, v2
	v_addc_co_u32_e32 v37, vcc, v1, v5, vcc
	v_lshlrev_b64 v[4:5], 2, v[2:3]
	v_add_u32_e32 v2, s1, v2
	v_add_co_u32_e32 v38, vcc, s2, v4
	v_ashrrev_i32_e32 v3, 31, v2
	v_addc_co_u32_e32 v39, vcc, v1, v5, vcc
	v_lshlrev_b64 v[4:5], 2, v[2:3]
	v_add_u32_e32 v2, s1, v2
	;; [unrolled: 5-line block ×7, first 2 shown]
	v_add_co_u32_e32 v50, vcc, s2, v16
	v_ashrrev_i32_e32 v13, 31, v12
	v_addc_co_u32_e32 v51, vcc, v1, v17, vcc
	v_lshlrev_b64 v[16:17], 2, v[12:13]
	global_load_dword v3, v[34:35], off
	global_load_dword v4, v[36:37], off
	;; [unrolled: 1-line block ×8, first 2 shown]
	v_add_co_u32_e32 v52, vcc, s2, v16
	v_add_u32_e32 v16, s1, v12
	v_addc_co_u32_e32 v53, vcc, v1, v17, vcc
	v_ashrrev_i32_e32 v17, 31, v16
	v_lshlrev_b64 v[12:13], 2, v[16:17]
	v_add_u32_e32 v16, s1, v16
	v_add_co_u32_e32 v54, vcc, s2, v12
	v_ashrrev_i32_e32 v17, 31, v16
	v_addc_co_u32_e32 v55, vcc, v1, v13, vcc
	v_lshlrev_b64 v[16:17], 2, v[16:17]
	global_load_dword v11, v[50:51], off
	global_load_dword v12, v[52:53], off
	global_load_dword v13, v[54:55], off
	v_add_co_u32_e32 v56, vcc, s2, v16
	v_addc_co_u32_e32 v57, vcc, v1, v17, vcc
	global_load_dword v2, v15, s[2:3]
	global_load_dword v14, v[56:57], off
	s_cmpk_lg_i32 s29, 0x84
	v_mov_b32_e32 v1, 0
	s_cselect_b64 s[26:27], -1, 0
	s_cmpk_eq_i32 s29, 0x84
	v_mov_b32_e32 v16, -1.0
	v_cmp_eq_u32_e64 s[0:1], 0, v0
	s_cbranch_scc1 .LBB76_3
; %bb.2:
	v_cmp_eq_u32_e64 s[2:3], 1, v0
	s_waitcnt vmcnt(1)
	v_cndmask_b32_e64 v16, v2, v3, s[2:3]
	v_cmp_eq_u32_e64 s[4:5], 2, v0
	v_cndmask_b32_e64 v16, v16, v4, s[4:5]
	v_cmp_eq_u32_e64 s[6:7], 3, v0
	;; [unrolled: 2-line block ×11, first 2 shown]
	s_waitcnt vmcnt(0)
	v_cndmask_b32_e64 v16, v16, v14, s[24:25]
	v_div_scale_f32 v17, s[30:31], v16, v16, 1.0
	v_rcp_f32_e32 v18, v17
	v_fma_f32 v19, -v17, v18, 1.0
	v_fmac_f32_e32 v18, v19, v18
	v_div_scale_f32 v19, vcc, 1.0, v16, 1.0
	v_mul_f32_e32 v20, v19, v18
	v_fma_f32 v21, -v17, v20, v19
	v_fmac_f32_e32 v20, v21, v18
	v_fma_f32 v17, -v17, v20, v19
	v_div_fmas_f32 v17, v17, v18, v20
	v_div_fixup_f32 v16, v17, v16, 1.0
	v_cndmask_b32_e64 v14, v14, v16, s[24:25]
	v_cndmask_b32_e64 v13, v13, v16, s[22:23]
	;; [unrolled: 1-line block ×13, first 2 shown]
	v_xor_b32_e32 v16, 0x80000000, v16
.LBB76_3:
	s_cmpk_eq_i32 s28, 0x79
	v_add_u32_e32 v59, 64, v15
	ds_write_b32 v15, v16
	s_cbranch_scc1 .LBB76_7
; %bb.4:
	s_waitcnt vmcnt(0)
	v_pk_mov_b32 v[30:31], v[16:17], v[16:17] op_sel:[0,1]
	v_cmp_eq_u32_e64 s[2:3], 12, v0
	v_pk_mov_b32 v[28:29], v[14:15], v[14:15] op_sel:[0,1]
	v_pk_mov_b32 v[26:27], v[12:13], v[12:13] op_sel:[0,1]
	;; [unrolled: 1-line block ×7, first 2 shown]
	ds_write_b32 v59, v13
	s_waitcnt lgkmcnt(0)
	; wave barrier
	s_waitcnt lgkmcnt(0)
	s_and_saveexec_b64 s[0:1], s[2:3]
	s_cbranch_execz .LBB76_11
; %bb.5:
	s_and_b64 vcc, exec, s[26:27]
	s_cbranch_vccz .LBB76_8
; %bb.6:
	v_cmp_eq_u32_e32 vcc, 1, v0
	v_cndmask_b32_e32 v15, v2, v3, vcc
	v_cmp_eq_u32_e32 vcc, 2, v0
	v_cndmask_b32_e32 v15, v15, v4, vcc
	;; [unrolled: 2-line block ×8, first 2 shown]
	v_cmp_eq_u32_e32 vcc, 9, v0
	ds_read_b32 v16, v59
	v_cndmask_b32_e32 v15, v15, v11, vcc
	v_cmp_eq_u32_e32 vcc, 10, v0
	v_cndmask_b32_e32 v15, v15, v12, vcc
	v_cmp_eq_u32_e32 vcc, 11, v0
	;; [unrolled: 2-line block ×3, first 2 shown]
	v_cndmask_b32_e32 v15, v15, v14, vcc
	s_waitcnt lgkmcnt(0)
	v_mul_f32_e32 v15, v15, v16
	s_cbranch_execz .LBB76_9
	s_branch .LBB76_10
.LBB76_7:
                                        ; implicit-def: $vgpr16_vgpr17_vgpr18_vgpr19_vgpr20_vgpr21_vgpr22_vgpr23_vgpr24_vgpr25_vgpr26_vgpr27_vgpr28_vgpr29_vgpr30_vgpr31
	s_cbranch_execnz .LBB76_178
	s_branch .LBB76_303
.LBB76_8:
                                        ; implicit-def: $vgpr15
.LBB76_9:
	ds_read_b32 v15, v59
.LBB76_10:
	v_mov_b32_e32 v16, 0
	ds_read_b32 v20, v16 offset:44
	v_mov_b32_e32 v16, v2
	v_mov_b32_e32 v17, v3
	;; [unrolled: 1-line block ×4, first 2 shown]
	s_waitcnt lgkmcnt(0)
	v_mul_f32_e32 v27, v15, v20
	v_mov_b32_e32 v20, v6
	v_mov_b32_e32 v21, v7
	;; [unrolled: 1-line block ×8, first 2 shown]
.LBB76_11:
	s_or_b64 exec, exec, s[0:1]
	v_cmp_lt_u32_e64 s[0:1], 10, v0
	ds_write_b32 v59, v26
	s_waitcnt lgkmcnt(0)
	; wave barrier
	s_waitcnt lgkmcnt(0)
	s_and_saveexec_b64 s[4:5], s[0:1]
	s_cbranch_execz .LBB76_17
; %bb.12:
	s_andn2_b64 vcc, exec, s[26:27]
	s_cbranch_vccnz .LBB76_14
; %bb.13:
	v_cmp_eq_u32_e32 vcc, 1, v0
	v_cndmask_b32_e32 v15, v16, v17, vcc
	v_cmp_eq_u32_e32 vcc, 2, v0
	v_cndmask_b32_e32 v15, v15, v18, vcc
	v_cmp_eq_u32_e32 vcc, 3, v0
	v_cndmask_b32_e32 v15, v15, v19, vcc
	v_cmp_eq_u32_e32 vcc, 4, v0
	v_cndmask_b32_e32 v15, v15, v20, vcc
	v_cmp_eq_u32_e32 vcc, 5, v0
	v_cndmask_b32_e32 v15, v15, v21, vcc
	v_cmp_eq_u32_e32 vcc, 6, v0
	v_cndmask_b32_e32 v15, v15, v22, vcc
	v_cmp_eq_u32_e32 vcc, 7, v0
	v_cndmask_b32_e32 v15, v15, v23, vcc
	v_cmp_eq_u32_e32 vcc, 8, v0
	v_cndmask_b32_e32 v15, v15, v24, vcc
	v_cmp_eq_u32_e32 vcc, 9, v0
	v_cndmask_b32_e32 v15, v15, v25, vcc
	v_cmp_eq_u32_e32 vcc, 10, v0
	v_cndmask_b32_e32 v15, v15, v26, vcc
	ds_read_b32 v26, v59
	v_cmp_eq_u32_e32 vcc, 11, v0
	v_cndmask_b32_e32 v15, v15, v27, vcc
	v_cmp_eq_u32_e32 vcc, 12, v0
	v_cndmask_b32_e32 v15, v15, v28, vcc
	s_waitcnt lgkmcnt(0)
	v_mul_f32_e32 v15, v15, v26
	s_cbranch_execz .LBB76_15
	s_branch .LBB76_16
.LBB76_14:
                                        ; implicit-def: $vgpr15
.LBB76_15:
	ds_read_b32 v15, v59
.LBB76_16:
	v_mov_b32_e32 v26, 0
	ds_read2_b32 v[30:31], v26 offset0:10 offset1:27
	s_waitcnt lgkmcnt(0)
	v_fma_f32 v26, v27, v31, v15
	v_cndmask_b32_e64 v15, v15, v26, s[2:3]
	v_mul_f32_e32 v26, v15, v30
.LBB76_17:
	s_or_b64 exec, exec, s[4:5]
	v_cmp_lt_u32_e64 s[2:3], 9, v0
	ds_write_b32 v59, v25
	s_waitcnt lgkmcnt(0)
	; wave barrier
	s_waitcnt lgkmcnt(0)
	s_and_saveexec_b64 s[4:5], s[2:3]
	s_cbranch_execz .LBB76_33
; %bb.18:
	s_andn2_b64 vcc, exec, s[26:27]
	s_cbranch_vccnz .LBB76_20
; %bb.19:
	v_cmp_eq_u32_e32 vcc, 1, v0
	v_cndmask_b32_e32 v15, v16, v17, vcc
	v_cmp_eq_u32_e32 vcc, 2, v0
	v_cndmask_b32_e32 v15, v15, v18, vcc
	;; [unrolled: 2-line block ×8, first 2 shown]
	v_cmp_eq_u32_e32 vcc, 9, v0
	ds_read_b32 v58, v59
	v_cndmask_b32_e32 v15, v15, v25, vcc
	v_cmp_eq_u32_e32 vcc, 10, v0
	v_cndmask_b32_e32 v15, v15, v26, vcc
	v_cmp_eq_u32_e32 vcc, 11, v0
	;; [unrolled: 2-line block ×3, first 2 shown]
	v_cndmask_b32_e32 v15, v15, v28, vcc
	s_waitcnt lgkmcnt(0)
	v_mul_f32_e32 v61, v15, v58
	s_cbranch_execz .LBB76_21
	s_branch .LBB76_22
.LBB76_20:
                                        ; implicit-def: $vgpr61
.LBB76_21:
	ds_read_b32 v61, v59
.LBB76_22:
	s_and_saveexec_b64 s[6:7], s[0:1]
	s_cbranch_execz .LBB76_32
; %bb.23:
	v_add_u32_e32 v58, -11, v0
	v_add_u32_e32 v15, -10, v0
	v_cmp_lt_u32_e32 vcc, 6, v58
	v_mov_b32_e32 v58, 10
	s_and_saveexec_b64 s[0:1], vcc
	s_cbranch_execz .LBB76_27
; %bb.24:
	v_and_b32_e32 v58, -8, v15
	v_sub_u32_e32 v60, 0, v58
	s_mov_b64 s[8:9], 17
	s_movk_i32 s12, 0x68
	s_mov_b64 s[10:11], 0
.LBB76_25:                              ; =>This Inner Loop Header: Depth=1
	s_add_i32 s13, s8, -7
	v_mov_b32_e32 v58, s12
	s_add_i32 s14, s8, -6
	s_set_gpr_idx_on s13, gpr_idx(SRC0)
	v_mov_b32_e32 v70, v16
	s_set_gpr_idx_off
	ds_read2_b64 v[62:65], v58 offset1:1
	s_add_i32 s15, s8, -5
	s_set_gpr_idx_on s14, gpr_idx(SRC0)
	v_mov_b32_e32 v71, v16
	s_set_gpr_idx_off
	s_add_i32 s16, s8, -4
	s_set_gpr_idx_on s15, gpr_idx(SRC0)
	v_mov_b32_e32 v72, v16
	s_set_gpr_idx_off
	s_add_i32 s17, s8, -3
	s_set_gpr_idx_on s16, gpr_idx(SRC0)
	v_mov_b32_e32 v73, v16
	s_set_gpr_idx_off
	s_add_i32 s18, s8, -2
	s_set_gpr_idx_on s17, gpr_idx(SRC0)
	v_mov_b32_e32 v74, v16
	s_set_gpr_idx_off
	ds_read2_b64 v[66:69], v58 offset0:2 offset1:3
	s_add_i32 s19, s8, -1
	s_waitcnt lgkmcnt(1)
	v_fmac_f32_e32 v61, v70, v62
	s_set_gpr_idx_on s18, gpr_idx(SRC0)
	v_mov_b32_e32 v62, v16
	s_set_gpr_idx_off
	v_fmac_f32_e32 v61, v71, v63
	s_set_gpr_idx_on s19, gpr_idx(SRC0)
	v_mov_b32_e32 v63, v16
	s_set_gpr_idx_off
	;; [unrolled: 4-line block ×3, first 2 shown]
	v_fmac_f32_e32 v61, v73, v65
	s_add_u32 s8, s8, 8
	s_waitcnt lgkmcnt(0)
	v_fmac_f32_e32 v61, v74, v66
	v_add_u32_e32 v58, s8, v60
	v_fmac_f32_e32 v61, v62, v67
	s_addc_u32 s9, s9, 0
	s_add_i32 s12, s12, 32
	s_add_i32 s13, s8, -7
	v_cmp_eq_u32_e32 vcc, 17, v58
	v_fmac_f32_e32 v61, v63, v68
	v_mov_b32_e32 v58, s13
	s_or_b64 s[10:11], vcc, s[10:11]
	v_fmac_f32_e32 v61, v64, v69
	s_andn2_b64 exec, exec, s[10:11]
	s_cbranch_execnz .LBB76_25
; %bb.26:
	s_or_b64 exec, exec, s[10:11]
.LBB76_27:
	s_or_b64 exec, exec, s[0:1]
	v_and_b32_e32 v29, 7, v15
	v_cmp_ne_u32_e32 vcc, 0, v29
	s_and_saveexec_b64 s[8:9], vcc
	s_cbranch_execz .LBB76_31
; %bb.28:
	v_lshl_add_u32 v30, v58, 2, 64
	v_mov_b32_e32 v15, 0
	s_mov_b64 s[10:11], 0
.LBB76_29:                              ; =>This Inner Loop Header: Depth=1
	v_cmp_eq_u32_e32 vcc, 1, v58
	v_cndmask_b32_e32 v31, v16, v17, vcc
	v_add_u32_e32 v29, -1, v29
	v_cmp_eq_u32_e32 vcc, 2, v58
	v_cndmask_b32_e32 v31, v31, v18, vcc
	v_cmp_eq_u32_e32 vcc, 0, v29
	v_cmp_eq_u32_e64 s[0:1], 3, v58
	v_cndmask_b32_e64 v31, v31, v19, s[0:1]
	s_or_b64 s[10:11], vcc, s[10:11]
	v_cmp_eq_u32_e32 vcc, 4, v58
	v_cndmask_b32_e32 v31, v31, v20, vcc
	v_cmp_eq_u32_e32 vcc, 5, v58
	v_cndmask_b32_e32 v31, v31, v21, vcc
	;; [unrolled: 2-line block ×4, first 2 shown]
	v_cmp_eq_u32_e32 vcc, 8, v58
	ds_read_b32 v60, v30
	v_cndmask_b32_e32 v31, v31, v24, vcc
	v_cmp_eq_u32_e32 vcc, 9, v58
	v_cndmask_b32_e32 v31, v31, v25, vcc
	v_cmp_eq_u32_e32 vcc, 10, v58
	;; [unrolled: 2-line block ×4, first 2 shown]
	v_add_co_u32_e64 v58, s[0:1], 1, v58
	v_cndmask_b32_e32 v31, v31, v28, vcc
	v_add_u32_e32 v30, 4, v30
	v_addc_co_u32_e64 v15, s[0:1], 0, v15, s[0:1]
	s_waitcnt lgkmcnt(0)
	v_fmac_f32_e32 v61, v31, v60
	s_andn2_b64 exec, exec, s[10:11]
	s_cbranch_execnz .LBB76_29
; %bb.30:
	s_or_b64 exec, exec, s[10:11]
.LBB76_31:
	s_or_b64 exec, exec, s[8:9]
.LBB76_32:
	s_or_b64 exec, exec, s[6:7]
	v_mov_b32_e32 v15, 0
	ds_read_b32 v15, v15 offset:36
	s_waitcnt lgkmcnt(0)
	v_mul_f32_e32 v25, v61, v15
.LBB76_33:
	s_or_b64 exec, exec, s[4:5]
	v_cmp_lt_u32_e64 s[0:1], 8, v0
	ds_write_b32 v59, v24
	s_waitcnt lgkmcnt(0)
	; wave barrier
	s_waitcnt lgkmcnt(0)
	s_and_saveexec_b64 s[4:5], s[0:1]
	s_cbranch_execz .LBB76_49
; %bb.34:
	s_andn2_b64 vcc, exec, s[26:27]
	s_cbranch_vccnz .LBB76_36
; %bb.35:
	v_cmp_eq_u32_e32 vcc, 1, v0
	v_cndmask_b32_e32 v15, v16, v17, vcc
	v_cmp_eq_u32_e32 vcc, 2, v0
	v_cndmask_b32_e32 v15, v15, v18, vcc
	;; [unrolled: 2-line block ×8, first 2 shown]
	v_cmp_eq_u32_e32 vcc, 9, v0
	ds_read_b32 v58, v59
	v_cndmask_b32_e32 v15, v15, v25, vcc
	v_cmp_eq_u32_e32 vcc, 10, v0
	v_cndmask_b32_e32 v15, v15, v26, vcc
	v_cmp_eq_u32_e32 vcc, 11, v0
	;; [unrolled: 2-line block ×3, first 2 shown]
	v_cndmask_b32_e32 v15, v15, v28, vcc
	s_waitcnt lgkmcnt(0)
	v_mul_f32_e32 v61, v15, v58
	s_cbranch_execz .LBB76_37
	s_branch .LBB76_38
.LBB76_36:
                                        ; implicit-def: $vgpr61
.LBB76_37:
	ds_read_b32 v61, v59
.LBB76_38:
	s_and_saveexec_b64 s[6:7], s[2:3]
	s_cbranch_execz .LBB76_48
; %bb.39:
	v_add_u32_e32 v58, -10, v0
	v_add_u32_e32 v15, -9, v0
	v_cmp_lt_u32_e32 vcc, 6, v58
	v_mov_b32_e32 v58, 9
	s_and_saveexec_b64 s[2:3], vcc
	s_cbranch_execz .LBB76_43
; %bb.40:
	v_and_b32_e32 v58, -8, v15
	v_sub_u32_e32 v60, 0, v58
	s_mov_b64 s[8:9], 16
	s_movk_i32 s12, 0x64
	s_mov_b64 s[10:11], 0
.LBB76_41:                              ; =>This Inner Loop Header: Depth=1
	s_add_i32 s13, s8, -7
	v_mov_b32_e32 v58, s12
	s_add_i32 s14, s8, -6
	s_set_gpr_idx_on s13, gpr_idx(SRC0)
	v_mov_b32_e32 v68, v16
	s_set_gpr_idx_off
	ds_read2_b32 v[62:63], v58 offset1:1
	s_add_i32 s15, s8, -5
	s_set_gpr_idx_on s14, gpr_idx(SRC0)
	v_mov_b32_e32 v69, v16
	s_set_gpr_idx_off
	s_add_i32 s16, s8, -4
	s_set_gpr_idx_on s15, gpr_idx(SRC0)
	v_mov_b32_e32 v70, v16
	s_set_gpr_idx_off
	ds_read2_b32 v[64:65], v58 offset0:2 offset1:3
	s_add_i32 s17, s8, -3
	s_set_gpr_idx_on s16, gpr_idx(SRC0)
	v_mov_b32_e32 v71, v16
	s_set_gpr_idx_off
	s_add_i32 s18, s8, -2
	s_set_gpr_idx_on s17, gpr_idx(SRC0)
	v_mov_b32_e32 v72, v16
	s_set_gpr_idx_off
	ds_read2_b32 v[66:67], v58 offset0:4 offset1:5
	s_add_i32 s19, s8, -1
	s_waitcnt lgkmcnt(2)
	v_fmac_f32_e32 v61, v68, v62
	s_set_gpr_idx_on s18, gpr_idx(SRC0)
	v_mov_b32_e32 v68, v16
	s_set_gpr_idx_off
	v_fmac_f32_e32 v61, v69, v63
	s_set_gpr_idx_on s19, gpr_idx(SRC0)
	v_mov_b32_e32 v69, v16
	s_set_gpr_idx_off
	ds_read2_b32 v[62:63], v58 offset0:6 offset1:7
	s_waitcnt lgkmcnt(2)
	v_fmac_f32_e32 v61, v70, v64
	s_set_gpr_idx_on s8, gpr_idx(SRC0)
	v_mov_b32_e32 v64, v16
	s_set_gpr_idx_off
	v_fmac_f32_e32 v61, v71, v65
	s_add_u32 s8, s8, 8
	s_waitcnt lgkmcnt(1)
	v_fmac_f32_e32 v61, v72, v66
	v_add_u32_e32 v58, s8, v60
	v_fmac_f32_e32 v61, v68, v67
	s_addc_u32 s9, s9, 0
	s_add_i32 s12, s12, 32
	s_add_i32 s13, s8, -7
	v_cmp_eq_u32_e32 vcc, 16, v58
	s_waitcnt lgkmcnt(0)
	v_fmac_f32_e32 v61, v69, v62
	v_mov_b32_e32 v58, s13
	s_or_b64 s[10:11], vcc, s[10:11]
	v_fmac_f32_e32 v61, v64, v63
	s_andn2_b64 exec, exec, s[10:11]
	s_cbranch_execnz .LBB76_41
; %bb.42:
	s_or_b64 exec, exec, s[10:11]
.LBB76_43:
	s_or_b64 exec, exec, s[2:3]
	v_and_b32_e32 v29, 7, v15
	v_cmp_ne_u32_e32 vcc, 0, v29
	s_and_saveexec_b64 s[8:9], vcc
	s_cbranch_execz .LBB76_47
; %bb.44:
	v_lshl_add_u32 v30, v58, 2, 64
	v_mov_b32_e32 v15, 0
	s_mov_b64 s[10:11], 0
.LBB76_45:                              ; =>This Inner Loop Header: Depth=1
	v_cmp_eq_u32_e32 vcc, 1, v58
	v_cndmask_b32_e32 v31, v16, v17, vcc
	v_add_u32_e32 v29, -1, v29
	v_cmp_eq_u32_e32 vcc, 2, v58
	v_cndmask_b32_e32 v31, v31, v18, vcc
	v_cmp_eq_u32_e32 vcc, 0, v29
	v_cmp_eq_u32_e64 s[2:3], 3, v58
	v_cndmask_b32_e64 v31, v31, v19, s[2:3]
	s_or_b64 s[10:11], vcc, s[10:11]
	v_cmp_eq_u32_e32 vcc, 4, v58
	v_cndmask_b32_e32 v31, v31, v20, vcc
	v_cmp_eq_u32_e32 vcc, 5, v58
	v_cndmask_b32_e32 v31, v31, v21, vcc
	;; [unrolled: 2-line block ×4, first 2 shown]
	v_cmp_eq_u32_e32 vcc, 8, v58
	ds_read_b32 v60, v30
	v_cndmask_b32_e32 v31, v31, v24, vcc
	v_cmp_eq_u32_e32 vcc, 9, v58
	v_cndmask_b32_e32 v31, v31, v25, vcc
	v_cmp_eq_u32_e32 vcc, 10, v58
	;; [unrolled: 2-line block ×4, first 2 shown]
	v_add_co_u32_e64 v58, s[2:3], 1, v58
	v_cndmask_b32_e32 v31, v31, v28, vcc
	v_add_u32_e32 v30, 4, v30
	v_addc_co_u32_e64 v15, s[2:3], 0, v15, s[2:3]
	s_waitcnt lgkmcnt(0)
	v_fmac_f32_e32 v61, v31, v60
	s_andn2_b64 exec, exec, s[10:11]
	s_cbranch_execnz .LBB76_45
; %bb.46:
	s_or_b64 exec, exec, s[10:11]
.LBB76_47:
	s_or_b64 exec, exec, s[8:9]
.LBB76_48:
	s_or_b64 exec, exec, s[6:7]
	v_mov_b32_e32 v15, 0
	ds_read_b32 v15, v15 offset:32
	s_waitcnt lgkmcnt(0)
	v_mul_f32_e32 v24, v61, v15
.LBB76_49:
	s_or_b64 exec, exec, s[4:5]
	v_cmp_lt_u32_e64 s[2:3], 7, v0
	ds_write_b32 v59, v23
	s_waitcnt lgkmcnt(0)
	; wave barrier
	s_waitcnt lgkmcnt(0)
	s_and_saveexec_b64 s[4:5], s[2:3]
	s_cbranch_execz .LBB76_65
; %bb.50:
	s_andn2_b64 vcc, exec, s[26:27]
	s_cbranch_vccnz .LBB76_52
; %bb.51:
	v_cmp_eq_u32_e32 vcc, 1, v0
	v_cndmask_b32_e32 v15, v16, v17, vcc
	v_cmp_eq_u32_e32 vcc, 2, v0
	v_cndmask_b32_e32 v15, v15, v18, vcc
	;; [unrolled: 2-line block ×8, first 2 shown]
	v_cmp_eq_u32_e32 vcc, 9, v0
	ds_read_b32 v58, v59
	v_cndmask_b32_e32 v15, v15, v25, vcc
	v_cmp_eq_u32_e32 vcc, 10, v0
	v_cndmask_b32_e32 v15, v15, v26, vcc
	v_cmp_eq_u32_e32 vcc, 11, v0
	;; [unrolled: 2-line block ×3, first 2 shown]
	v_cndmask_b32_e32 v15, v15, v28, vcc
	s_waitcnt lgkmcnt(0)
	v_mul_f32_e32 v61, v15, v58
	s_cbranch_execz .LBB76_53
	s_branch .LBB76_54
.LBB76_52:
                                        ; implicit-def: $vgpr61
.LBB76_53:
	ds_read_b32 v61, v59
.LBB76_54:
	s_and_saveexec_b64 s[6:7], s[0:1]
	s_cbranch_execz .LBB76_64
; %bb.55:
	v_add_u32_e32 v15, -9, v0
	v_cmp_lt_u32_e32 vcc, 6, v15
	v_mov_b32_e32 v58, 8
	s_and_saveexec_b64 s[0:1], vcc
	s_cbranch_execz .LBB76_59
; %bb.56:
	v_and_b32_e32 v15, 8, v0
	v_sub_u32_e32 v60, 0, v15
	s_mov_b64 s[8:9], 15
	s_movk_i32 s12, 0x60
	s_mov_b64 s[10:11], 0
.LBB76_57:                              ; =>This Inner Loop Header: Depth=1
	s_add_i32 s13, s8, -7
	v_mov_b32_e32 v15, s12
	s_add_i32 s14, s8, -6
	s_set_gpr_idx_on s13, gpr_idx(SRC0)
	v_mov_b32_e32 v58, v16
	s_set_gpr_idx_off
	s_add_i32 s15, s8, -5
	ds_read_b128 v[62:65], v15
	ds_read_b128 v[66:69], v15 offset:16
	s_set_gpr_idx_on s14, gpr_idx(SRC0)
	v_mov_b32_e32 v15, v16
	s_set_gpr_idx_off
	s_add_i32 s16, s8, -4
	s_set_gpr_idx_on s15, gpr_idx(SRC0)
	v_mov_b32_e32 v70, v16
	s_set_gpr_idx_off
	s_add_i32 s17, s8, -3
	;; [unrolled: 4-line block ×4, first 2 shown]
	s_waitcnt lgkmcnt(1)
	v_fmac_f32_e32 v61, v58, v62
	s_set_gpr_idx_on s18, gpr_idx(SRC0)
	v_mov_b32_e32 v62, v16
	s_set_gpr_idx_off
	v_fmac_f32_e32 v61, v15, v63
	s_set_gpr_idx_on s19, gpr_idx(SRC0)
	v_mov_b32_e32 v15, v16
	s_set_gpr_idx_off
	v_fmac_f32_e32 v61, v70, v64
	s_set_gpr_idx_on s8, gpr_idx(SRC0)
	v_mov_b32_e32 v63, v16
	s_set_gpr_idx_off
	v_fmac_f32_e32 v61, v71, v65
	s_add_u32 s8, s8, 8
	s_waitcnt lgkmcnt(0)
	v_fmac_f32_e32 v61, v72, v66
	v_add_u32_e32 v58, s8, v60
	v_fmac_f32_e32 v61, v62, v67
	s_addc_u32 s9, s9, 0
	s_add_i32 s12, s12, 32
	s_add_i32 s13, s8, -7
	v_cmp_eq_u32_e32 vcc, 7, v58
	v_fmac_f32_e32 v61, v15, v68
	v_mov_b32_e32 v58, s13
	s_or_b64 s[10:11], vcc, s[10:11]
	v_fmac_f32_e32 v61, v63, v69
	s_andn2_b64 exec, exec, s[10:11]
	s_cbranch_execnz .LBB76_57
; %bb.58:
	s_or_b64 exec, exec, s[10:11]
.LBB76_59:
	s_or_b64 exec, exec, s[0:1]
	v_and_b32_e32 v29, 7, v0
	v_cmp_ne_u32_e32 vcc, 0, v29
	s_and_saveexec_b64 s[8:9], vcc
	s_cbranch_execz .LBB76_63
; %bb.60:
	v_lshl_add_u32 v30, v58, 2, 64
	v_mov_b32_e32 v15, 0
	s_mov_b64 s[10:11], 0
.LBB76_61:                              ; =>This Inner Loop Header: Depth=1
	v_cmp_eq_u32_e32 vcc, 1, v58
	v_cndmask_b32_e32 v31, v16, v17, vcc
	v_add_u32_e32 v29, -1, v29
	v_cmp_eq_u32_e32 vcc, 2, v58
	v_cndmask_b32_e32 v31, v31, v18, vcc
	v_cmp_eq_u32_e32 vcc, 0, v29
	v_cmp_eq_u32_e64 s[0:1], 3, v58
	v_cndmask_b32_e64 v31, v31, v19, s[0:1]
	s_or_b64 s[10:11], vcc, s[10:11]
	v_cmp_eq_u32_e32 vcc, 4, v58
	v_cndmask_b32_e32 v31, v31, v20, vcc
	v_cmp_eq_u32_e32 vcc, 5, v58
	v_cndmask_b32_e32 v31, v31, v21, vcc
	;; [unrolled: 2-line block ×4, first 2 shown]
	v_cmp_eq_u32_e32 vcc, 8, v58
	ds_read_b32 v60, v30
	v_cndmask_b32_e32 v31, v31, v24, vcc
	v_cmp_eq_u32_e32 vcc, 9, v58
	v_cndmask_b32_e32 v31, v31, v25, vcc
	v_cmp_eq_u32_e32 vcc, 10, v58
	;; [unrolled: 2-line block ×4, first 2 shown]
	v_add_co_u32_e64 v58, s[0:1], 1, v58
	v_cndmask_b32_e32 v31, v31, v28, vcc
	v_add_u32_e32 v30, 4, v30
	v_addc_co_u32_e64 v15, s[0:1], 0, v15, s[0:1]
	s_waitcnt lgkmcnt(0)
	v_fmac_f32_e32 v61, v31, v60
	s_andn2_b64 exec, exec, s[10:11]
	s_cbranch_execnz .LBB76_61
; %bb.62:
	s_or_b64 exec, exec, s[10:11]
.LBB76_63:
	s_or_b64 exec, exec, s[8:9]
.LBB76_64:
	s_or_b64 exec, exec, s[6:7]
	v_mov_b32_e32 v15, 0
	ds_read_b32 v15, v15 offset:28
	s_waitcnt lgkmcnt(0)
	v_mul_f32_e32 v23, v61, v15
.LBB76_65:
	s_or_b64 exec, exec, s[4:5]
	v_cmp_lt_u32_e64 s[0:1], 6, v0
	ds_write_b32 v59, v22
	s_waitcnt lgkmcnt(0)
	; wave barrier
	s_waitcnt lgkmcnt(0)
	s_and_saveexec_b64 s[4:5], s[0:1]
	s_cbranch_execz .LBB76_81
; %bb.66:
	s_andn2_b64 vcc, exec, s[26:27]
	s_cbranch_vccnz .LBB76_68
; %bb.67:
	v_cmp_eq_u32_e32 vcc, 1, v0
	v_cndmask_b32_e32 v15, v16, v17, vcc
	v_cmp_eq_u32_e32 vcc, 2, v0
	v_cndmask_b32_e32 v15, v15, v18, vcc
	;; [unrolled: 2-line block ×8, first 2 shown]
	v_cmp_eq_u32_e32 vcc, 9, v0
	ds_read_b32 v58, v59
	v_cndmask_b32_e32 v15, v15, v25, vcc
	v_cmp_eq_u32_e32 vcc, 10, v0
	v_cndmask_b32_e32 v15, v15, v26, vcc
	v_cmp_eq_u32_e32 vcc, 11, v0
	;; [unrolled: 2-line block ×3, first 2 shown]
	v_cndmask_b32_e32 v15, v15, v28, vcc
	s_waitcnt lgkmcnt(0)
	v_mul_f32_e32 v61, v15, v58
	s_cbranch_execz .LBB76_69
	s_branch .LBB76_70
.LBB76_68:
                                        ; implicit-def: $vgpr61
.LBB76_69:
	ds_read_b32 v61, v59
.LBB76_70:
	s_and_saveexec_b64 s[6:7], s[2:3]
	s_cbranch_execz .LBB76_80
; %bb.71:
	v_add_u32_e32 v58, -8, v0
	v_add_u32_e32 v15, -7, v0
	v_cmp_lt_u32_e32 vcc, 6, v58
	v_mov_b32_e32 v58, 7
	s_and_saveexec_b64 s[2:3], vcc
	s_cbranch_execz .LBB76_75
; %bb.72:
	v_and_b32_e32 v58, -8, v15
	v_sub_u32_e32 v60, 0, v58
	s_mov_b64 s[8:9], 14
	s_movk_i32 s12, 0x5c
	s_mov_b64 s[10:11], 0
.LBB76_73:                              ; =>This Inner Loop Header: Depth=1
	s_add_i32 s13, s8, -7
	v_mov_b32_e32 v58, s12
	s_add_i32 s14, s8, -6
	s_set_gpr_idx_on s13, gpr_idx(SRC0)
	v_mov_b32_e32 v68, v16
	s_set_gpr_idx_off
	ds_read2_b32 v[62:63], v58 offset1:1
	s_add_i32 s15, s8, -5
	s_set_gpr_idx_on s14, gpr_idx(SRC0)
	v_mov_b32_e32 v69, v16
	s_set_gpr_idx_off
	s_add_i32 s16, s8, -4
	s_set_gpr_idx_on s15, gpr_idx(SRC0)
	v_mov_b32_e32 v70, v16
	s_set_gpr_idx_off
	ds_read2_b32 v[64:65], v58 offset0:2 offset1:3
	s_add_i32 s17, s8, -3
	s_set_gpr_idx_on s16, gpr_idx(SRC0)
	v_mov_b32_e32 v71, v16
	s_set_gpr_idx_off
	s_add_i32 s18, s8, -2
	s_set_gpr_idx_on s17, gpr_idx(SRC0)
	v_mov_b32_e32 v72, v16
	s_set_gpr_idx_off
	ds_read2_b32 v[66:67], v58 offset0:4 offset1:5
	s_add_i32 s19, s8, -1
	s_waitcnt lgkmcnt(2)
	v_fmac_f32_e32 v61, v68, v62
	s_set_gpr_idx_on s18, gpr_idx(SRC0)
	v_mov_b32_e32 v68, v16
	s_set_gpr_idx_off
	v_fmac_f32_e32 v61, v69, v63
	s_set_gpr_idx_on s19, gpr_idx(SRC0)
	v_mov_b32_e32 v69, v16
	s_set_gpr_idx_off
	ds_read2_b32 v[62:63], v58 offset0:6 offset1:7
	s_waitcnt lgkmcnt(2)
	v_fmac_f32_e32 v61, v70, v64
	s_set_gpr_idx_on s8, gpr_idx(SRC0)
	v_mov_b32_e32 v64, v16
	s_set_gpr_idx_off
	v_fmac_f32_e32 v61, v71, v65
	s_add_u32 s8, s8, 8
	s_waitcnt lgkmcnt(1)
	v_fmac_f32_e32 v61, v72, v66
	v_add_u32_e32 v58, s8, v60
	v_fmac_f32_e32 v61, v68, v67
	s_addc_u32 s9, s9, 0
	s_add_i32 s12, s12, 32
	s_add_i32 s13, s8, -7
	v_cmp_eq_u32_e32 vcc, 14, v58
	s_waitcnt lgkmcnt(0)
	v_fmac_f32_e32 v61, v69, v62
	v_mov_b32_e32 v58, s13
	s_or_b64 s[10:11], vcc, s[10:11]
	v_fmac_f32_e32 v61, v64, v63
	s_andn2_b64 exec, exec, s[10:11]
	s_cbranch_execnz .LBB76_73
; %bb.74:
	s_or_b64 exec, exec, s[10:11]
.LBB76_75:
	s_or_b64 exec, exec, s[2:3]
	v_and_b32_e32 v29, 7, v15
	v_cmp_ne_u32_e32 vcc, 0, v29
	s_and_saveexec_b64 s[8:9], vcc
	s_cbranch_execz .LBB76_79
; %bb.76:
	v_lshl_add_u32 v30, v58, 2, 64
	v_mov_b32_e32 v15, 0
	s_mov_b64 s[10:11], 0
.LBB76_77:                              ; =>This Inner Loop Header: Depth=1
	v_cmp_eq_u32_e32 vcc, 1, v58
	v_cndmask_b32_e32 v31, v16, v17, vcc
	v_add_u32_e32 v29, -1, v29
	v_cmp_eq_u32_e32 vcc, 2, v58
	v_cndmask_b32_e32 v31, v31, v18, vcc
	v_cmp_eq_u32_e32 vcc, 0, v29
	v_cmp_eq_u32_e64 s[2:3], 3, v58
	v_cndmask_b32_e64 v31, v31, v19, s[2:3]
	s_or_b64 s[10:11], vcc, s[10:11]
	v_cmp_eq_u32_e32 vcc, 4, v58
	v_cndmask_b32_e32 v31, v31, v20, vcc
	v_cmp_eq_u32_e32 vcc, 5, v58
	v_cndmask_b32_e32 v31, v31, v21, vcc
	;; [unrolled: 2-line block ×4, first 2 shown]
	v_cmp_eq_u32_e32 vcc, 8, v58
	ds_read_b32 v60, v30
	v_cndmask_b32_e32 v31, v31, v24, vcc
	v_cmp_eq_u32_e32 vcc, 9, v58
	v_cndmask_b32_e32 v31, v31, v25, vcc
	v_cmp_eq_u32_e32 vcc, 10, v58
	;; [unrolled: 2-line block ×4, first 2 shown]
	v_add_co_u32_e64 v58, s[2:3], 1, v58
	v_cndmask_b32_e32 v31, v31, v28, vcc
	v_add_u32_e32 v30, 4, v30
	v_addc_co_u32_e64 v15, s[2:3], 0, v15, s[2:3]
	s_waitcnt lgkmcnt(0)
	v_fmac_f32_e32 v61, v31, v60
	s_andn2_b64 exec, exec, s[10:11]
	s_cbranch_execnz .LBB76_77
; %bb.78:
	s_or_b64 exec, exec, s[10:11]
.LBB76_79:
	s_or_b64 exec, exec, s[8:9]
.LBB76_80:
	s_or_b64 exec, exec, s[6:7]
	v_mov_b32_e32 v15, 0
	ds_read_b32 v15, v15 offset:24
	s_waitcnt lgkmcnt(0)
	v_mul_f32_e32 v22, v61, v15
.LBB76_81:
	s_or_b64 exec, exec, s[4:5]
	v_cmp_lt_u32_e64 s[2:3], 5, v0
	ds_write_b32 v59, v21
	s_waitcnt lgkmcnt(0)
	; wave barrier
	s_waitcnt lgkmcnt(0)
	s_and_saveexec_b64 s[4:5], s[2:3]
	s_cbranch_execz .LBB76_97
; %bb.82:
	s_andn2_b64 vcc, exec, s[26:27]
	s_cbranch_vccnz .LBB76_84
; %bb.83:
	v_cmp_eq_u32_e32 vcc, 1, v0
	v_cndmask_b32_e32 v15, v16, v17, vcc
	v_cmp_eq_u32_e32 vcc, 2, v0
	v_cndmask_b32_e32 v15, v15, v18, vcc
	;; [unrolled: 2-line block ×8, first 2 shown]
	v_cmp_eq_u32_e32 vcc, 9, v0
	ds_read_b32 v58, v59
	v_cndmask_b32_e32 v15, v15, v25, vcc
	v_cmp_eq_u32_e32 vcc, 10, v0
	v_cndmask_b32_e32 v15, v15, v26, vcc
	v_cmp_eq_u32_e32 vcc, 11, v0
	;; [unrolled: 2-line block ×3, first 2 shown]
	v_cndmask_b32_e32 v15, v15, v28, vcc
	s_waitcnt lgkmcnt(0)
	v_mul_f32_e32 v61, v15, v58
	s_cbranch_execz .LBB76_85
	s_branch .LBB76_86
.LBB76_84:
                                        ; implicit-def: $vgpr61
.LBB76_85:
	ds_read_b32 v61, v59
.LBB76_86:
	s_and_saveexec_b64 s[6:7], s[0:1]
	s_cbranch_execz .LBB76_96
; %bb.87:
	v_add_u32_e32 v58, -7, v0
	v_add_u32_e32 v15, -6, v0
	v_cmp_lt_u32_e32 vcc, 6, v58
	v_mov_b32_e32 v58, 6
	s_and_saveexec_b64 s[0:1], vcc
	s_cbranch_execz .LBB76_91
; %bb.88:
	v_and_b32_e32 v58, -8, v15
	v_sub_u32_e32 v60, 0, v58
	s_mov_b64 s[8:9], 13
	s_movk_i32 s12, 0x58
	s_mov_b64 s[10:11], 0
.LBB76_89:                              ; =>This Inner Loop Header: Depth=1
	s_add_i32 s13, s8, -7
	v_mov_b32_e32 v58, s12
	s_add_i32 s14, s8, -6
	s_set_gpr_idx_on s13, gpr_idx(SRC0)
	v_mov_b32_e32 v70, v16
	s_set_gpr_idx_off
	ds_read2_b64 v[62:65], v58 offset1:1
	s_add_i32 s15, s8, -5
	s_set_gpr_idx_on s14, gpr_idx(SRC0)
	v_mov_b32_e32 v71, v16
	s_set_gpr_idx_off
	s_add_i32 s16, s8, -4
	s_set_gpr_idx_on s15, gpr_idx(SRC0)
	v_mov_b32_e32 v72, v16
	s_set_gpr_idx_off
	;; [unrolled: 4-line block ×4, first 2 shown]
	ds_read2_b64 v[66:69], v58 offset0:2 offset1:3
	s_add_i32 s19, s8, -1
	s_waitcnt lgkmcnt(1)
	v_fmac_f32_e32 v61, v70, v62
	s_set_gpr_idx_on s18, gpr_idx(SRC0)
	v_mov_b32_e32 v62, v16
	s_set_gpr_idx_off
	v_fmac_f32_e32 v61, v71, v63
	s_set_gpr_idx_on s19, gpr_idx(SRC0)
	v_mov_b32_e32 v63, v16
	s_set_gpr_idx_off
	;; [unrolled: 4-line block ×3, first 2 shown]
	v_fmac_f32_e32 v61, v73, v65
	s_add_u32 s8, s8, 8
	s_waitcnt lgkmcnt(0)
	v_fmac_f32_e32 v61, v74, v66
	v_add_u32_e32 v58, s8, v60
	v_fmac_f32_e32 v61, v62, v67
	s_addc_u32 s9, s9, 0
	s_add_i32 s12, s12, 32
	s_add_i32 s13, s8, -7
	v_cmp_eq_u32_e32 vcc, 13, v58
	v_fmac_f32_e32 v61, v63, v68
	v_mov_b32_e32 v58, s13
	s_or_b64 s[10:11], vcc, s[10:11]
	v_fmac_f32_e32 v61, v64, v69
	s_andn2_b64 exec, exec, s[10:11]
	s_cbranch_execnz .LBB76_89
; %bb.90:
	s_or_b64 exec, exec, s[10:11]
.LBB76_91:
	s_or_b64 exec, exec, s[0:1]
	v_and_b32_e32 v29, 7, v15
	v_cmp_ne_u32_e32 vcc, 0, v29
	s_and_saveexec_b64 s[8:9], vcc
	s_cbranch_execz .LBB76_95
; %bb.92:
	v_lshl_add_u32 v30, v58, 2, 64
	v_mov_b32_e32 v15, 0
	s_mov_b64 s[10:11], 0
.LBB76_93:                              ; =>This Inner Loop Header: Depth=1
	v_cmp_eq_u32_e32 vcc, 1, v58
	v_cndmask_b32_e32 v31, v16, v17, vcc
	v_add_u32_e32 v29, -1, v29
	v_cmp_eq_u32_e32 vcc, 2, v58
	v_cndmask_b32_e32 v31, v31, v18, vcc
	v_cmp_eq_u32_e32 vcc, 0, v29
	v_cmp_eq_u32_e64 s[0:1], 3, v58
	v_cndmask_b32_e64 v31, v31, v19, s[0:1]
	s_or_b64 s[10:11], vcc, s[10:11]
	v_cmp_eq_u32_e32 vcc, 4, v58
	v_cndmask_b32_e32 v31, v31, v20, vcc
	v_cmp_eq_u32_e32 vcc, 5, v58
	v_cndmask_b32_e32 v31, v31, v21, vcc
	;; [unrolled: 2-line block ×4, first 2 shown]
	v_cmp_eq_u32_e32 vcc, 8, v58
	ds_read_b32 v60, v30
	v_cndmask_b32_e32 v31, v31, v24, vcc
	v_cmp_eq_u32_e32 vcc, 9, v58
	v_cndmask_b32_e32 v31, v31, v25, vcc
	v_cmp_eq_u32_e32 vcc, 10, v58
	;; [unrolled: 2-line block ×4, first 2 shown]
	v_add_co_u32_e64 v58, s[0:1], 1, v58
	v_cndmask_b32_e32 v31, v31, v28, vcc
	v_add_u32_e32 v30, 4, v30
	v_addc_co_u32_e64 v15, s[0:1], 0, v15, s[0:1]
	s_waitcnt lgkmcnt(0)
	v_fmac_f32_e32 v61, v31, v60
	s_andn2_b64 exec, exec, s[10:11]
	s_cbranch_execnz .LBB76_93
; %bb.94:
	s_or_b64 exec, exec, s[10:11]
.LBB76_95:
	s_or_b64 exec, exec, s[8:9]
.LBB76_96:
	s_or_b64 exec, exec, s[6:7]
	v_mov_b32_e32 v15, 0
	ds_read_b32 v15, v15 offset:20
	s_waitcnt lgkmcnt(0)
	v_mul_f32_e32 v21, v61, v15
.LBB76_97:
	s_or_b64 exec, exec, s[4:5]
	v_cmp_lt_u32_e64 s[0:1], 4, v0
	ds_write_b32 v59, v20
	s_waitcnt lgkmcnt(0)
	; wave barrier
	s_waitcnt lgkmcnt(0)
	s_and_saveexec_b64 s[4:5], s[0:1]
	s_cbranch_execz .LBB76_113
; %bb.98:
	s_andn2_b64 vcc, exec, s[26:27]
	s_cbranch_vccnz .LBB76_100
; %bb.99:
	v_cmp_eq_u32_e32 vcc, 1, v0
	v_cndmask_b32_e32 v15, v16, v17, vcc
	v_cmp_eq_u32_e32 vcc, 2, v0
	v_cndmask_b32_e32 v15, v15, v18, vcc
	;; [unrolled: 2-line block ×8, first 2 shown]
	v_cmp_eq_u32_e32 vcc, 9, v0
	ds_read_b32 v58, v59
	v_cndmask_b32_e32 v15, v15, v25, vcc
	v_cmp_eq_u32_e32 vcc, 10, v0
	v_cndmask_b32_e32 v15, v15, v26, vcc
	v_cmp_eq_u32_e32 vcc, 11, v0
	;; [unrolled: 2-line block ×3, first 2 shown]
	v_cndmask_b32_e32 v15, v15, v28, vcc
	s_waitcnt lgkmcnt(0)
	v_mul_f32_e32 v61, v15, v58
	s_cbranch_execz .LBB76_101
	s_branch .LBB76_102
.LBB76_100:
                                        ; implicit-def: $vgpr61
.LBB76_101:
	ds_read_b32 v61, v59
.LBB76_102:
	s_and_saveexec_b64 s[6:7], s[2:3]
	s_cbranch_execz .LBB76_112
; %bb.103:
	v_add_u32_e32 v58, -6, v0
	v_add_u32_e32 v15, -5, v0
	v_cmp_lt_u32_e32 vcc, 6, v58
	v_mov_b32_e32 v58, 5
	s_and_saveexec_b64 s[2:3], vcc
	s_cbranch_execz .LBB76_107
; %bb.104:
	v_and_b32_e32 v58, -8, v15
	v_sub_u32_e32 v60, 0, v58
	s_mov_b64 s[8:9], 12
	s_movk_i32 s12, 0x54
	s_mov_b64 s[10:11], 0
.LBB76_105:                             ; =>This Inner Loop Header: Depth=1
	s_add_i32 s13, s8, -7
	v_mov_b32_e32 v58, s12
	s_add_i32 s14, s8, -6
	s_set_gpr_idx_on s13, gpr_idx(SRC0)
	v_mov_b32_e32 v68, v16
	s_set_gpr_idx_off
	ds_read2_b32 v[62:63], v58 offset1:1
	s_add_i32 s15, s8, -5
	s_set_gpr_idx_on s14, gpr_idx(SRC0)
	v_mov_b32_e32 v69, v16
	s_set_gpr_idx_off
	s_add_i32 s16, s8, -4
	s_set_gpr_idx_on s15, gpr_idx(SRC0)
	v_mov_b32_e32 v70, v16
	s_set_gpr_idx_off
	ds_read2_b32 v[64:65], v58 offset0:2 offset1:3
	s_add_i32 s17, s8, -3
	s_set_gpr_idx_on s16, gpr_idx(SRC0)
	v_mov_b32_e32 v71, v16
	s_set_gpr_idx_off
	s_add_i32 s18, s8, -2
	s_set_gpr_idx_on s17, gpr_idx(SRC0)
	v_mov_b32_e32 v72, v16
	s_set_gpr_idx_off
	ds_read2_b32 v[66:67], v58 offset0:4 offset1:5
	s_add_i32 s19, s8, -1
	s_waitcnt lgkmcnt(2)
	v_fmac_f32_e32 v61, v68, v62
	s_set_gpr_idx_on s18, gpr_idx(SRC0)
	v_mov_b32_e32 v68, v16
	s_set_gpr_idx_off
	v_fmac_f32_e32 v61, v69, v63
	s_set_gpr_idx_on s19, gpr_idx(SRC0)
	v_mov_b32_e32 v69, v16
	s_set_gpr_idx_off
	ds_read2_b32 v[62:63], v58 offset0:6 offset1:7
	s_waitcnt lgkmcnt(2)
	v_fmac_f32_e32 v61, v70, v64
	s_set_gpr_idx_on s8, gpr_idx(SRC0)
	v_mov_b32_e32 v64, v16
	s_set_gpr_idx_off
	v_fmac_f32_e32 v61, v71, v65
	s_add_u32 s8, s8, 8
	s_waitcnt lgkmcnt(1)
	v_fmac_f32_e32 v61, v72, v66
	v_add_u32_e32 v58, s8, v60
	v_fmac_f32_e32 v61, v68, v67
	s_addc_u32 s9, s9, 0
	s_add_i32 s12, s12, 32
	s_add_i32 s13, s8, -7
	v_cmp_eq_u32_e32 vcc, 12, v58
	s_waitcnt lgkmcnt(0)
	v_fmac_f32_e32 v61, v69, v62
	v_mov_b32_e32 v58, s13
	s_or_b64 s[10:11], vcc, s[10:11]
	v_fmac_f32_e32 v61, v64, v63
	s_andn2_b64 exec, exec, s[10:11]
	s_cbranch_execnz .LBB76_105
; %bb.106:
	s_or_b64 exec, exec, s[10:11]
.LBB76_107:
	s_or_b64 exec, exec, s[2:3]
	v_and_b32_e32 v29, 7, v15
	v_cmp_ne_u32_e32 vcc, 0, v29
	s_and_saveexec_b64 s[8:9], vcc
	s_cbranch_execz .LBB76_111
; %bb.108:
	v_lshl_add_u32 v30, v58, 2, 64
	v_mov_b32_e32 v15, 0
	s_mov_b64 s[10:11], 0
.LBB76_109:                             ; =>This Inner Loop Header: Depth=1
	v_cmp_eq_u32_e32 vcc, 1, v58
	v_cndmask_b32_e32 v31, v16, v17, vcc
	v_add_u32_e32 v29, -1, v29
	v_cmp_eq_u32_e32 vcc, 2, v58
	v_cndmask_b32_e32 v31, v31, v18, vcc
	v_cmp_eq_u32_e32 vcc, 0, v29
	v_cmp_eq_u32_e64 s[2:3], 3, v58
	v_cndmask_b32_e64 v31, v31, v19, s[2:3]
	s_or_b64 s[10:11], vcc, s[10:11]
	v_cmp_eq_u32_e32 vcc, 4, v58
	v_cndmask_b32_e32 v31, v31, v20, vcc
	v_cmp_eq_u32_e32 vcc, 5, v58
	v_cndmask_b32_e32 v31, v31, v21, vcc
	;; [unrolled: 2-line block ×4, first 2 shown]
	v_cmp_eq_u32_e32 vcc, 8, v58
	ds_read_b32 v60, v30
	v_cndmask_b32_e32 v31, v31, v24, vcc
	v_cmp_eq_u32_e32 vcc, 9, v58
	v_cndmask_b32_e32 v31, v31, v25, vcc
	v_cmp_eq_u32_e32 vcc, 10, v58
	v_cndmask_b32_e32 v31, v31, v26, vcc
	v_cmp_eq_u32_e32 vcc, 11, v58
	v_cndmask_b32_e32 v31, v31, v27, vcc
	v_cmp_eq_u32_e32 vcc, 12, v58
	v_add_co_u32_e64 v58, s[2:3], 1, v58
	v_cndmask_b32_e32 v31, v31, v28, vcc
	v_add_u32_e32 v30, 4, v30
	v_addc_co_u32_e64 v15, s[2:3], 0, v15, s[2:3]
	s_waitcnt lgkmcnt(0)
	v_fmac_f32_e32 v61, v31, v60
	s_andn2_b64 exec, exec, s[10:11]
	s_cbranch_execnz .LBB76_109
; %bb.110:
	s_or_b64 exec, exec, s[10:11]
.LBB76_111:
	s_or_b64 exec, exec, s[8:9]
.LBB76_112:
	s_or_b64 exec, exec, s[6:7]
	v_mov_b32_e32 v15, 0
	ds_read_b32 v15, v15 offset:16
	s_waitcnt lgkmcnt(0)
	v_mul_f32_e32 v20, v61, v15
.LBB76_113:
	s_or_b64 exec, exec, s[4:5]
	v_cmp_lt_u32_e64 s[2:3], 3, v0
	ds_write_b32 v59, v19
	s_waitcnt lgkmcnt(0)
	; wave barrier
	s_waitcnt lgkmcnt(0)
	s_and_saveexec_b64 s[4:5], s[2:3]
	s_cbranch_execz .LBB76_129
; %bb.114:
	s_andn2_b64 vcc, exec, s[26:27]
	s_cbranch_vccnz .LBB76_116
; %bb.115:
	v_cmp_eq_u32_e32 vcc, 1, v0
	v_cndmask_b32_e32 v15, v16, v17, vcc
	v_cmp_eq_u32_e32 vcc, 2, v0
	v_cndmask_b32_e32 v15, v15, v18, vcc
	;; [unrolled: 2-line block ×8, first 2 shown]
	v_cmp_eq_u32_e32 vcc, 9, v0
	ds_read_b32 v58, v59
	v_cndmask_b32_e32 v15, v15, v25, vcc
	v_cmp_eq_u32_e32 vcc, 10, v0
	v_cndmask_b32_e32 v15, v15, v26, vcc
	v_cmp_eq_u32_e32 vcc, 11, v0
	v_cndmask_b32_e32 v15, v15, v27, vcc
	v_cmp_eq_u32_e32 vcc, 12, v0
	v_cndmask_b32_e32 v15, v15, v28, vcc
	s_waitcnt lgkmcnt(0)
	v_mul_f32_e32 v61, v15, v58
	s_cbranch_execz .LBB76_117
	s_branch .LBB76_118
.LBB76_116:
                                        ; implicit-def: $vgpr61
.LBB76_117:
	ds_read_b32 v61, v59
.LBB76_118:
	s_and_saveexec_b64 s[6:7], s[0:1]
	s_cbranch_execz .LBB76_128
; %bb.119:
	v_add_u32_e32 v58, -5, v0
	v_add_u32_e32 v15, -4, v0
	v_cmp_lt_u32_e32 vcc, 6, v58
	v_mov_b32_e32 v58, 4
	s_and_saveexec_b64 s[0:1], vcc
	s_cbranch_execz .LBB76_123
; %bb.120:
	v_and_b32_e32 v58, -8, v15
	v_sub_u32_e32 v60, 0, v58
	s_mov_b64 s[8:9], 5
	s_movk_i32 s12, 0x50
	s_mov_b64 s[10:11], 0
.LBB76_121:                             ; =>This Inner Loop Header: Depth=1
	s_add_i32 s13, s8, -1
	v_mov_b32_e32 v58, s12
	s_set_gpr_idx_on s13, gpr_idx(SRC0)
	v_mov_b32_e32 v70, v16
	s_set_gpr_idx_off
	s_add_i32 s14, s8, 1
	ds_read_b128 v[62:65], v58
	ds_read_b128 v[66:69], v58 offset:16
	s_set_gpr_idx_on s8, gpr_idx(SRC0)
	v_mov_b32_e32 v71, v16
	s_set_gpr_idx_off
	s_add_i32 s15, s8, 2
	s_set_gpr_idx_on s14, gpr_idx(SRC0)
	v_mov_b32_e32 v72, v16
	s_set_gpr_idx_off
	s_add_i32 s16, s8, 3
	;; [unrolled: 4-line block ×4, first 2 shown]
	s_waitcnt lgkmcnt(1)
	v_fmac_f32_e32 v61, v70, v62
	s_set_gpr_idx_on s17, gpr_idx(SRC0)
	v_mov_b32_e32 v62, v16
	s_set_gpr_idx_off
	s_add_i32 s19, s8, 6
	v_fmac_f32_e32 v61, v71, v63
	s_set_gpr_idx_on s18, gpr_idx(SRC0)
	v_mov_b32_e32 v63, v16
	s_set_gpr_idx_off
	v_fmac_f32_e32 v61, v72, v64
	s_set_gpr_idx_on s19, gpr_idx(SRC0)
	v_mov_b32_e32 v64, v16
	s_set_gpr_idx_off
	v_fmac_f32_e32 v61, v73, v65
	s_add_u32 s8, s8, 8
	s_waitcnt lgkmcnt(0)
	v_fmac_f32_e32 v61, v74, v66
	v_add_u32_e32 v58, s8, v60
	v_fmac_f32_e32 v61, v62, v67
	s_addc_u32 s9, s9, 0
	s_add_i32 s12, s12, 32
	s_add_i32 s13, s8, -1
	v_cmp_eq_u32_e32 vcc, 5, v58
	v_fmac_f32_e32 v61, v63, v68
	v_mov_b32_e32 v58, s13
	s_or_b64 s[10:11], vcc, s[10:11]
	v_fmac_f32_e32 v61, v64, v69
	s_andn2_b64 exec, exec, s[10:11]
	s_cbranch_execnz .LBB76_121
; %bb.122:
	s_or_b64 exec, exec, s[10:11]
.LBB76_123:
	s_or_b64 exec, exec, s[0:1]
	v_and_b32_e32 v29, 7, v15
	v_cmp_ne_u32_e32 vcc, 0, v29
	s_and_saveexec_b64 s[8:9], vcc
	s_cbranch_execz .LBB76_127
; %bb.124:
	v_lshl_add_u32 v30, v58, 2, 64
	v_mov_b32_e32 v15, 0
	s_mov_b64 s[10:11], 0
.LBB76_125:                             ; =>This Inner Loop Header: Depth=1
	v_cmp_eq_u32_e32 vcc, 1, v58
	v_cndmask_b32_e32 v31, v16, v17, vcc
	v_add_u32_e32 v29, -1, v29
	v_cmp_eq_u32_e32 vcc, 2, v58
	v_cndmask_b32_e32 v31, v31, v18, vcc
	v_cmp_eq_u32_e32 vcc, 0, v29
	v_cmp_eq_u32_e64 s[0:1], 3, v58
	v_cndmask_b32_e64 v31, v31, v19, s[0:1]
	s_or_b64 s[10:11], vcc, s[10:11]
	v_cmp_eq_u32_e32 vcc, 4, v58
	v_cndmask_b32_e32 v31, v31, v20, vcc
	v_cmp_eq_u32_e32 vcc, 5, v58
	v_cndmask_b32_e32 v31, v31, v21, vcc
	;; [unrolled: 2-line block ×4, first 2 shown]
	v_cmp_eq_u32_e32 vcc, 8, v58
	ds_read_b32 v60, v30
	v_cndmask_b32_e32 v31, v31, v24, vcc
	v_cmp_eq_u32_e32 vcc, 9, v58
	v_cndmask_b32_e32 v31, v31, v25, vcc
	v_cmp_eq_u32_e32 vcc, 10, v58
	;; [unrolled: 2-line block ×4, first 2 shown]
	v_add_co_u32_e64 v58, s[0:1], 1, v58
	v_cndmask_b32_e32 v31, v31, v28, vcc
	v_add_u32_e32 v30, 4, v30
	v_addc_co_u32_e64 v15, s[0:1], 0, v15, s[0:1]
	s_waitcnt lgkmcnt(0)
	v_fmac_f32_e32 v61, v31, v60
	s_andn2_b64 exec, exec, s[10:11]
	s_cbranch_execnz .LBB76_125
; %bb.126:
	s_or_b64 exec, exec, s[10:11]
.LBB76_127:
	s_or_b64 exec, exec, s[8:9]
.LBB76_128:
	s_or_b64 exec, exec, s[6:7]
	v_mov_b32_e32 v15, 0
	ds_read_b32 v15, v15 offset:12
	s_waitcnt lgkmcnt(0)
	v_mul_f32_e32 v19, v61, v15
.LBB76_129:
	s_or_b64 exec, exec, s[4:5]
	v_cmp_lt_u32_e64 s[0:1], 2, v0
	ds_write_b32 v59, v18
	s_waitcnt lgkmcnt(0)
	; wave barrier
	s_waitcnt lgkmcnt(0)
	s_and_saveexec_b64 s[4:5], s[0:1]
	s_cbranch_execz .LBB76_145
; %bb.130:
	s_andn2_b64 vcc, exec, s[26:27]
	s_cbranch_vccnz .LBB76_132
; %bb.131:
	v_cmp_eq_u32_e32 vcc, 1, v0
	v_cndmask_b32_e32 v15, v16, v17, vcc
	v_cmp_eq_u32_e32 vcc, 2, v0
	v_cndmask_b32_e32 v15, v15, v18, vcc
	;; [unrolled: 2-line block ×8, first 2 shown]
	v_cmp_eq_u32_e32 vcc, 9, v0
	ds_read_b32 v58, v59
	v_cndmask_b32_e32 v15, v15, v25, vcc
	v_cmp_eq_u32_e32 vcc, 10, v0
	v_cndmask_b32_e32 v15, v15, v26, vcc
	v_cmp_eq_u32_e32 vcc, 11, v0
	;; [unrolled: 2-line block ×3, first 2 shown]
	v_cndmask_b32_e32 v15, v15, v28, vcc
	s_waitcnt lgkmcnt(0)
	v_mul_f32_e32 v61, v15, v58
	s_cbranch_execz .LBB76_133
	s_branch .LBB76_134
.LBB76_132:
                                        ; implicit-def: $vgpr61
.LBB76_133:
	ds_read_b32 v61, v59
.LBB76_134:
	s_and_saveexec_b64 s[6:7], s[2:3]
	s_cbranch_execz .LBB76_144
; %bb.135:
	v_add_u32_e32 v58, -4, v0
	v_add_u32_e32 v15, -3, v0
	v_cmp_lt_u32_e32 vcc, 6, v58
	v_mov_b32_e32 v58, 3
	s_and_saveexec_b64 s[2:3], vcc
	s_cbranch_execz .LBB76_139
; %bb.136:
	v_and_b32_e32 v58, -8, v15
	v_sub_u32_e32 v60, 0, v58
	s_mov_b64 s[8:9], 10
	s_movk_i32 s12, 0x4c
	s_mov_b64 s[10:11], 0
.LBB76_137:                             ; =>This Inner Loop Header: Depth=1
	s_add_i32 s13, s8, -7
	v_mov_b32_e32 v58, s12
	s_add_i32 s14, s8, -6
	s_set_gpr_idx_on s13, gpr_idx(SRC0)
	v_mov_b32_e32 v68, v16
	s_set_gpr_idx_off
	ds_read2_b32 v[62:63], v58 offset1:1
	s_add_i32 s15, s8, -5
	s_set_gpr_idx_on s14, gpr_idx(SRC0)
	v_mov_b32_e32 v69, v16
	s_set_gpr_idx_off
	s_add_i32 s16, s8, -4
	s_set_gpr_idx_on s15, gpr_idx(SRC0)
	v_mov_b32_e32 v70, v16
	s_set_gpr_idx_off
	ds_read2_b32 v[64:65], v58 offset0:2 offset1:3
	s_add_i32 s17, s8, -3
	s_set_gpr_idx_on s16, gpr_idx(SRC0)
	v_mov_b32_e32 v71, v16
	s_set_gpr_idx_off
	s_add_i32 s18, s8, -2
	s_set_gpr_idx_on s17, gpr_idx(SRC0)
	v_mov_b32_e32 v72, v16
	s_set_gpr_idx_off
	ds_read2_b32 v[66:67], v58 offset0:4 offset1:5
	s_add_i32 s19, s8, -1
	s_waitcnt lgkmcnt(2)
	v_fmac_f32_e32 v61, v68, v62
	s_set_gpr_idx_on s18, gpr_idx(SRC0)
	v_mov_b32_e32 v68, v16
	s_set_gpr_idx_off
	v_fmac_f32_e32 v61, v69, v63
	s_set_gpr_idx_on s19, gpr_idx(SRC0)
	v_mov_b32_e32 v69, v16
	s_set_gpr_idx_off
	ds_read2_b32 v[62:63], v58 offset0:6 offset1:7
	s_waitcnt lgkmcnt(2)
	v_fmac_f32_e32 v61, v70, v64
	s_set_gpr_idx_on s8, gpr_idx(SRC0)
	v_mov_b32_e32 v64, v16
	s_set_gpr_idx_off
	v_fmac_f32_e32 v61, v71, v65
	s_add_u32 s8, s8, 8
	s_waitcnt lgkmcnt(1)
	v_fmac_f32_e32 v61, v72, v66
	v_add_u32_e32 v58, s8, v60
	v_fmac_f32_e32 v61, v68, v67
	s_addc_u32 s9, s9, 0
	s_add_i32 s12, s12, 32
	s_add_i32 s13, s8, -7
	v_cmp_eq_u32_e32 vcc, 10, v58
	s_waitcnt lgkmcnt(0)
	v_fmac_f32_e32 v61, v69, v62
	v_mov_b32_e32 v58, s13
	s_or_b64 s[10:11], vcc, s[10:11]
	v_fmac_f32_e32 v61, v64, v63
	s_andn2_b64 exec, exec, s[10:11]
	s_cbranch_execnz .LBB76_137
; %bb.138:
	s_or_b64 exec, exec, s[10:11]
.LBB76_139:
	s_or_b64 exec, exec, s[2:3]
	v_and_b32_e32 v29, 7, v15
	v_cmp_ne_u32_e32 vcc, 0, v29
	s_and_saveexec_b64 s[8:9], vcc
	s_cbranch_execz .LBB76_143
; %bb.140:
	v_lshl_add_u32 v30, v58, 2, 64
	v_mov_b32_e32 v15, 0
	s_mov_b64 s[10:11], 0
.LBB76_141:                             ; =>This Inner Loop Header: Depth=1
	v_cmp_eq_u32_e32 vcc, 1, v58
	v_cndmask_b32_e32 v31, v16, v17, vcc
	v_add_u32_e32 v29, -1, v29
	v_cmp_eq_u32_e32 vcc, 2, v58
	v_cndmask_b32_e32 v31, v31, v18, vcc
	v_cmp_eq_u32_e32 vcc, 0, v29
	v_cmp_eq_u32_e64 s[2:3], 3, v58
	v_cndmask_b32_e64 v31, v31, v19, s[2:3]
	s_or_b64 s[10:11], vcc, s[10:11]
	v_cmp_eq_u32_e32 vcc, 4, v58
	v_cndmask_b32_e32 v31, v31, v20, vcc
	v_cmp_eq_u32_e32 vcc, 5, v58
	v_cndmask_b32_e32 v31, v31, v21, vcc
	;; [unrolled: 2-line block ×4, first 2 shown]
	v_cmp_eq_u32_e32 vcc, 8, v58
	ds_read_b32 v60, v30
	v_cndmask_b32_e32 v31, v31, v24, vcc
	v_cmp_eq_u32_e32 vcc, 9, v58
	v_cndmask_b32_e32 v31, v31, v25, vcc
	v_cmp_eq_u32_e32 vcc, 10, v58
	;; [unrolled: 2-line block ×4, first 2 shown]
	v_add_co_u32_e64 v58, s[2:3], 1, v58
	v_cndmask_b32_e32 v31, v31, v28, vcc
	v_add_u32_e32 v30, 4, v30
	v_addc_co_u32_e64 v15, s[2:3], 0, v15, s[2:3]
	s_waitcnt lgkmcnt(0)
	v_fmac_f32_e32 v61, v31, v60
	s_andn2_b64 exec, exec, s[10:11]
	s_cbranch_execnz .LBB76_141
; %bb.142:
	s_or_b64 exec, exec, s[10:11]
.LBB76_143:
	s_or_b64 exec, exec, s[8:9]
.LBB76_144:
	s_or_b64 exec, exec, s[6:7]
	v_mov_b32_e32 v15, 0
	ds_read_b32 v15, v15 offset:8
	s_waitcnt lgkmcnt(0)
	v_mul_f32_e32 v18, v61, v15
.LBB76_145:
	s_or_b64 exec, exec, s[4:5]
	v_cmp_lt_u32_e64 s[2:3], 1, v0
	ds_write_b32 v59, v17
	s_waitcnt lgkmcnt(0)
	; wave barrier
	s_waitcnt lgkmcnt(0)
	s_and_saveexec_b64 s[4:5], s[2:3]
	s_cbranch_execz .LBB76_161
; %bb.146:
	s_andn2_b64 vcc, exec, s[26:27]
	s_cbranch_vccnz .LBB76_148
; %bb.147:
	v_cmp_eq_u32_e32 vcc, 1, v0
	v_cndmask_b32_e32 v15, v16, v17, vcc
	v_cmp_eq_u32_e32 vcc, 2, v0
	v_cndmask_b32_e32 v15, v15, v18, vcc
	;; [unrolled: 2-line block ×8, first 2 shown]
	v_cmp_eq_u32_e32 vcc, 9, v0
	ds_read_b32 v58, v59
	v_cndmask_b32_e32 v15, v15, v25, vcc
	v_cmp_eq_u32_e32 vcc, 10, v0
	v_cndmask_b32_e32 v15, v15, v26, vcc
	v_cmp_eq_u32_e32 vcc, 11, v0
	;; [unrolled: 2-line block ×3, first 2 shown]
	v_cndmask_b32_e32 v15, v15, v28, vcc
	s_waitcnt lgkmcnt(0)
	v_mul_f32_e32 v61, v15, v58
	s_cbranch_execz .LBB76_149
	s_branch .LBB76_150
.LBB76_148:
                                        ; implicit-def: $vgpr61
.LBB76_149:
	ds_read_b32 v61, v59
.LBB76_150:
	s_and_saveexec_b64 s[6:7], s[0:1]
	s_cbranch_execz .LBB76_160
; %bb.151:
	v_add_u32_e32 v58, -3, v0
	v_add_u32_e32 v15, -2, v0
	v_cmp_lt_u32_e32 vcc, 6, v58
	v_mov_b32_e32 v58, 2
	s_and_saveexec_b64 s[0:1], vcc
	s_cbranch_execz .LBB76_155
; %bb.152:
	v_and_b32_e32 v58, -8, v15
	v_sub_u32_e32 v60, 0, v58
	s_mov_b64 s[8:9], 9
	s_movk_i32 s12, 0x48
	s_mov_b64 s[10:11], 0
.LBB76_153:                             ; =>This Inner Loop Header: Depth=1
	s_add_i32 s13, s8, -7
	v_mov_b32_e32 v58, s12
	s_add_i32 s14, s8, -6
	s_set_gpr_idx_on s13, gpr_idx(SRC0)
	v_mov_b32_e32 v70, v16
	s_set_gpr_idx_off
	ds_read2_b64 v[62:65], v58 offset1:1
	s_add_i32 s15, s8, -5
	s_set_gpr_idx_on s14, gpr_idx(SRC0)
	v_mov_b32_e32 v71, v16
	s_set_gpr_idx_off
	s_add_i32 s16, s8, -4
	s_set_gpr_idx_on s15, gpr_idx(SRC0)
	v_mov_b32_e32 v72, v16
	s_set_gpr_idx_off
	;; [unrolled: 4-line block ×4, first 2 shown]
	ds_read2_b64 v[66:69], v58 offset0:2 offset1:3
	s_add_i32 s19, s8, -1
	s_waitcnt lgkmcnt(1)
	v_fmac_f32_e32 v61, v70, v62
	s_set_gpr_idx_on s18, gpr_idx(SRC0)
	v_mov_b32_e32 v62, v16
	s_set_gpr_idx_off
	v_fmac_f32_e32 v61, v71, v63
	s_set_gpr_idx_on s19, gpr_idx(SRC0)
	v_mov_b32_e32 v63, v16
	s_set_gpr_idx_off
	;; [unrolled: 4-line block ×3, first 2 shown]
	v_fmac_f32_e32 v61, v73, v65
	s_add_u32 s8, s8, 8
	s_waitcnt lgkmcnt(0)
	v_fmac_f32_e32 v61, v74, v66
	v_add_u32_e32 v58, s8, v60
	v_fmac_f32_e32 v61, v62, v67
	s_addc_u32 s9, s9, 0
	s_add_i32 s12, s12, 32
	s_add_i32 s13, s8, -7
	v_cmp_eq_u32_e32 vcc, 9, v58
	v_fmac_f32_e32 v61, v63, v68
	v_mov_b32_e32 v58, s13
	s_or_b64 s[10:11], vcc, s[10:11]
	v_fmac_f32_e32 v61, v64, v69
	s_andn2_b64 exec, exec, s[10:11]
	s_cbranch_execnz .LBB76_153
; %bb.154:
	s_or_b64 exec, exec, s[10:11]
.LBB76_155:
	s_or_b64 exec, exec, s[0:1]
	v_and_b32_e32 v29, 7, v15
	v_cmp_ne_u32_e32 vcc, 0, v29
	s_and_saveexec_b64 s[8:9], vcc
	s_cbranch_execz .LBB76_159
; %bb.156:
	v_lshl_add_u32 v30, v58, 2, 64
	v_mov_b32_e32 v15, 0
	s_mov_b64 s[10:11], 0
.LBB76_157:                             ; =>This Inner Loop Header: Depth=1
	v_cmp_eq_u32_e32 vcc, 1, v58
	v_cndmask_b32_e32 v31, v16, v17, vcc
	v_add_u32_e32 v29, -1, v29
	v_cmp_eq_u32_e32 vcc, 2, v58
	v_cndmask_b32_e32 v31, v31, v18, vcc
	v_cmp_eq_u32_e32 vcc, 0, v29
	v_cmp_eq_u32_e64 s[0:1], 3, v58
	v_cndmask_b32_e64 v31, v31, v19, s[0:1]
	s_or_b64 s[10:11], vcc, s[10:11]
	v_cmp_eq_u32_e32 vcc, 4, v58
	v_cndmask_b32_e32 v31, v31, v20, vcc
	v_cmp_eq_u32_e32 vcc, 5, v58
	v_cndmask_b32_e32 v31, v31, v21, vcc
	;; [unrolled: 2-line block ×4, first 2 shown]
	v_cmp_eq_u32_e32 vcc, 8, v58
	ds_read_b32 v60, v30
	v_cndmask_b32_e32 v31, v31, v24, vcc
	v_cmp_eq_u32_e32 vcc, 9, v58
	v_cndmask_b32_e32 v31, v31, v25, vcc
	v_cmp_eq_u32_e32 vcc, 10, v58
	;; [unrolled: 2-line block ×4, first 2 shown]
	v_add_co_u32_e64 v58, s[0:1], 1, v58
	v_cndmask_b32_e32 v31, v31, v28, vcc
	v_add_u32_e32 v30, 4, v30
	v_addc_co_u32_e64 v15, s[0:1], 0, v15, s[0:1]
	s_waitcnt lgkmcnt(0)
	v_fmac_f32_e32 v61, v31, v60
	s_andn2_b64 exec, exec, s[10:11]
	s_cbranch_execnz .LBB76_157
; %bb.158:
	s_or_b64 exec, exec, s[10:11]
.LBB76_159:
	s_or_b64 exec, exec, s[8:9]
.LBB76_160:
	s_or_b64 exec, exec, s[6:7]
	v_mov_b32_e32 v15, 0
	ds_read_b32 v15, v15 offset:4
	s_waitcnt lgkmcnt(0)
	v_mul_f32_e32 v17, v61, v15
.LBB76_161:
	s_or_b64 exec, exec, s[4:5]
	v_cmp_ne_u32_e32 vcc, 0, v0
	ds_write_b32 v59, v16
	s_waitcnt lgkmcnt(0)
	; wave barrier
	s_waitcnt lgkmcnt(0)
	s_and_saveexec_b64 s[4:5], vcc
	s_cbranch_execz .LBB76_177
; %bb.162:
	s_andn2_b64 vcc, exec, s[26:27]
	s_cbranch_vccnz .LBB76_164
; %bb.163:
	v_cmp_eq_u32_e32 vcc, 1, v0
	v_cndmask_b32_e32 v15, v16, v17, vcc
	v_cmp_eq_u32_e32 vcc, 2, v0
	v_cndmask_b32_e32 v15, v15, v18, vcc
	;; [unrolled: 2-line block ×8, first 2 shown]
	v_cmp_eq_u32_e32 vcc, 9, v0
	ds_read_b32 v58, v59
	v_cndmask_b32_e32 v15, v15, v25, vcc
	v_cmp_eq_u32_e32 vcc, 10, v0
	v_cndmask_b32_e32 v15, v15, v26, vcc
	v_cmp_eq_u32_e32 vcc, 11, v0
	;; [unrolled: 2-line block ×3, first 2 shown]
	v_cndmask_b32_e32 v15, v15, v28, vcc
	s_waitcnt lgkmcnt(0)
	v_mul_f32_e32 v61, v15, v58
	s_cbranch_execz .LBB76_165
	s_branch .LBB76_166
.LBB76_164:
                                        ; implicit-def: $vgpr61
.LBB76_165:
	ds_read_b32 v61, v59
.LBB76_166:
	s_and_saveexec_b64 s[6:7], s[2:3]
	s_cbranch_execz .LBB76_176
; %bb.167:
	v_add_u32_e32 v58, -2, v0
	v_add_u32_e32 v15, -1, v0
	v_cmp_lt_u32_e32 vcc, 6, v58
	v_mov_b32_e32 v58, 1
	s_and_saveexec_b64 s[0:1], vcc
	s_cbranch_execz .LBB76_171
; %bb.168:
	v_and_b32_e32 v58, -8, v15
	v_sub_u32_e32 v60, 0, v58
	s_mov_b64 s[2:3], 8
	s_movk_i32 s10, 0x44
	s_mov_b64 s[8:9], 0
.LBB76_169:                             ; =>This Inner Loop Header: Depth=1
	s_add_i32 s11, s2, -7
	v_mov_b32_e32 v58, s10
	s_add_i32 s12, s2, -6
	s_set_gpr_idx_on s11, gpr_idx(SRC0)
	v_mov_b32_e32 v68, v16
	s_set_gpr_idx_off
	ds_read2_b32 v[62:63], v58 offset1:1
	s_add_i32 s13, s2, -5
	s_set_gpr_idx_on s12, gpr_idx(SRC0)
	v_mov_b32_e32 v69, v16
	s_set_gpr_idx_off
	s_add_i32 s14, s2, -4
	s_set_gpr_idx_on s13, gpr_idx(SRC0)
	v_mov_b32_e32 v70, v16
	s_set_gpr_idx_off
	ds_read2_b32 v[64:65], v58 offset0:2 offset1:3
	s_add_i32 s15, s2, -3
	s_set_gpr_idx_on s14, gpr_idx(SRC0)
	v_mov_b32_e32 v71, v16
	s_set_gpr_idx_off
	s_add_i32 s16, s2, -2
	s_set_gpr_idx_on s15, gpr_idx(SRC0)
	v_mov_b32_e32 v72, v16
	s_set_gpr_idx_off
	ds_read2_b32 v[66:67], v58 offset0:4 offset1:5
	s_add_i32 s17, s2, -1
	s_waitcnt lgkmcnt(2)
	v_fmac_f32_e32 v61, v68, v62
	s_set_gpr_idx_on s16, gpr_idx(SRC0)
	v_mov_b32_e32 v68, v16
	s_set_gpr_idx_off
	v_fmac_f32_e32 v61, v69, v63
	s_set_gpr_idx_on s17, gpr_idx(SRC0)
	v_mov_b32_e32 v69, v16
	s_set_gpr_idx_off
	ds_read2_b32 v[62:63], v58 offset0:6 offset1:7
	s_waitcnt lgkmcnt(2)
	v_fmac_f32_e32 v61, v70, v64
	s_set_gpr_idx_on s2, gpr_idx(SRC0)
	v_mov_b32_e32 v64, v16
	s_set_gpr_idx_off
	v_fmac_f32_e32 v61, v71, v65
	s_add_u32 s2, s2, 8
	s_waitcnt lgkmcnt(1)
	v_fmac_f32_e32 v61, v72, v66
	v_add_u32_e32 v58, s2, v60
	v_fmac_f32_e32 v61, v68, v67
	s_addc_u32 s3, s3, 0
	s_add_i32 s10, s10, 32
	s_add_i32 s11, s2, -7
	v_cmp_eq_u32_e32 vcc, 8, v58
	s_waitcnt lgkmcnt(0)
	v_fmac_f32_e32 v61, v69, v62
	v_mov_b32_e32 v58, s11
	s_or_b64 s[8:9], vcc, s[8:9]
	v_fmac_f32_e32 v61, v64, v63
	s_andn2_b64 exec, exec, s[8:9]
	s_cbranch_execnz .LBB76_169
; %bb.170:
	s_or_b64 exec, exec, s[8:9]
.LBB76_171:
	s_or_b64 exec, exec, s[0:1]
	v_and_b32_e32 v29, 7, v15
	v_cmp_ne_u32_e32 vcc, 0, v29
	s_and_saveexec_b64 s[2:3], vcc
	s_cbranch_execz .LBB76_175
; %bb.172:
	v_lshl_add_u32 v30, v58, 2, 64
	v_mov_b32_e32 v15, 0
	s_mov_b64 s[8:9], 0
.LBB76_173:                             ; =>This Inner Loop Header: Depth=1
	v_cmp_eq_u32_e32 vcc, 1, v58
	v_cndmask_b32_e32 v31, v16, v17, vcc
	v_add_u32_e32 v29, -1, v29
	v_cmp_eq_u32_e32 vcc, 2, v58
	v_cndmask_b32_e32 v31, v31, v18, vcc
	v_cmp_eq_u32_e32 vcc, 0, v29
	v_cmp_eq_u32_e64 s[0:1], 3, v58
	v_cndmask_b32_e64 v31, v31, v19, s[0:1]
	s_or_b64 s[8:9], vcc, s[8:9]
	v_cmp_eq_u32_e32 vcc, 4, v58
	v_cndmask_b32_e32 v31, v31, v20, vcc
	v_cmp_eq_u32_e32 vcc, 5, v58
	v_cndmask_b32_e32 v31, v31, v21, vcc
	v_cmp_eq_u32_e32 vcc, 6, v58
	v_cndmask_b32_e32 v31, v31, v22, vcc
	v_cmp_eq_u32_e32 vcc, 7, v58
	v_cndmask_b32_e32 v31, v31, v23, vcc
	v_cmp_eq_u32_e32 vcc, 8, v58
	ds_read_b32 v60, v30
	v_cndmask_b32_e32 v31, v31, v24, vcc
	v_cmp_eq_u32_e32 vcc, 9, v58
	v_cndmask_b32_e32 v31, v31, v25, vcc
	v_cmp_eq_u32_e32 vcc, 10, v58
	;; [unrolled: 2-line block ×4, first 2 shown]
	v_add_co_u32_e64 v58, s[0:1], 1, v58
	v_cndmask_b32_e32 v31, v31, v28, vcc
	v_add_u32_e32 v30, 4, v30
	v_addc_co_u32_e64 v15, s[0:1], 0, v15, s[0:1]
	s_waitcnt lgkmcnt(0)
	v_fmac_f32_e32 v61, v31, v60
	s_andn2_b64 exec, exec, s[8:9]
	s_cbranch_execnz .LBB76_173
; %bb.174:
	s_or_b64 exec, exec, s[8:9]
.LBB76_175:
	s_or_b64 exec, exec, s[2:3]
.LBB76_176:
	s_or_b64 exec, exec, s[6:7]
	v_mov_b32_e32 v15, 0
	ds_read_b32 v15, v15
	s_waitcnt lgkmcnt(0)
	v_mul_f32_e32 v16, v61, v15
.LBB76_177:
	s_or_b64 exec, exec, s[4:5]
	s_branch .LBB76_303
.LBB76_178:
	v_cmp_eq_u32_e64 s[2:3], 0, v0
	s_waitcnt vmcnt(12)
	ds_write_b32 v59, v3
	s_waitcnt lgkmcnt(0)
	; wave barrier
	s_waitcnt lgkmcnt(0)
	s_and_saveexec_b64 s[0:1], s[2:3]
	s_cbranch_execz .LBB76_184
; %bb.179:
	s_and_b64 vcc, exec, s[26:27]
	s_cbranch_vccz .LBB76_181
; %bb.180:
	v_cmp_eq_u32_e32 vcc, 1, v0
	s_waitcnt vmcnt(1)
	v_cndmask_b32_e32 v3, v2, v3, vcc
	v_cmp_eq_u32_e32 vcc, 2, v0
	v_cndmask_b32_e32 v3, v3, v4, vcc
	v_cmp_eq_u32_e32 vcc, 3, v0
	;; [unrolled: 2-line block ×8, first 2 shown]
	ds_read_b32 v15, v59
	v_cndmask_b32_e32 v3, v3, v11, vcc
	v_cmp_eq_u32_e32 vcc, 10, v0
	v_cndmask_b32_e32 v3, v3, v12, vcc
	v_cmp_eq_u32_e32 vcc, 11, v0
	v_cndmask_b32_e32 v3, v3, v13, vcc
	v_cmp_eq_u32_e32 vcc, 12, v0
	s_waitcnt vmcnt(0)
	v_cndmask_b32_e32 v3, v3, v14, vcc
	s_waitcnt lgkmcnt(0)
	v_mul_f32_e32 v3, v3, v15
	s_cbranch_execz .LBB76_182
	s_branch .LBB76_183
.LBB76_181:
                                        ; implicit-def: $vgpr3
.LBB76_182:
	ds_read_b32 v3, v59
.LBB76_183:
	v_mov_b32_e32 v15, 0
	ds_read_b32 v15, v15 offset:4
	s_waitcnt lgkmcnt(0)
	v_mul_f32_e32 v3, v3, v15
.LBB76_184:
	s_or_b64 exec, exec, s[0:1]
	v_cndmask_b32_e64 v16, 0, 1, s[26:27]
	v_add_u32_e32 v15, 1, v0
	v_cmp_gt_u32_e32 vcc, 2, v0
	v_cmp_ne_u32_e64 s[0:1], 1, v16
	s_waitcnt vmcnt(11)
	ds_write_b32 v59, v4
	s_waitcnt lgkmcnt(0)
	; wave barrier
	s_waitcnt lgkmcnt(0)
	s_and_saveexec_b64 s[4:5], vcc
	s_cbranch_execz .LBB76_192
; %bb.185:
	s_and_b64 vcc, exec, s[0:1]
	s_cbranch_vccnz .LBB76_187
; %bb.186:
	v_cmp_eq_u32_e32 vcc, 1, v0
	s_waitcnt vmcnt(1)
	v_cndmask_b32_e32 v16, v2, v3, vcc
	v_cmp_eq_u32_e32 vcc, 2, v0
	v_cndmask_b32_e32 v16, v16, v4, vcc
	v_cmp_eq_u32_e32 vcc, 3, v0
	;; [unrolled: 2-line block ×8, first 2 shown]
	ds_read_b32 v17, v59
	v_cndmask_b32_e32 v16, v16, v11, vcc
	v_cmp_eq_u32_e32 vcc, 10, v0
	v_cndmask_b32_e32 v16, v16, v12, vcc
	v_cmp_eq_u32_e32 vcc, 11, v0
	;; [unrolled: 2-line block ×3, first 2 shown]
	s_waitcnt vmcnt(0)
	v_cndmask_b32_e32 v16, v16, v14, vcc
	s_waitcnt lgkmcnt(0)
	v_mul_f32_e32 v16, v16, v17
	s_cbranch_execz .LBB76_188
	s_branch .LBB76_189
.LBB76_187:
                                        ; implicit-def: $vgpr16
.LBB76_188:
	ds_read_b32 v16, v59
.LBB76_189:
	s_and_saveexec_b64 s[6:7], s[2:3]
	s_cbranch_execz .LBB76_191
; %bb.190:
	v_cmp_eq_u32_e32 vcc, 1, v15
	s_waitcnt vmcnt(1)
	v_cndmask_b32_e32 v17, v2, v3, vcc
	v_cmp_eq_u32_e32 vcc, 2, v15
	v_cndmask_b32_e32 v4, v17, v4, vcc
	v_cmp_eq_u32_e32 vcc, 3, v15
	;; [unrolled: 2-line block ×8, first 2 shown]
	ds_read_b32 v17, v59 offset:4
	v_cndmask_b32_e32 v4, v4, v11, vcc
	v_cmp_eq_u32_e32 vcc, 10, v15
	v_cndmask_b32_e32 v4, v4, v12, vcc
	v_cmp_eq_u32_e32 vcc, 11, v15
	;; [unrolled: 2-line block ×3, first 2 shown]
	s_waitcnt vmcnt(0)
	v_cndmask_b32_e32 v4, v4, v14, vcc
	s_waitcnt lgkmcnt(0)
	v_fmac_f32_e32 v16, v4, v17
.LBB76_191:
	s_or_b64 exec, exec, s[6:7]
	v_mov_b32_e32 v4, 0
	ds_read_b32 v4, v4 offset:8
	s_waitcnt lgkmcnt(0)
	v_mul_f32_e32 v4, v16, v4
.LBB76_192:
	s_or_b64 exec, exec, s[4:5]
	v_cmp_gt_u32_e64 s[4:5], 3, v0
	s_waitcnt vmcnt(10)
	ds_write_b32 v59, v5
	s_waitcnt lgkmcnt(0)
	; wave barrier
	s_waitcnt lgkmcnt(0)
	s_and_saveexec_b64 s[6:7], s[4:5]
	s_cbranch_execz .LBB76_200
; %bb.193:
	s_and_b64 vcc, exec, s[0:1]
	s_cbranch_vccnz .LBB76_195
; %bb.194:
	v_cmp_eq_u32_e32 vcc, 1, v0
	s_waitcnt vmcnt(1)
	v_cndmask_b32_e32 v16, v2, v3, vcc
	v_cmp_eq_u32_e32 vcc, 2, v0
	v_cndmask_b32_e32 v16, v16, v4, vcc
	v_cmp_eq_u32_e32 vcc, 3, v0
	v_cndmask_b32_e32 v16, v16, v5, vcc
	v_cmp_eq_u32_e32 vcc, 4, v0
	v_cndmask_b32_e32 v16, v16, v6, vcc
	v_cmp_eq_u32_e32 vcc, 5, v0
	v_cndmask_b32_e32 v16, v16, v7, vcc
	v_cmp_eq_u32_e32 vcc, 6, v0
	v_cndmask_b32_e32 v16, v16, v8, vcc
	v_cmp_eq_u32_e32 vcc, 7, v0
	v_cndmask_b32_e32 v16, v16, v9, vcc
	v_cmp_eq_u32_e32 vcc, 8, v0
	v_cndmask_b32_e32 v16, v16, v10, vcc
	v_cmp_eq_u32_e32 vcc, 9, v0
	ds_read_b32 v17, v59
	v_cndmask_b32_e32 v16, v16, v11, vcc
	v_cmp_eq_u32_e32 vcc, 10, v0
	v_cndmask_b32_e32 v16, v16, v12, vcc
	v_cmp_eq_u32_e32 vcc, 11, v0
	;; [unrolled: 2-line block ×3, first 2 shown]
	s_waitcnt vmcnt(0)
	v_cndmask_b32_e32 v16, v16, v14, vcc
	s_waitcnt lgkmcnt(0)
	v_mul_f32_e32 v16, v16, v17
	s_cbranch_execz .LBB76_196
	s_branch .LBB76_197
.LBB76_195:
                                        ; implicit-def: $vgpr16
.LBB76_196:
	ds_read_b32 v16, v59
.LBB76_197:
	v_cmp_ne_u32_e32 vcc, 2, v0
	s_and_saveexec_b64 s[8:9], vcc
	s_cbranch_execz .LBB76_199
; %bb.198:
	v_cmp_eq_u32_e32 vcc, 1, v15
	s_waitcnt vmcnt(1)
	v_cndmask_b32_e32 v17, v2, v3, vcc
	v_cmp_eq_u32_e32 vcc, 2, v15
	v_cndmask_b32_e32 v17, v17, v4, vcc
	v_cmp_eq_u32_e32 vcc, 3, v15
	;; [unrolled: 2-line block ×8, first 2 shown]
	v_mov_b32_e32 v17, 0
	v_cndmask_b32_e32 v5, v5, v11, vcc
	v_cmp_eq_u32_e32 vcc, 10, v15
	ds_read_b32 v18, v59 offset:4
	ds_read_b32 v17, v17 offset:72
	v_cndmask_b32_e32 v5, v5, v12, vcc
	v_cmp_eq_u32_e32 vcc, 11, v15
	v_cndmask_b32_e32 v5, v5, v13, vcc
	v_cmp_eq_u32_e32 vcc, 12, v15
	s_waitcnt vmcnt(0)
	v_cndmask_b32_e32 v5, v5, v14, vcc
	s_waitcnt lgkmcnt(1)
	v_fmac_f32_e32 v16, v5, v18
	s_waitcnt lgkmcnt(0)
	v_fma_f32 v5, v4, v17, v16
	v_cndmask_b32_e64 v16, v16, v5, s[2:3]
.LBB76_199:
	s_or_b64 exec, exec, s[8:9]
	v_mov_b32_e32 v5, 0
	ds_read_b32 v5, v5 offset:12
	s_waitcnt lgkmcnt(0)
	v_mul_f32_e32 v5, v16, v5
.LBB76_200:
	s_or_b64 exec, exec, s[6:7]
	v_cmp_gt_u32_e32 vcc, 4, v0
	s_waitcnt vmcnt(9)
	ds_write_b32 v59, v6
	s_waitcnt lgkmcnt(0)
	; wave barrier
	s_waitcnt lgkmcnt(0)
	s_and_saveexec_b64 s[8:9], vcc
	s_cbranch_execz .LBB76_210
; %bb.201:
	s_and_b64 vcc, exec, s[0:1]
	s_cbranch_vccnz .LBB76_203
; %bb.202:
	v_cmp_eq_u32_e32 vcc, 1, v0
	s_waitcnt vmcnt(1)
	v_cndmask_b32_e32 v16, v2, v3, vcc
	v_cmp_eq_u32_e32 vcc, 2, v0
	v_cndmask_b32_e32 v16, v16, v4, vcc
	v_cmp_eq_u32_e32 vcc, 3, v0
	v_cndmask_b32_e32 v16, v16, v5, vcc
	v_cmp_eq_u32_e32 vcc, 4, v0
	v_cndmask_b32_e32 v16, v16, v6, vcc
	v_cmp_eq_u32_e32 vcc, 5, v0
	v_cndmask_b32_e32 v16, v16, v7, vcc
	v_cmp_eq_u32_e32 vcc, 6, v0
	v_cndmask_b32_e32 v16, v16, v8, vcc
	v_cmp_eq_u32_e32 vcc, 7, v0
	v_cndmask_b32_e32 v16, v16, v9, vcc
	v_cmp_eq_u32_e32 vcc, 8, v0
	v_cndmask_b32_e32 v16, v16, v10, vcc
	v_cmp_eq_u32_e32 vcc, 9, v0
	ds_read_b32 v17, v59
	v_cndmask_b32_e32 v16, v16, v11, vcc
	v_cmp_eq_u32_e32 vcc, 10, v0
	v_cndmask_b32_e32 v16, v16, v12, vcc
	v_cmp_eq_u32_e32 vcc, 11, v0
	;; [unrolled: 2-line block ×3, first 2 shown]
	s_waitcnt vmcnt(0)
	v_cndmask_b32_e32 v16, v16, v14, vcc
	s_waitcnt lgkmcnt(0)
	v_mul_f32_e32 v18, v16, v17
	s_cbranch_execz .LBB76_204
	s_branch .LBB76_205
.LBB76_203:
                                        ; implicit-def: $vgpr18
.LBB76_204:
	ds_read_b32 v18, v59
.LBB76_205:
	v_cmp_ne_u32_e32 vcc, 3, v0
	s_and_saveexec_b64 s[10:11], vcc
	s_cbranch_execz .LBB76_209
; %bb.206:
	v_mov_b32_e32 v16, 0x44
	v_lshl_add_u32 v19, v0, 2, v16
	s_mov_b64 s[12:13], 0
	v_pk_mov_b32 v[16:17], v[0:1], v[0:1] op_sel:[0,1]
.LBB76_207:                             ; =>This Inner Loop Header: Depth=1
	v_add_co_u32_e32 v16, vcc, 1, v16
	v_addc_co_u32_e32 v17, vcc, 0, v17, vcc
	v_cmp_eq_u32_e32 vcc, 1, v16
	s_waitcnt vmcnt(1)
	v_cndmask_b32_e32 v21, v2, v3, vcc
	v_cmp_lt_u32_e32 vcc, 2, v16
	v_cmp_eq_u32_e64 s[6:7], 2, v16
	v_cndmask_b32_e64 v21, v21, v4, s[6:7]
	s_or_b64 s[12:13], vcc, s[12:13]
	v_cmp_eq_u32_e32 vcc, 3, v16
	v_cndmask_b32_e32 v21, v21, v5, vcc
	v_cmp_eq_u32_e32 vcc, 4, v16
	v_cndmask_b32_e32 v21, v21, v6, vcc
	;; [unrolled: 2-line block ×5, first 2 shown]
	v_cmp_eq_u32_e32 vcc, 8, v16
	ds_read_b32 v20, v19
	v_cndmask_b32_e32 v21, v21, v10, vcc
	v_cmp_eq_u32_e32 vcc, 9, v16
	v_cndmask_b32_e32 v21, v21, v11, vcc
	v_cmp_eq_u32_e32 vcc, 10, v16
	;; [unrolled: 2-line block ×4, first 2 shown]
	s_waitcnt vmcnt(0)
	v_cndmask_b32_e32 v21, v21, v14, vcc
	v_add_u32_e32 v19, 4, v19
	s_waitcnt lgkmcnt(0)
	v_fmac_f32_e32 v18, v21, v20
	s_andn2_b64 exec, exec, s[12:13]
	s_cbranch_execnz .LBB76_207
; %bb.208:
	s_or_b64 exec, exec, s[12:13]
.LBB76_209:
	s_or_b64 exec, exec, s[10:11]
	v_mov_b32_e32 v6, 0
	ds_read_b32 v6, v6 offset:16
	s_waitcnt lgkmcnt(0)
	v_mul_f32_e32 v6, v18, v6
.LBB76_210:
	s_or_b64 exec, exec, s[8:9]
	v_cmp_gt_u32_e64 s[6:7], 5, v0
	s_waitcnt vmcnt(8)
	ds_write_b32 v59, v7
	s_waitcnt lgkmcnt(0)
	; wave barrier
	s_waitcnt lgkmcnt(0)
	s_and_saveexec_b64 s[10:11], s[6:7]
	s_cbranch_execz .LBB76_220
; %bb.211:
	s_and_b64 vcc, exec, s[0:1]
	s_cbranch_vccnz .LBB76_213
; %bb.212:
	v_cmp_eq_u32_e32 vcc, 1, v0
	s_waitcnt vmcnt(1)
	v_cndmask_b32_e32 v16, v2, v3, vcc
	v_cmp_eq_u32_e32 vcc, 2, v0
	v_cndmask_b32_e32 v16, v16, v4, vcc
	v_cmp_eq_u32_e32 vcc, 3, v0
	;; [unrolled: 2-line block ×8, first 2 shown]
	ds_read_b32 v17, v59
	v_cndmask_b32_e32 v16, v16, v11, vcc
	v_cmp_eq_u32_e32 vcc, 10, v0
	v_cndmask_b32_e32 v16, v16, v12, vcc
	v_cmp_eq_u32_e32 vcc, 11, v0
	;; [unrolled: 2-line block ×3, first 2 shown]
	s_waitcnt vmcnt(0)
	v_cndmask_b32_e32 v16, v16, v14, vcc
	s_waitcnt lgkmcnt(0)
	v_mul_f32_e32 v18, v16, v17
	s_cbranch_execz .LBB76_214
	s_branch .LBB76_215
.LBB76_213:
                                        ; implicit-def: $vgpr18
.LBB76_214:
	ds_read_b32 v18, v59
.LBB76_215:
	v_cmp_ne_u32_e32 vcc, 4, v0
	s_and_saveexec_b64 s[12:13], vcc
	s_cbranch_execz .LBB76_219
; %bb.216:
	v_mov_b32_e32 v16, 0x44
	v_lshl_add_u32 v19, v0, 2, v16
	s_mov_b64 s[14:15], 0
	v_pk_mov_b32 v[16:17], v[0:1], v[0:1] op_sel:[0,1]
.LBB76_217:                             ; =>This Inner Loop Header: Depth=1
	v_add_co_u32_e32 v16, vcc, 1, v16
	v_addc_co_u32_e32 v17, vcc, 0, v17, vcc
	v_cmp_eq_u32_e32 vcc, 1, v16
	s_waitcnt vmcnt(1)
	v_cndmask_b32_e32 v21, v2, v3, vcc
	v_cmp_lt_u32_e32 vcc, 3, v16
	v_cmp_eq_u32_e64 s[8:9], 2, v16
	v_cndmask_b32_e64 v21, v21, v4, s[8:9]
	s_or_b64 s[14:15], vcc, s[14:15]
	v_cmp_eq_u32_e32 vcc, 3, v16
	v_cndmask_b32_e32 v21, v21, v5, vcc
	v_cmp_eq_u32_e32 vcc, 4, v16
	v_cndmask_b32_e32 v21, v21, v6, vcc
	;; [unrolled: 2-line block ×5, first 2 shown]
	v_cmp_eq_u32_e32 vcc, 8, v16
	ds_read_b32 v20, v19
	v_cndmask_b32_e32 v21, v21, v10, vcc
	v_cmp_eq_u32_e32 vcc, 9, v16
	v_cndmask_b32_e32 v21, v21, v11, vcc
	v_cmp_eq_u32_e32 vcc, 10, v16
	v_cndmask_b32_e32 v21, v21, v12, vcc
	v_cmp_eq_u32_e32 vcc, 11, v16
	v_cndmask_b32_e32 v21, v21, v13, vcc
	v_cmp_eq_u32_e32 vcc, 12, v16
	s_waitcnt vmcnt(0)
	v_cndmask_b32_e32 v21, v21, v14, vcc
	v_add_u32_e32 v19, 4, v19
	s_waitcnt lgkmcnt(0)
	v_fmac_f32_e32 v18, v21, v20
	s_andn2_b64 exec, exec, s[14:15]
	s_cbranch_execnz .LBB76_217
; %bb.218:
	s_or_b64 exec, exec, s[14:15]
.LBB76_219:
	s_or_b64 exec, exec, s[12:13]
	v_mov_b32_e32 v7, 0
	ds_read_b32 v7, v7 offset:20
	s_waitcnt lgkmcnt(0)
	v_mul_f32_e32 v7, v18, v7
.LBB76_220:
	s_or_b64 exec, exec, s[10:11]
	v_cmp_gt_u32_e32 vcc, 6, v0
	s_waitcnt vmcnt(7)
	ds_write_b32 v59, v8
	s_waitcnt lgkmcnt(0)
	; wave barrier
	s_waitcnt lgkmcnt(0)
	s_and_saveexec_b64 s[10:11], vcc
	s_cbranch_execz .LBB76_230
; %bb.221:
	s_and_b64 vcc, exec, s[0:1]
	s_cbranch_vccnz .LBB76_223
; %bb.222:
	v_cmp_eq_u32_e32 vcc, 1, v0
	s_waitcnt vmcnt(1)
	v_cndmask_b32_e32 v16, v2, v3, vcc
	v_cmp_eq_u32_e32 vcc, 2, v0
	v_cndmask_b32_e32 v16, v16, v4, vcc
	v_cmp_eq_u32_e32 vcc, 3, v0
	;; [unrolled: 2-line block ×8, first 2 shown]
	ds_read_b32 v17, v59
	v_cndmask_b32_e32 v16, v16, v11, vcc
	v_cmp_eq_u32_e32 vcc, 10, v0
	v_cndmask_b32_e32 v16, v16, v12, vcc
	v_cmp_eq_u32_e32 vcc, 11, v0
	;; [unrolled: 2-line block ×3, first 2 shown]
	s_waitcnt vmcnt(0)
	v_cndmask_b32_e32 v16, v16, v14, vcc
	s_waitcnt lgkmcnt(0)
	v_mul_f32_e32 v18, v16, v17
	s_cbranch_execz .LBB76_224
	s_branch .LBB76_225
.LBB76_223:
                                        ; implicit-def: $vgpr18
.LBB76_224:
	ds_read_b32 v18, v59
.LBB76_225:
	v_cmp_ne_u32_e32 vcc, 5, v0
	s_and_saveexec_b64 s[12:13], vcc
	s_cbranch_execz .LBB76_229
; %bb.226:
	v_mov_b32_e32 v16, 0x44
	v_lshl_add_u32 v19, v0, 2, v16
	s_mov_b64 s[14:15], 0
	v_pk_mov_b32 v[16:17], v[0:1], v[0:1] op_sel:[0,1]
.LBB76_227:                             ; =>This Inner Loop Header: Depth=1
	v_add_co_u32_e32 v16, vcc, 1, v16
	v_addc_co_u32_e32 v17, vcc, 0, v17, vcc
	v_cmp_eq_u32_e32 vcc, 1, v16
	s_waitcnt vmcnt(1)
	v_cndmask_b32_e32 v21, v2, v3, vcc
	v_cmp_lt_u32_e32 vcc, 4, v16
	v_cmp_eq_u32_e64 s[8:9], 2, v16
	v_cndmask_b32_e64 v21, v21, v4, s[8:9]
	s_or_b64 s[14:15], vcc, s[14:15]
	v_cmp_eq_u32_e32 vcc, 3, v16
	v_cndmask_b32_e32 v21, v21, v5, vcc
	v_cmp_eq_u32_e32 vcc, 4, v16
	v_cndmask_b32_e32 v21, v21, v6, vcc
	;; [unrolled: 2-line block ×5, first 2 shown]
	v_cmp_eq_u32_e32 vcc, 8, v16
	ds_read_b32 v20, v19
	v_cndmask_b32_e32 v21, v21, v10, vcc
	v_cmp_eq_u32_e32 vcc, 9, v16
	v_cndmask_b32_e32 v21, v21, v11, vcc
	v_cmp_eq_u32_e32 vcc, 10, v16
	;; [unrolled: 2-line block ×4, first 2 shown]
	s_waitcnt vmcnt(0)
	v_cndmask_b32_e32 v21, v21, v14, vcc
	v_add_u32_e32 v19, 4, v19
	s_waitcnt lgkmcnt(0)
	v_fmac_f32_e32 v18, v21, v20
	s_andn2_b64 exec, exec, s[14:15]
	s_cbranch_execnz .LBB76_227
; %bb.228:
	s_or_b64 exec, exec, s[14:15]
.LBB76_229:
	s_or_b64 exec, exec, s[12:13]
	v_mov_b32_e32 v8, 0
	ds_read_b32 v8, v8 offset:24
	s_waitcnt lgkmcnt(0)
	v_mul_f32_e32 v8, v18, v8
.LBB76_230:
	s_or_b64 exec, exec, s[10:11]
	v_cmp_gt_u32_e64 s[8:9], 7, v0
	s_waitcnt vmcnt(6)
	ds_write_b32 v59, v9
	s_waitcnt lgkmcnt(0)
	; wave barrier
	s_waitcnt lgkmcnt(0)
	s_and_saveexec_b64 s[12:13], s[8:9]
	s_cbranch_execz .LBB76_240
; %bb.231:
	s_and_b64 vcc, exec, s[0:1]
	s_cbranch_vccnz .LBB76_233
; %bb.232:
	v_cmp_eq_u32_e32 vcc, 1, v0
	s_waitcnt vmcnt(1)
	v_cndmask_b32_e32 v16, v2, v3, vcc
	v_cmp_eq_u32_e32 vcc, 2, v0
	v_cndmask_b32_e32 v16, v16, v4, vcc
	v_cmp_eq_u32_e32 vcc, 3, v0
	;; [unrolled: 2-line block ×8, first 2 shown]
	ds_read_b32 v17, v59
	v_cndmask_b32_e32 v16, v16, v11, vcc
	v_cmp_eq_u32_e32 vcc, 10, v0
	v_cndmask_b32_e32 v16, v16, v12, vcc
	v_cmp_eq_u32_e32 vcc, 11, v0
	;; [unrolled: 2-line block ×3, first 2 shown]
	s_waitcnt vmcnt(0)
	v_cndmask_b32_e32 v16, v16, v14, vcc
	s_waitcnt lgkmcnt(0)
	v_mul_f32_e32 v18, v16, v17
	s_cbranch_execz .LBB76_234
	s_branch .LBB76_235
.LBB76_233:
                                        ; implicit-def: $vgpr18
.LBB76_234:
	ds_read_b32 v18, v59
.LBB76_235:
	v_cmp_ne_u32_e32 vcc, 6, v0
	s_and_saveexec_b64 s[14:15], vcc
	s_cbranch_execz .LBB76_239
; %bb.236:
	v_mov_b32_e32 v16, 0x44
	v_lshl_add_u32 v19, v0, 2, v16
	s_mov_b64 s[16:17], 0
	v_pk_mov_b32 v[16:17], v[0:1], v[0:1] op_sel:[0,1]
.LBB76_237:                             ; =>This Inner Loop Header: Depth=1
	v_add_co_u32_e32 v16, vcc, 1, v16
	v_addc_co_u32_e32 v17, vcc, 0, v17, vcc
	v_cmp_eq_u32_e32 vcc, 1, v16
	s_waitcnt vmcnt(1)
	v_cndmask_b32_e32 v21, v2, v3, vcc
	v_cmp_lt_u32_e32 vcc, 5, v16
	v_cmp_eq_u32_e64 s[10:11], 2, v16
	v_cndmask_b32_e64 v21, v21, v4, s[10:11]
	s_or_b64 s[16:17], vcc, s[16:17]
	v_cmp_eq_u32_e32 vcc, 3, v16
	v_cndmask_b32_e32 v21, v21, v5, vcc
	v_cmp_eq_u32_e32 vcc, 4, v16
	v_cndmask_b32_e32 v21, v21, v6, vcc
	;; [unrolled: 2-line block ×5, first 2 shown]
	v_cmp_eq_u32_e32 vcc, 8, v16
	ds_read_b32 v20, v19
	v_cndmask_b32_e32 v21, v21, v10, vcc
	v_cmp_eq_u32_e32 vcc, 9, v16
	v_cndmask_b32_e32 v21, v21, v11, vcc
	v_cmp_eq_u32_e32 vcc, 10, v16
	;; [unrolled: 2-line block ×4, first 2 shown]
	s_waitcnt vmcnt(0)
	v_cndmask_b32_e32 v21, v21, v14, vcc
	v_add_u32_e32 v19, 4, v19
	s_waitcnt lgkmcnt(0)
	v_fmac_f32_e32 v18, v21, v20
	s_andn2_b64 exec, exec, s[16:17]
	s_cbranch_execnz .LBB76_237
; %bb.238:
	s_or_b64 exec, exec, s[16:17]
.LBB76_239:
	s_or_b64 exec, exec, s[14:15]
	v_mov_b32_e32 v9, 0
	ds_read_b32 v9, v9 offset:28
	s_waitcnt lgkmcnt(0)
	v_mul_f32_e32 v9, v18, v9
.LBB76_240:
	s_or_b64 exec, exec, s[12:13]
	v_cmp_gt_u32_e32 vcc, 8, v0
	s_waitcnt vmcnt(5)
	ds_write_b32 v59, v10
	s_waitcnt lgkmcnt(0)
	; wave barrier
	s_waitcnt lgkmcnt(0)
	s_and_saveexec_b64 s[12:13], vcc
	s_cbranch_execz .LBB76_250
; %bb.241:
	s_and_b64 vcc, exec, s[0:1]
	s_cbranch_vccnz .LBB76_243
; %bb.242:
	v_cmp_eq_u32_e32 vcc, 1, v0
	s_waitcnt vmcnt(1)
	v_cndmask_b32_e32 v16, v2, v3, vcc
	v_cmp_eq_u32_e32 vcc, 2, v0
	v_cndmask_b32_e32 v16, v16, v4, vcc
	v_cmp_eq_u32_e32 vcc, 3, v0
	;; [unrolled: 2-line block ×8, first 2 shown]
	ds_read_b32 v17, v59
	v_cndmask_b32_e32 v16, v16, v11, vcc
	v_cmp_eq_u32_e32 vcc, 10, v0
	v_cndmask_b32_e32 v16, v16, v12, vcc
	v_cmp_eq_u32_e32 vcc, 11, v0
	;; [unrolled: 2-line block ×3, first 2 shown]
	s_waitcnt vmcnt(0)
	v_cndmask_b32_e32 v16, v16, v14, vcc
	s_waitcnt lgkmcnt(0)
	v_mul_f32_e32 v18, v16, v17
	s_cbranch_execz .LBB76_244
	s_branch .LBB76_245
.LBB76_243:
                                        ; implicit-def: $vgpr18
.LBB76_244:
	ds_read_b32 v18, v59
.LBB76_245:
	v_cmp_ne_u32_e32 vcc, 7, v0
	s_and_saveexec_b64 s[14:15], vcc
	s_cbranch_execz .LBB76_249
; %bb.246:
	v_mov_b32_e32 v16, 0x44
	v_lshl_add_u32 v19, v0, 2, v16
	s_mov_b64 s[16:17], 0
	v_pk_mov_b32 v[16:17], v[0:1], v[0:1] op_sel:[0,1]
.LBB76_247:                             ; =>This Inner Loop Header: Depth=1
	v_add_co_u32_e32 v16, vcc, 1, v16
	v_addc_co_u32_e32 v17, vcc, 0, v17, vcc
	v_cmp_eq_u32_e32 vcc, 1, v16
	s_waitcnt vmcnt(1)
	v_cndmask_b32_e32 v21, v2, v3, vcc
	v_cmp_lt_u32_e32 vcc, 6, v16
	v_cmp_eq_u32_e64 s[10:11], 2, v16
	v_cndmask_b32_e64 v21, v21, v4, s[10:11]
	s_or_b64 s[16:17], vcc, s[16:17]
	v_cmp_eq_u32_e32 vcc, 3, v16
	v_cndmask_b32_e32 v21, v21, v5, vcc
	v_cmp_eq_u32_e32 vcc, 4, v16
	v_cndmask_b32_e32 v21, v21, v6, vcc
	;; [unrolled: 2-line block ×5, first 2 shown]
	v_cmp_eq_u32_e32 vcc, 8, v16
	ds_read_b32 v20, v19
	v_cndmask_b32_e32 v21, v21, v10, vcc
	v_cmp_eq_u32_e32 vcc, 9, v16
	v_cndmask_b32_e32 v21, v21, v11, vcc
	v_cmp_eq_u32_e32 vcc, 10, v16
	;; [unrolled: 2-line block ×4, first 2 shown]
	s_waitcnt vmcnt(0)
	v_cndmask_b32_e32 v21, v21, v14, vcc
	v_add_u32_e32 v19, 4, v19
	s_waitcnt lgkmcnt(0)
	v_fmac_f32_e32 v18, v21, v20
	s_andn2_b64 exec, exec, s[16:17]
	s_cbranch_execnz .LBB76_247
; %bb.248:
	s_or_b64 exec, exec, s[16:17]
.LBB76_249:
	s_or_b64 exec, exec, s[14:15]
	v_mov_b32_e32 v10, 0
	ds_read_b32 v10, v10 offset:32
	s_waitcnt lgkmcnt(0)
	v_mul_f32_e32 v10, v18, v10
.LBB76_250:
	s_or_b64 exec, exec, s[12:13]
	v_cmp_gt_u32_e32 vcc, 9, v0
	s_waitcnt vmcnt(4)
	ds_write_b32 v59, v11
	s_waitcnt lgkmcnt(0)
	; wave barrier
	s_waitcnt lgkmcnt(0)
	s_and_saveexec_b64 s[10:11], vcc
	s_cbranch_execz .LBB76_272
; %bb.251:
	s_and_b64 vcc, exec, s[0:1]
	s_cbranch_vccnz .LBB76_253
; %bb.252:
	v_cmp_eq_u32_e32 vcc, 1, v0
	s_waitcnt vmcnt(1)
	v_cndmask_b32_e32 v16, v2, v3, vcc
	v_cmp_eq_u32_e32 vcc, 2, v0
	v_cndmask_b32_e32 v16, v16, v4, vcc
	v_cmp_eq_u32_e32 vcc, 3, v0
	;; [unrolled: 2-line block ×8, first 2 shown]
	ds_read_b32 v17, v59
	v_cndmask_b32_e32 v16, v16, v11, vcc
	v_cmp_eq_u32_e32 vcc, 10, v0
	v_cndmask_b32_e32 v16, v16, v12, vcc
	v_cmp_eq_u32_e32 vcc, 11, v0
	v_cndmask_b32_e32 v16, v16, v13, vcc
	v_cmp_eq_u32_e32 vcc, 12, v0
	s_waitcnt vmcnt(0)
	v_cndmask_b32_e32 v16, v16, v14, vcc
	s_waitcnt lgkmcnt(0)
	v_mul_f32_e32 v16, v16, v17
	s_cbranch_execz .LBB76_254
	s_branch .LBB76_255
.LBB76_253:
                                        ; implicit-def: $vgpr16
.LBB76_254:
	ds_read_b32 v16, v59
.LBB76_255:
	v_cmp_ne_u32_e32 vcc, 8, v0
	s_and_saveexec_b64 s[12:13], vcc
	s_cbranch_execz .LBB76_271
; %bb.256:
	v_cmp_eq_u32_e32 vcc, 1, v15
	s_waitcnt vmcnt(1)
	v_cndmask_b32_e32 v17, v2, v3, vcc
	v_cmp_eq_u32_e32 vcc, 2, v15
	v_cndmask_b32_e32 v17, v17, v4, vcc
	v_cmp_eq_u32_e32 vcc, 3, v15
	;; [unrolled: 2-line block ×8, first 2 shown]
	ds_read_b32 v18, v59 offset:4
	v_cndmask_b32_e32 v17, v17, v11, vcc
	v_cmp_eq_u32_e32 vcc, 10, v15
	v_cndmask_b32_e32 v17, v17, v12, vcc
	v_cmp_eq_u32_e32 vcc, 11, v15
	;; [unrolled: 2-line block ×3, first 2 shown]
	s_waitcnt vmcnt(0)
	v_cndmask_b32_e32 v15, v17, v14, vcc
	s_waitcnt lgkmcnt(0)
	v_fmac_f32_e32 v16, v15, v18
	s_and_saveexec_b64 s[14:15], s[8:9]
	s_cbranch_execz .LBB76_270
; %bb.257:
	v_add_u32_e32 v15, 2, v0
	v_cmp_eq_u32_e32 vcc, 1, v15
	v_cndmask_b32_e32 v17, v2, v3, vcc
	v_cmp_eq_u32_e32 vcc, 2, v15
	v_cndmask_b32_e32 v17, v17, v4, vcc
	;; [unrolled: 2-line block ×8, first 2 shown]
	v_cmp_eq_u32_e32 vcc, 9, v15
	ds_read_b32 v18, v59 offset:8
	v_cndmask_b32_e32 v17, v17, v11, vcc
	v_cmp_eq_u32_e32 vcc, 10, v15
	v_cndmask_b32_e32 v17, v17, v12, vcc
	v_cmp_eq_u32_e32 vcc, 11, v15
	;; [unrolled: 2-line block ×3, first 2 shown]
	v_cndmask_b32_e32 v15, v17, v14, vcc
	s_waitcnt lgkmcnt(0)
	v_fmac_f32_e32 v16, v15, v18
	v_cmp_ne_u32_e32 vcc, 6, v0
	s_and_saveexec_b64 s[8:9], vcc
	s_cbranch_execz .LBB76_269
; %bb.258:
	v_add_u32_e32 v15, 3, v0
	v_cmp_eq_u32_e32 vcc, 1, v15
	v_cndmask_b32_e32 v17, v2, v3, vcc
	v_cmp_eq_u32_e32 vcc, 2, v15
	v_cndmask_b32_e32 v17, v17, v4, vcc
	;; [unrolled: 2-line block ×8, first 2 shown]
	v_cmp_eq_u32_e32 vcc, 9, v15
	ds_read_b32 v18, v59 offset:12
	v_cndmask_b32_e32 v17, v17, v11, vcc
	v_cmp_eq_u32_e32 vcc, 10, v15
	v_cndmask_b32_e32 v17, v17, v12, vcc
	v_cmp_eq_u32_e32 vcc, 11, v15
	;; [unrolled: 2-line block ×3, first 2 shown]
	v_cndmask_b32_e32 v15, v17, v14, vcc
	s_waitcnt lgkmcnt(0)
	v_fmac_f32_e32 v16, v15, v18
	s_and_saveexec_b64 s[16:17], s[6:7]
	s_cbranch_execz .LBB76_268
; %bb.259:
	v_add_u32_e32 v15, 4, v0
	v_cmp_eq_u32_e32 vcc, 1, v15
	v_cndmask_b32_e32 v17, v2, v3, vcc
	v_cmp_eq_u32_e32 vcc, 2, v15
	v_cndmask_b32_e32 v17, v17, v4, vcc
	;; [unrolled: 2-line block ×8, first 2 shown]
	v_cmp_eq_u32_e32 vcc, 9, v15
	ds_read_b32 v18, v59 offset:16
	v_cndmask_b32_e32 v17, v17, v11, vcc
	v_cmp_eq_u32_e32 vcc, 10, v15
	v_cndmask_b32_e32 v17, v17, v12, vcc
	v_cmp_eq_u32_e32 vcc, 11, v15
	;; [unrolled: 2-line block ×3, first 2 shown]
	v_cndmask_b32_e32 v15, v17, v14, vcc
	s_waitcnt lgkmcnt(0)
	v_fmac_f32_e32 v16, v15, v18
	v_cmp_ne_u32_e32 vcc, 4, v0
	s_and_saveexec_b64 s[6:7], vcc
	s_cbranch_execz .LBB76_267
; %bb.260:
	v_add_u32_e32 v15, 5, v0
	v_cmp_eq_u32_e32 vcc, 1, v15
	v_cndmask_b32_e32 v17, v2, v3, vcc
	v_cmp_eq_u32_e32 vcc, 2, v15
	v_cndmask_b32_e32 v17, v17, v4, vcc
	;; [unrolled: 2-line block ×8, first 2 shown]
	v_cmp_eq_u32_e32 vcc, 9, v15
	ds_read_b32 v18, v59 offset:20
	v_cndmask_b32_e32 v17, v17, v11, vcc
	v_cmp_eq_u32_e32 vcc, 10, v15
	v_cndmask_b32_e32 v17, v17, v12, vcc
	v_cmp_eq_u32_e32 vcc, 11, v15
	;; [unrolled: 2-line block ×3, first 2 shown]
	v_cndmask_b32_e32 v15, v17, v14, vcc
	s_waitcnt lgkmcnt(0)
	v_fmac_f32_e32 v16, v15, v18
	s_and_saveexec_b64 s[18:19], s[4:5]
	s_cbranch_execz .LBB76_266
; %bb.261:
	v_add_u32_e32 v15, 6, v0
	v_cmp_eq_u32_e32 vcc, 1, v15
	v_cndmask_b32_e32 v17, v2, v3, vcc
	v_cmp_eq_u32_e32 vcc, 2, v15
	v_cndmask_b32_e32 v17, v17, v4, vcc
	;; [unrolled: 2-line block ×8, first 2 shown]
	v_cmp_eq_u32_e32 vcc, 9, v15
	ds_read_b32 v18, v59 offset:24
	v_cndmask_b32_e32 v17, v17, v11, vcc
	v_cmp_eq_u32_e32 vcc, 10, v15
	v_cndmask_b32_e32 v17, v17, v12, vcc
	v_cmp_eq_u32_e32 vcc, 11, v15
	;; [unrolled: 2-line block ×3, first 2 shown]
	v_cndmask_b32_e32 v15, v17, v14, vcc
	s_waitcnt lgkmcnt(0)
	v_fmac_f32_e32 v16, v15, v18
	v_cmp_ne_u32_e32 vcc, 2, v0
	s_and_saveexec_b64 s[4:5], vcc
	s_cbranch_execz .LBB76_265
; %bb.262:
	v_add_u32_e32 v15, 7, v0
	v_cmp_eq_u32_e32 vcc, 1, v15
	v_cndmask_b32_e32 v17, v2, v3, vcc
	v_cmp_eq_u32_e32 vcc, 2, v15
	v_cndmask_b32_e32 v17, v17, v4, vcc
	;; [unrolled: 2-line block ×9, first 2 shown]
	ds_read_b32 v17, v59 offset:28
	v_cmp_eq_u32_e32 vcc, 10, v15
	v_cndmask_b32_e32 v11, v11, v12, vcc
	v_cmp_eq_u32_e32 vcc, 11, v15
	v_cndmask_b32_e32 v11, v11, v13, vcc
	;; [unrolled: 2-line block ×3, first 2 shown]
	s_waitcnt lgkmcnt(0)
	v_fmac_f32_e32 v16, v11, v17
	s_and_saveexec_b64 s[20:21], s[2:3]
	s_cbranch_execz .LBB76_264
; %bb.263:
	ds_read_b32 v11, v59 offset:32
	s_waitcnt lgkmcnt(0)
	v_fmac_f32_e32 v16, v10, v11
.LBB76_264:
	s_or_b64 exec, exec, s[20:21]
.LBB76_265:
	s_or_b64 exec, exec, s[4:5]
.LBB76_266:
	s_or_b64 exec, exec, s[18:19]
.LBB76_267:
	s_or_b64 exec, exec, s[6:7]
.LBB76_268:
	s_or_b64 exec, exec, s[16:17]
.LBB76_269:
	s_or_b64 exec, exec, s[8:9]
.LBB76_270:
	s_or_b64 exec, exec, s[14:15]
.LBB76_271:
	s_or_b64 exec, exec, s[12:13]
	v_mov_b32_e32 v11, 0
	ds_read_b32 v11, v11 offset:36
	s_waitcnt lgkmcnt(0)
	v_mul_f32_e32 v11, v16, v11
.LBB76_272:
	s_or_b64 exec, exec, s[10:11]
	v_cmp_gt_u32_e32 vcc, 10, v0
	s_waitcnt vmcnt(3)
	ds_write_b32 v59, v12
	s_waitcnt lgkmcnt(0)
	; wave barrier
	s_waitcnt lgkmcnt(0)
	s_and_saveexec_b64 s[4:5], vcc
	s_cbranch_execz .LBB76_282
; %bb.273:
	s_and_b64 vcc, exec, s[0:1]
	s_cbranch_vccnz .LBB76_275
; %bb.274:
	v_cmp_eq_u32_e32 vcc, 1, v0
	s_waitcnt vmcnt(1)
	v_cndmask_b32_e32 v15, v2, v3, vcc
	v_cmp_eq_u32_e32 vcc, 2, v0
	v_cndmask_b32_e32 v15, v15, v4, vcc
	v_cmp_eq_u32_e32 vcc, 3, v0
	;; [unrolled: 2-line block ×8, first 2 shown]
	ds_read_b32 v16, v59
	v_cndmask_b32_e32 v15, v15, v11, vcc
	v_cmp_eq_u32_e32 vcc, 10, v0
	v_cndmask_b32_e32 v15, v15, v12, vcc
	v_cmp_eq_u32_e32 vcc, 11, v0
	;; [unrolled: 2-line block ×3, first 2 shown]
	s_waitcnt vmcnt(0)
	v_cndmask_b32_e32 v15, v15, v14, vcc
	s_waitcnt lgkmcnt(0)
	v_mul_f32_e32 v15, v15, v16
	s_cbranch_execz .LBB76_276
	s_branch .LBB76_277
.LBB76_275:
                                        ; implicit-def: $vgpr15
.LBB76_276:
	ds_read_b32 v15, v59
.LBB76_277:
	v_cmp_ne_u32_e32 vcc, 9, v0
	s_and_saveexec_b64 s[6:7], vcc
	s_cbranch_execz .LBB76_281
; %bb.278:
	v_mov_b32_e32 v16, 0x44
	v_lshl_add_u32 v18, v0, 2, v16
	s_mov_b64 s[8:9], 0
	v_pk_mov_b32 v[16:17], v[0:1], v[0:1] op_sel:[0,1]
.LBB76_279:                             ; =>This Inner Loop Header: Depth=1
	v_add_co_u32_e32 v16, vcc, 1, v16
	v_addc_co_u32_e32 v17, vcc, 0, v17, vcc
	v_cmp_eq_u32_e32 vcc, 1, v16
	s_waitcnt vmcnt(1)
	v_cndmask_b32_e32 v20, v2, v3, vcc
	v_cmp_lt_u32_e32 vcc, 8, v16
	v_cmp_eq_u32_e64 s[2:3], 2, v16
	v_cndmask_b32_e64 v20, v20, v4, s[2:3]
	s_or_b64 s[8:9], vcc, s[8:9]
	v_cmp_eq_u32_e32 vcc, 3, v16
	v_cndmask_b32_e32 v20, v20, v5, vcc
	v_cmp_eq_u32_e32 vcc, 4, v16
	v_cndmask_b32_e32 v20, v20, v6, vcc
	;; [unrolled: 2-line block ×5, first 2 shown]
	v_cmp_eq_u32_e32 vcc, 8, v16
	ds_read_b32 v19, v18
	v_cndmask_b32_e32 v20, v20, v10, vcc
	v_cmp_eq_u32_e32 vcc, 9, v16
	v_cndmask_b32_e32 v20, v20, v11, vcc
	v_cmp_eq_u32_e32 vcc, 10, v16
	;; [unrolled: 2-line block ×4, first 2 shown]
	s_waitcnt vmcnt(0)
	v_cndmask_b32_e32 v20, v20, v14, vcc
	v_add_u32_e32 v18, 4, v18
	s_waitcnt lgkmcnt(0)
	v_fmac_f32_e32 v15, v20, v19
	s_andn2_b64 exec, exec, s[8:9]
	s_cbranch_execnz .LBB76_279
; %bb.280:
	s_or_b64 exec, exec, s[8:9]
.LBB76_281:
	s_or_b64 exec, exec, s[6:7]
	v_mov_b32_e32 v12, 0
	ds_read_b32 v12, v12 offset:40
	s_waitcnt lgkmcnt(0)
	v_mul_f32_e32 v12, v15, v12
.LBB76_282:
	s_or_b64 exec, exec, s[4:5]
	v_cmp_gt_u32_e64 s[2:3], 11, v0
	s_waitcnt vmcnt(2)
	ds_write_b32 v59, v13
	s_waitcnt lgkmcnt(0)
	; wave barrier
	s_waitcnt lgkmcnt(0)
	s_and_saveexec_b64 s[6:7], s[2:3]
	s_cbranch_execz .LBB76_292
; %bb.283:
	s_and_b64 vcc, exec, s[0:1]
	s_cbranch_vccnz .LBB76_285
; %bb.284:
	v_cmp_eq_u32_e32 vcc, 1, v0
	s_waitcnt vmcnt(1)
	v_cndmask_b32_e32 v15, v2, v3, vcc
	v_cmp_eq_u32_e32 vcc, 2, v0
	v_cndmask_b32_e32 v15, v15, v4, vcc
	v_cmp_eq_u32_e32 vcc, 3, v0
	;; [unrolled: 2-line block ×8, first 2 shown]
	ds_read_b32 v16, v59
	v_cndmask_b32_e32 v15, v15, v11, vcc
	v_cmp_eq_u32_e32 vcc, 10, v0
	v_cndmask_b32_e32 v15, v15, v12, vcc
	v_cmp_eq_u32_e32 vcc, 11, v0
	;; [unrolled: 2-line block ×3, first 2 shown]
	s_waitcnt vmcnt(0)
	v_cndmask_b32_e32 v15, v15, v14, vcc
	s_waitcnt lgkmcnt(0)
	v_mul_f32_e32 v15, v15, v16
	s_cbranch_execz .LBB76_286
	s_branch .LBB76_287
.LBB76_285:
                                        ; implicit-def: $vgpr15
.LBB76_286:
	ds_read_b32 v15, v59
.LBB76_287:
	v_cmp_ne_u32_e32 vcc, 10, v0
	s_and_saveexec_b64 s[8:9], vcc
	s_cbranch_execz .LBB76_291
; %bb.288:
	v_mov_b32_e32 v16, 0x44
	v_lshl_add_u32 v18, v0, 2, v16
	s_mov_b64 s[10:11], 0
	v_pk_mov_b32 v[16:17], v[0:1], v[0:1] op_sel:[0,1]
.LBB76_289:                             ; =>This Inner Loop Header: Depth=1
	v_add_co_u32_e32 v16, vcc, 1, v16
	v_addc_co_u32_e32 v17, vcc, 0, v17, vcc
	v_cmp_eq_u32_e32 vcc, 1, v16
	s_waitcnt vmcnt(1)
	v_cndmask_b32_e32 v20, v2, v3, vcc
	v_cmp_lt_u32_e32 vcc, 9, v16
	v_cmp_eq_u32_e64 s[4:5], 2, v16
	v_cndmask_b32_e64 v20, v20, v4, s[4:5]
	s_or_b64 s[10:11], vcc, s[10:11]
	v_cmp_eq_u32_e32 vcc, 3, v16
	v_cndmask_b32_e32 v20, v20, v5, vcc
	v_cmp_eq_u32_e32 vcc, 4, v16
	v_cndmask_b32_e32 v20, v20, v6, vcc
	;; [unrolled: 2-line block ×5, first 2 shown]
	v_cmp_eq_u32_e32 vcc, 8, v16
	ds_read_b32 v19, v18
	v_cndmask_b32_e32 v20, v20, v10, vcc
	v_cmp_eq_u32_e32 vcc, 9, v16
	v_cndmask_b32_e32 v20, v20, v11, vcc
	v_cmp_eq_u32_e32 vcc, 10, v16
	;; [unrolled: 2-line block ×4, first 2 shown]
	s_waitcnt vmcnt(0)
	v_cndmask_b32_e32 v20, v20, v14, vcc
	v_add_u32_e32 v18, 4, v18
	s_waitcnt lgkmcnt(0)
	v_fmac_f32_e32 v15, v20, v19
	s_andn2_b64 exec, exec, s[10:11]
	s_cbranch_execnz .LBB76_289
; %bb.290:
	s_or_b64 exec, exec, s[10:11]
.LBB76_291:
	s_or_b64 exec, exec, s[8:9]
	v_mov_b32_e32 v13, 0
	ds_read_b32 v13, v13 offset:44
	s_waitcnt lgkmcnt(0)
	v_mul_f32_e32 v13, v15, v13
.LBB76_292:
	s_or_b64 exec, exec, s[6:7]
	v_cmp_ne_u32_e32 vcc, 12, v0
	s_waitcnt vmcnt(0)
	ds_write_b32 v59, v14
	s_waitcnt lgkmcnt(0)
	; wave barrier
	s_waitcnt lgkmcnt(0)
	s_and_saveexec_b64 s[4:5], vcc
	s_cbranch_execz .LBB76_302
; %bb.293:
	s_and_b64 vcc, exec, s[0:1]
	s_cbranch_vccnz .LBB76_295
; %bb.294:
	v_cmp_eq_u32_e32 vcc, 1, v0
	v_cndmask_b32_e32 v15, v2, v3, vcc
	v_cmp_eq_u32_e32 vcc, 2, v0
	v_cndmask_b32_e32 v15, v15, v4, vcc
	;; [unrolled: 2-line block ×8, first 2 shown]
	v_cmp_eq_u32_e32 vcc, 9, v0
	ds_read_b32 v16, v59
	v_cndmask_b32_e32 v15, v15, v11, vcc
	v_cmp_eq_u32_e32 vcc, 10, v0
	v_cndmask_b32_e32 v15, v15, v12, vcc
	v_cmp_eq_u32_e32 vcc, 11, v0
	;; [unrolled: 2-line block ×3, first 2 shown]
	v_cndmask_b32_e32 v15, v15, v14, vcc
	s_waitcnt lgkmcnt(0)
	v_mul_f32_e32 v15, v15, v16
	s_cbranch_execz .LBB76_296
	s_branch .LBB76_297
.LBB76_295:
                                        ; implicit-def: $vgpr15
.LBB76_296:
	ds_read_b32 v15, v59
.LBB76_297:
	s_and_saveexec_b64 s[6:7], s[2:3]
	s_cbranch_execz .LBB76_301
; %bb.298:
	v_mov_b32_e32 v16, 0x44
	v_lshl_add_u32 v16, v0, 2, v16
	s_mov_b64 s[2:3], 0
.LBB76_299:                             ; =>This Inner Loop Header: Depth=1
	v_add_co_u32_e32 v0, vcc, 1, v0
	v_addc_co_u32_e32 v1, vcc, 0, v1, vcc
	v_cmp_eq_u32_e32 vcc, 1, v0
	v_cndmask_b32_e32 v18, v2, v3, vcc
	v_cmp_lt_u32_e32 vcc, 10, v0
	v_cmp_eq_u32_e64 s[0:1], 2, v0
	v_cndmask_b32_e64 v18, v18, v4, s[0:1]
	s_or_b64 s[2:3], vcc, s[2:3]
	v_cmp_eq_u32_e32 vcc, 3, v0
	v_cndmask_b32_e32 v18, v18, v5, vcc
	v_cmp_eq_u32_e32 vcc, 4, v0
	v_cndmask_b32_e32 v18, v18, v6, vcc
	;; [unrolled: 2-line block ×5, first 2 shown]
	v_cmp_eq_u32_e32 vcc, 8, v0
	ds_read_b32 v17, v16
	v_cndmask_b32_e32 v18, v18, v10, vcc
	v_cmp_eq_u32_e32 vcc, 9, v0
	v_cndmask_b32_e32 v18, v18, v11, vcc
	v_cmp_eq_u32_e32 vcc, 10, v0
	;; [unrolled: 2-line block ×4, first 2 shown]
	v_cndmask_b32_e32 v18, v18, v14, vcc
	v_add_u32_e32 v16, 4, v16
	s_waitcnt lgkmcnt(0)
	v_fmac_f32_e32 v15, v18, v17
	s_andn2_b64 exec, exec, s[2:3]
	s_cbranch_execnz .LBB76_299
; %bb.300:
	s_or_b64 exec, exec, s[2:3]
.LBB76_301:
	s_or_b64 exec, exec, s[6:7]
	v_mov_b32_e32 v0, 0
	ds_read_b32 v0, v0 offset:48
	s_waitcnt lgkmcnt(0)
	v_mul_f32_e32 v14, v15, v0
.LBB76_302:
	s_or_b64 exec, exec, s[4:5]
	v_pk_mov_b32 v[30:31], v[16:17], v[16:17] op_sel:[0,1]
	v_pk_mov_b32 v[28:29], v[14:15], v[14:15] op_sel:[0,1]
	;; [unrolled: 1-line block ×8, first 2 shown]
.LBB76_303:
	global_store_dword v[32:33], v16, off
	global_store_dword v[34:35], v17, off
	;; [unrolled: 1-line block ×13, first 2 shown]
.LBB76_304:
	s_endpgm
	.section	.rodata,"a",@progbits
	.p2align	6, 0x0
	.amdhsa_kernel _ZN9rocsolver6v33100L18trti2_kernel_smallILi13EfPKPfEEv13rocblas_fill_17rocblas_diagonal_T1_iil
		.amdhsa_group_segment_fixed_size 116
		.amdhsa_private_segment_fixed_size 0
		.amdhsa_kernarg_size 32
		.amdhsa_user_sgpr_count 6
		.amdhsa_user_sgpr_private_segment_buffer 1
		.amdhsa_user_sgpr_dispatch_ptr 0
		.amdhsa_user_sgpr_queue_ptr 0
		.amdhsa_user_sgpr_kernarg_segment_ptr 1
		.amdhsa_user_sgpr_dispatch_id 0
		.amdhsa_user_sgpr_flat_scratch_init 0
		.amdhsa_user_sgpr_kernarg_preload_length 0
		.amdhsa_user_sgpr_kernarg_preload_offset 0
		.amdhsa_user_sgpr_private_segment_size 0
		.amdhsa_uses_dynamic_stack 0
		.amdhsa_system_sgpr_private_segment_wavefront_offset 0
		.amdhsa_system_sgpr_workgroup_id_x 1
		.amdhsa_system_sgpr_workgroup_id_y 0
		.amdhsa_system_sgpr_workgroup_id_z 0
		.amdhsa_system_sgpr_workgroup_info 0
		.amdhsa_system_vgpr_workitem_id 0
		.amdhsa_next_free_vgpr 75
		.amdhsa_next_free_sgpr 32
		.amdhsa_accum_offset 76
		.amdhsa_reserve_vcc 1
		.amdhsa_reserve_flat_scratch 0
		.amdhsa_float_round_mode_32 0
		.amdhsa_float_round_mode_16_64 0
		.amdhsa_float_denorm_mode_32 3
		.amdhsa_float_denorm_mode_16_64 3
		.amdhsa_dx10_clamp 1
		.amdhsa_ieee_mode 1
		.amdhsa_fp16_overflow 0
		.amdhsa_tg_split 0
		.amdhsa_exception_fp_ieee_invalid_op 0
		.amdhsa_exception_fp_denorm_src 0
		.amdhsa_exception_fp_ieee_div_zero 0
		.amdhsa_exception_fp_ieee_overflow 0
		.amdhsa_exception_fp_ieee_underflow 0
		.amdhsa_exception_fp_ieee_inexact 0
		.amdhsa_exception_int_div_zero 0
	.end_amdhsa_kernel
	.section	.text._ZN9rocsolver6v33100L18trti2_kernel_smallILi13EfPKPfEEv13rocblas_fill_17rocblas_diagonal_T1_iil,"axG",@progbits,_ZN9rocsolver6v33100L18trti2_kernel_smallILi13EfPKPfEEv13rocblas_fill_17rocblas_diagonal_T1_iil,comdat
.Lfunc_end76:
	.size	_ZN9rocsolver6v33100L18trti2_kernel_smallILi13EfPKPfEEv13rocblas_fill_17rocblas_diagonal_T1_iil, .Lfunc_end76-_ZN9rocsolver6v33100L18trti2_kernel_smallILi13EfPKPfEEv13rocblas_fill_17rocblas_diagonal_T1_iil
                                        ; -- End function
	.section	.AMDGPU.csdata,"",@progbits
; Kernel info:
; codeLenInByte = 13832
; NumSgprs: 36
; NumVgprs: 75
; NumAgprs: 0
; TotalNumVgprs: 75
; ScratchSize: 0
; MemoryBound: 0
; FloatMode: 240
; IeeeMode: 1
; LDSByteSize: 116 bytes/workgroup (compile time only)
; SGPRBlocks: 4
; VGPRBlocks: 9
; NumSGPRsForWavesPerEU: 36
; NumVGPRsForWavesPerEU: 75
; AccumOffset: 76
; Occupancy: 6
; WaveLimiterHint : 1
; COMPUTE_PGM_RSRC2:SCRATCH_EN: 0
; COMPUTE_PGM_RSRC2:USER_SGPR: 6
; COMPUTE_PGM_RSRC2:TRAP_HANDLER: 0
; COMPUTE_PGM_RSRC2:TGID_X_EN: 1
; COMPUTE_PGM_RSRC2:TGID_Y_EN: 0
; COMPUTE_PGM_RSRC2:TGID_Z_EN: 0
; COMPUTE_PGM_RSRC2:TIDIG_COMP_CNT: 0
; COMPUTE_PGM_RSRC3_GFX90A:ACCUM_OFFSET: 18
; COMPUTE_PGM_RSRC3_GFX90A:TG_SPLIT: 0
	.section	.text._ZN9rocsolver6v33100L18trti2_kernel_smallILi14EfPKPfEEv13rocblas_fill_17rocblas_diagonal_T1_iil,"axG",@progbits,_ZN9rocsolver6v33100L18trti2_kernel_smallILi14EfPKPfEEv13rocblas_fill_17rocblas_diagonal_T1_iil,comdat
	.globl	_ZN9rocsolver6v33100L18trti2_kernel_smallILi14EfPKPfEEv13rocblas_fill_17rocblas_diagonal_T1_iil ; -- Begin function _ZN9rocsolver6v33100L18trti2_kernel_smallILi14EfPKPfEEv13rocblas_fill_17rocblas_diagonal_T1_iil
	.p2align	8
	.type	_ZN9rocsolver6v33100L18trti2_kernel_smallILi14EfPKPfEEv13rocblas_fill_17rocblas_diagonal_T1_iil,@function
_ZN9rocsolver6v33100L18trti2_kernel_smallILi14EfPKPfEEv13rocblas_fill_17rocblas_diagonal_T1_iil: ; @_ZN9rocsolver6v33100L18trti2_kernel_smallILi14EfPKPfEEv13rocblas_fill_17rocblas_diagonal_T1_iil
; %bb.0:
	v_cmp_gt_u32_e32 vcc, 14, v0
	s_and_saveexec_b64 s[0:1], vcc
	s_cbranch_execz .LBB77_330
; %bb.1:
	s_load_dwordx2 s[0:1], s[4:5], 0x10
	s_load_dwordx4 s[28:31], s[4:5], 0x0
	s_ashr_i32 s7, s6, 31
	s_lshl_b64 s[2:3], s[6:7], 3
	v_lshlrev_b32_e32 v16, 2, v0
	s_waitcnt lgkmcnt(0)
	s_ashr_i32 s5, s0, 31
	s_add_u32 s2, s30, s2
	s_addc_u32 s3, s31, s3
	s_load_dwordx2 s[2:3], s[2:3], 0x0
	s_mov_b32 s4, s0
	s_lshl_b64 s[4:5], s[4:5], 2
	v_mov_b32_e32 v17, -1.0
	s_waitcnt lgkmcnt(0)
	s_add_u32 s2, s2, s4
	s_addc_u32 s3, s3, s5
	v_mov_b32_e32 v1, s3
	v_add_co_u32_e32 v32, vcc, s2, v16
	s_ashr_i32 s5, s1, 31
	s_mov_b32 s4, s1
	s_add_i32 s0, s1, s1
	v_addc_co_u32_e32 v33, vcc, 0, v1, vcc
	s_lshl_b64 s[4:5], s[4:5], 2
	v_add_u32_e32 v2, s0, v0
	v_mov_b32_e32 v1, s5
	v_add_co_u32_e32 v34, vcc, s4, v32
	v_ashrrev_i32_e32 v3, 31, v2
	v_addc_co_u32_e32 v35, vcc, v33, v1, vcc
	v_lshlrev_b64 v[4:5], 2, v[2:3]
	v_add_u32_e32 v2, s1, v2
	v_mov_b32_e32 v1, s3
	v_add_co_u32_e32 v36, vcc, s2, v4
	v_ashrrev_i32_e32 v3, 31, v2
	v_addc_co_u32_e32 v37, vcc, v1, v5, vcc
	v_lshlrev_b64 v[4:5], 2, v[2:3]
	v_add_u32_e32 v2, s1, v2
	v_add_co_u32_e32 v38, vcc, s2, v4
	v_ashrrev_i32_e32 v3, 31, v2
	v_addc_co_u32_e32 v39, vcc, v1, v5, vcc
	v_lshlrev_b64 v[4:5], 2, v[2:3]
	v_add_u32_e32 v2, s1, v2
	;; [unrolled: 5-line block ×8, first 2 shown]
	v_add_co_u32_e32 v52, vcc, s2, v14
	v_ashrrev_i32_e32 v13, 31, v12
	global_load_dword v3, v[34:35], off
	global_load_dword v4, v[36:37], off
	;; [unrolled: 1-line block ×8, first 2 shown]
	v_addc_co_u32_e32 v53, vcc, v1, v15, vcc
	v_lshlrev_b64 v[14:15], 2, v[12:13]
	v_add_u32_e32 v18, s1, v12
	v_add_co_u32_e32 v54, vcc, s2, v14
	v_ashrrev_i32_e32 v19, 31, v18
	v_addc_co_u32_e32 v55, vcc, v1, v15, vcc
	v_lshlrev_b64 v[12:13], 2, v[18:19]
	v_add_u32_e32 v18, s1, v18
	v_add_co_u32_e32 v56, vcc, s2, v12
	v_ashrrev_i32_e32 v19, 31, v18
	v_addc_co_u32_e32 v57, vcc, v1, v13, vcc
	global_load_dword v11, v[50:51], off
	global_load_dword v12, v[52:53], off
	;; [unrolled: 1-line block ×4, first 2 shown]
	v_lshlrev_b64 v[18:19], 2, v[18:19]
	v_add_co_u32_e32 v58, vcc, s2, v18
	v_addc_co_u32_e32 v59, vcc, v1, v19, vcc
	global_load_dword v2, v16, s[2:3]
	global_load_dword v15, v[58:59], off
	s_cmpk_lg_i32 s29, 0x84
	v_mov_b32_e32 v1, 0
	s_cselect_b64 s[30:31], -1, 0
	s_cmpk_eq_i32 s29, 0x84
	v_cmp_eq_u32_e64 s[0:1], 0, v0
	s_cbranch_scc1 .LBB77_3
; %bb.2:
	v_cmp_eq_u32_e64 s[2:3], 1, v0
	s_waitcnt vmcnt(1)
	v_cndmask_b32_e64 v17, v2, v3, s[2:3]
	v_cmp_eq_u32_e64 s[4:5], 2, v0
	v_cndmask_b32_e64 v17, v17, v4, s[4:5]
	v_cmp_eq_u32_e64 s[6:7], 3, v0
	;; [unrolled: 2-line block ×12, first 2 shown]
	s_waitcnt vmcnt(0)
	v_cndmask_b32_e64 v17, v17, v15, s[26:27]
	v_div_scale_f32 v18, s[34:35], v17, v17, 1.0
	v_rcp_f32_e32 v19, v18
	v_fma_f32 v20, -v18, v19, 1.0
	v_fmac_f32_e32 v19, v20, v19
	v_div_scale_f32 v20, vcc, 1.0, v17, 1.0
	v_mul_f32_e32 v21, v20, v19
	v_fma_f32 v22, -v18, v21, v20
	v_fmac_f32_e32 v21, v22, v19
	v_fma_f32 v18, -v18, v21, v20
	v_div_fmas_f32 v18, v18, v19, v21
	v_div_fixup_f32 v17, v18, v17, 1.0
	v_cndmask_b32_e64 v15, v15, v17, s[26:27]
	v_cndmask_b32_e64 v14, v14, v17, s[24:25]
	;; [unrolled: 1-line block ×14, first 2 shown]
	v_xor_b32_e32 v17, 0x80000000, v17
.LBB77_3:
	s_cmpk_eq_i32 s28, 0x79
	v_add_u32_e32 v61, 64, v16
	ds_write_b32 v16, v17
	s_cbranch_scc1 .LBB77_7
; %bb.4:
	s_waitcnt vmcnt(0)
	v_pk_mov_b32 v[30:31], v[16:17], v[16:17] op_sel:[0,1]
	v_cmp_eq_u32_e64 s[0:1], 13, v0
	v_pk_mov_b32 v[28:29], v[14:15], v[14:15] op_sel:[0,1]
	v_pk_mov_b32 v[26:27], v[12:13], v[12:13] op_sel:[0,1]
	;; [unrolled: 1-line block ×7, first 2 shown]
	ds_write_b32 v61, v14
	s_waitcnt lgkmcnt(0)
	; wave barrier
	s_waitcnt lgkmcnt(0)
	s_and_saveexec_b64 s[2:3], s[0:1]
	s_cbranch_execz .LBB77_11
; %bb.5:
	s_and_b64 vcc, exec, s[30:31]
	s_cbranch_vccz .LBB77_8
; %bb.6:
	v_cmp_eq_u32_e32 vcc, 1, v0
	v_cndmask_b32_e32 v16, v2, v3, vcc
	v_cmp_eq_u32_e32 vcc, 2, v0
	v_cndmask_b32_e32 v16, v16, v4, vcc
	;; [unrolled: 2-line block ×9, first 2 shown]
	v_cmp_eq_u32_e32 vcc, 10, v0
	ds_read_b32 v17, v61
	v_cndmask_b32_e32 v16, v16, v12, vcc
	v_cmp_eq_u32_e32 vcc, 11, v0
	v_cndmask_b32_e32 v16, v16, v13, vcc
	v_cmp_eq_u32_e32 vcc, 12, v0
	;; [unrolled: 2-line block ×3, first 2 shown]
	v_cndmask_b32_e32 v16, v16, v15, vcc
	s_waitcnt lgkmcnt(0)
	v_mul_f32_e32 v20, v16, v17
	s_cbranch_execz .LBB77_9
	s_branch .LBB77_10
.LBB77_7:
                                        ; implicit-def: $vgpr16_vgpr17_vgpr18_vgpr19_vgpr20_vgpr21_vgpr22_vgpr23_vgpr24_vgpr25_vgpr26_vgpr27_vgpr28_vgpr29_vgpr30_vgpr31
	s_cbranch_execnz .LBB77_194
	s_branch .LBB77_329
.LBB77_8:
                                        ; implicit-def: $vgpr20
.LBB77_9:
	ds_read_b32 v20, v61
.LBB77_10:
	v_mov_b32_e32 v16, 0
	ds_read_b32 v21, v16 offset:48
	v_mov_b32_e32 v16, v2
	v_mov_b32_e32 v17, v3
	;; [unrolled: 1-line block ×4, first 2 shown]
	s_waitcnt lgkmcnt(0)
	v_mul_f32_e32 v28, v20, v21
	v_mov_b32_e32 v20, v6
	v_mov_b32_e32 v21, v7
	;; [unrolled: 1-line block ×9, first 2 shown]
.LBB77_11:
	s_or_b64 exec, exec, s[2:3]
	v_cmp_lt_u32_e64 s[2:3], 11, v0
	ds_write_b32 v61, v27
	s_waitcnt lgkmcnt(0)
	; wave barrier
	s_waitcnt lgkmcnt(0)
	s_and_saveexec_b64 s[4:5], s[2:3]
	s_cbranch_execz .LBB77_17
; %bb.12:
	s_andn2_b64 vcc, exec, s[30:31]
	s_cbranch_vccnz .LBB77_14
; %bb.13:
	v_cmp_eq_u32_e32 vcc, 1, v0
	v_cndmask_b32_e32 v30, v16, v17, vcc
	v_cmp_eq_u32_e32 vcc, 2, v0
	v_cndmask_b32_e32 v30, v30, v18, vcc
	;; [unrolled: 2-line block ×11, first 2 shown]
	ds_read_b32 v30, v61
	v_cmp_eq_u32_e32 vcc, 12, v0
	v_cndmask_b32_e32 v27, v27, v28, vcc
	v_cmp_eq_u32_e32 vcc, 13, v0
	v_cndmask_b32_e32 v27, v27, v29, vcc
	s_waitcnt lgkmcnt(0)
	v_mul_f32_e32 v27, v27, v30
	s_cbranch_execz .LBB77_15
	s_branch .LBB77_16
.LBB77_14:
                                        ; implicit-def: $vgpr27
.LBB77_15:
	ds_read_b32 v27, v61
.LBB77_16:
	v_mov_b32_e32 v30, 0
	ds_read2_b32 v[30:31], v30 offset0:11 offset1:28
	s_waitcnt lgkmcnt(0)
	v_fma_f32 v31, v28, v31, v27
	v_cndmask_b32_e64 v27, v27, v31, s[0:1]
	v_mul_f32_e32 v27, v27, v30
.LBB77_17:
	s_or_b64 exec, exec, s[4:5]
	v_cmp_lt_u32_e64 s[0:1], 10, v0
	ds_write_b32 v61, v26
	s_waitcnt lgkmcnt(0)
	; wave barrier
	s_waitcnt lgkmcnt(0)
	s_and_saveexec_b64 s[4:5], s[0:1]
	s_cbranch_execz .LBB77_33
; %bb.18:
	s_andn2_b64 vcc, exec, s[30:31]
	s_cbranch_vccnz .LBB77_20
; %bb.19:
	v_cmp_eq_u32_e32 vcc, 1, v0
	v_cndmask_b32_e32 v60, v16, v17, vcc
	v_cmp_eq_u32_e32 vcc, 2, v0
	v_cndmask_b32_e32 v60, v60, v18, vcc
	;; [unrolled: 2-line block ×9, first 2 shown]
	v_cmp_eq_u32_e32 vcc, 10, v0
	ds_read_b32 v62, v61
	v_cndmask_b32_e32 v60, v60, v26, vcc
	v_cmp_eq_u32_e32 vcc, 11, v0
	v_cndmask_b32_e32 v60, v60, v27, vcc
	v_cmp_eq_u32_e32 vcc, 12, v0
	;; [unrolled: 2-line block ×3, first 2 shown]
	v_cndmask_b32_e32 v60, v60, v29, vcc
	s_waitcnt lgkmcnt(0)
	v_mul_f32_e32 v63, v60, v62
	s_cbranch_execz .LBB77_21
	s_branch .LBB77_22
.LBB77_20:
                                        ; implicit-def: $vgpr63
.LBB77_21:
	ds_read_b32 v63, v61
.LBB77_22:
	s_and_saveexec_b64 s[6:7], s[2:3]
	s_cbranch_execz .LBB77_32
; %bb.23:
	v_add_u32_e32 v60, -12, v0
	v_add_u32_e32 v64, -11, v0
	v_cmp_lt_u32_e32 vcc, 6, v60
	v_mov_b32_e32 v60, 11
	s_and_saveexec_b64 s[2:3], vcc
	s_cbranch_execz .LBB77_27
; %bb.24:
	v_and_b32_e32 v60, -8, v64
	v_sub_u32_e32 v62, 0, v60
	s_mov_b64 s[8:9], 18
	s_movk_i32 s12, 0x6c
	s_mov_b64 s[10:11], 0
.LBB77_25:                              ; =>This Inner Loop Header: Depth=1
	s_add_i32 s13, s8, -7
	v_mov_b32_e32 v60, s12
	s_add_i32 s14, s8, -6
	s_set_gpr_idx_on s13, gpr_idx(SRC0)
	v_mov_b32_e32 v65, v16
	s_set_gpr_idx_off
	ds_read2_b32 v[66:67], v60 offset1:1
	s_add_i32 s15, s8, -5
	s_set_gpr_idx_on s14, gpr_idx(SRC0)
	v_mov_b32_e32 v72, v16
	s_set_gpr_idx_off
	s_add_i32 s16, s8, -4
	s_set_gpr_idx_on s15, gpr_idx(SRC0)
	v_mov_b32_e32 v73, v16
	s_set_gpr_idx_off
	ds_read2_b32 v[68:69], v60 offset0:2 offset1:3
	s_add_i32 s17, s8, -3
	s_set_gpr_idx_on s16, gpr_idx(SRC0)
	v_mov_b32_e32 v74, v16
	s_set_gpr_idx_off
	s_add_i32 s18, s8, -2
	s_set_gpr_idx_on s17, gpr_idx(SRC0)
	v_mov_b32_e32 v75, v16
	s_set_gpr_idx_off
	ds_read2_b32 v[70:71], v60 offset0:4 offset1:5
	s_add_i32 s19, s8, -1
	s_waitcnt lgkmcnt(2)
	v_fmac_f32_e32 v63, v65, v66
	s_set_gpr_idx_on s18, gpr_idx(SRC0)
	v_mov_b32_e32 v65, v16
	s_set_gpr_idx_off
	v_fmac_f32_e32 v63, v72, v67
	s_set_gpr_idx_on s19, gpr_idx(SRC0)
	v_mov_b32_e32 v72, v16
	s_set_gpr_idx_off
	ds_read2_b32 v[66:67], v60 offset0:6 offset1:7
	s_waitcnt lgkmcnt(2)
	v_fmac_f32_e32 v63, v73, v68
	s_set_gpr_idx_on s8, gpr_idx(SRC0)
	v_mov_b32_e32 v68, v16
	s_set_gpr_idx_off
	v_fmac_f32_e32 v63, v74, v69
	s_add_u32 s8, s8, 8
	s_waitcnt lgkmcnt(1)
	v_fmac_f32_e32 v63, v75, v70
	v_add_u32_e32 v60, s8, v62
	v_fmac_f32_e32 v63, v65, v71
	s_addc_u32 s9, s9, 0
	s_add_i32 s12, s12, 32
	s_add_i32 s13, s8, -7
	v_cmp_eq_u32_e32 vcc, 18, v60
	s_waitcnt lgkmcnt(0)
	v_fmac_f32_e32 v63, v72, v66
	v_mov_b32_e32 v60, s13
	s_or_b64 s[10:11], vcc, s[10:11]
	v_fmac_f32_e32 v63, v68, v67
	s_andn2_b64 exec, exec, s[10:11]
	s_cbranch_execnz .LBB77_25
; %bb.26:
	s_or_b64 exec, exec, s[10:11]
.LBB77_27:
	s_or_b64 exec, exec, s[2:3]
	v_and_b32_e32 v30, 7, v64
	v_cmp_ne_u32_e32 vcc, 0, v30
	s_and_saveexec_b64 s[8:9], vcc
	s_cbranch_execz .LBB77_31
; %bb.28:
	v_lshl_add_u32 v62, v60, 2, 64
	v_mov_b32_e32 v31, 0
	s_mov_b64 s[10:11], 0
.LBB77_29:                              ; =>This Inner Loop Header: Depth=1
	v_cmp_eq_u32_e32 vcc, 1, v60
	v_cndmask_b32_e32 v64, v16, v17, vcc
	v_add_u32_e32 v30, -1, v30
	v_cmp_eq_u32_e32 vcc, 2, v60
	v_cndmask_b32_e32 v64, v64, v18, vcc
	v_cmp_eq_u32_e32 vcc, 0, v30
	v_cmp_eq_u32_e64 s[2:3], 3, v60
	v_cndmask_b32_e64 v64, v64, v19, s[2:3]
	s_or_b64 s[10:11], vcc, s[10:11]
	v_cmp_eq_u32_e32 vcc, 4, v60
	v_cndmask_b32_e32 v64, v64, v20, vcc
	v_cmp_eq_u32_e32 vcc, 5, v60
	v_cndmask_b32_e32 v64, v64, v21, vcc
	;; [unrolled: 2-line block ×5, first 2 shown]
	v_cmp_eq_u32_e32 vcc, 9, v60
	ds_read_b32 v65, v62
	v_cndmask_b32_e32 v64, v64, v25, vcc
	v_cmp_eq_u32_e32 vcc, 10, v60
	v_cndmask_b32_e32 v64, v64, v26, vcc
	v_cmp_eq_u32_e32 vcc, 11, v60
	v_cndmask_b32_e32 v64, v64, v27, vcc
	v_cmp_eq_u32_e32 vcc, 12, v60
	v_cndmask_b32_e32 v64, v64, v28, vcc
	v_cmp_eq_u32_e32 vcc, 13, v60
	v_add_co_u32_e64 v60, s[2:3], 1, v60
	v_cndmask_b32_e32 v64, v64, v29, vcc
	v_add_u32_e32 v62, 4, v62
	v_addc_co_u32_e64 v31, s[2:3], 0, v31, s[2:3]
	s_waitcnt lgkmcnt(0)
	v_fmac_f32_e32 v63, v64, v65
	s_andn2_b64 exec, exec, s[10:11]
	s_cbranch_execnz .LBB77_29
; %bb.30:
	s_or_b64 exec, exec, s[10:11]
.LBB77_31:
	s_or_b64 exec, exec, s[8:9]
.LBB77_32:
	s_or_b64 exec, exec, s[6:7]
	v_mov_b32_e32 v26, 0
	ds_read_b32 v26, v26 offset:40
	s_waitcnt lgkmcnt(0)
	v_mul_f32_e32 v26, v63, v26
.LBB77_33:
	s_or_b64 exec, exec, s[4:5]
	v_cmp_lt_u32_e64 s[2:3], 9, v0
	ds_write_b32 v61, v25
	s_waitcnt lgkmcnt(0)
	; wave barrier
	s_waitcnt lgkmcnt(0)
	s_and_saveexec_b64 s[4:5], s[2:3]
	s_cbranch_execz .LBB77_49
; %bb.34:
	s_andn2_b64 vcc, exec, s[30:31]
	s_cbranch_vccnz .LBB77_36
; %bb.35:
	v_cmp_eq_u32_e32 vcc, 1, v0
	v_cndmask_b32_e32 v60, v16, v17, vcc
	v_cmp_eq_u32_e32 vcc, 2, v0
	v_cndmask_b32_e32 v60, v60, v18, vcc
	;; [unrolled: 2-line block ×9, first 2 shown]
	v_cmp_eq_u32_e32 vcc, 10, v0
	ds_read_b32 v62, v61
	v_cndmask_b32_e32 v60, v60, v26, vcc
	v_cmp_eq_u32_e32 vcc, 11, v0
	v_cndmask_b32_e32 v60, v60, v27, vcc
	v_cmp_eq_u32_e32 vcc, 12, v0
	;; [unrolled: 2-line block ×3, first 2 shown]
	v_cndmask_b32_e32 v60, v60, v29, vcc
	s_waitcnt lgkmcnt(0)
	v_mul_f32_e32 v63, v60, v62
	s_cbranch_execz .LBB77_37
	s_branch .LBB77_38
.LBB77_36:
                                        ; implicit-def: $vgpr63
.LBB77_37:
	ds_read_b32 v63, v61
.LBB77_38:
	s_and_saveexec_b64 s[6:7], s[0:1]
	s_cbranch_execz .LBB77_48
; %bb.39:
	v_add_u32_e32 v60, -11, v0
	v_add_u32_e32 v64, -10, v0
	v_cmp_lt_u32_e32 vcc, 6, v60
	v_mov_b32_e32 v60, 10
	s_and_saveexec_b64 s[0:1], vcc
	s_cbranch_execz .LBB77_43
; %bb.40:
	v_and_b32_e32 v60, -8, v64
	v_sub_u32_e32 v62, 0, v60
	s_mov_b64 s[8:9], 17
	s_movk_i32 s12, 0x68
	s_mov_b64 s[10:11], 0
.LBB77_41:                              ; =>This Inner Loop Header: Depth=1
	s_add_i32 s13, s8, -7
	v_mov_b32_e32 v60, s12
	s_add_i32 s14, s8, -6
	s_set_gpr_idx_on s13, gpr_idx(SRC0)
	v_mov_b32_e32 v65, v16
	s_set_gpr_idx_off
	ds_read2_b64 v[66:69], v60 offset1:1
	s_add_i32 s15, s8, -5
	s_set_gpr_idx_on s14, gpr_idx(SRC0)
	v_mov_b32_e32 v74, v16
	s_set_gpr_idx_off
	s_add_i32 s16, s8, -4
	s_set_gpr_idx_on s15, gpr_idx(SRC0)
	v_mov_b32_e32 v75, v16
	s_set_gpr_idx_off
	;; [unrolled: 4-line block ×4, first 2 shown]
	ds_read2_b64 v[70:73], v60 offset0:2 offset1:3
	s_add_i32 s19, s8, -1
	s_waitcnt lgkmcnt(1)
	v_fmac_f32_e32 v63, v65, v66
	s_set_gpr_idx_on s18, gpr_idx(SRC0)
	v_mov_b32_e32 v65, v16
	s_set_gpr_idx_off
	v_fmac_f32_e32 v63, v74, v67
	s_set_gpr_idx_on s19, gpr_idx(SRC0)
	v_mov_b32_e32 v66, v16
	s_set_gpr_idx_off
	;; [unrolled: 4-line block ×3, first 2 shown]
	v_fmac_f32_e32 v63, v76, v69
	s_add_u32 s8, s8, 8
	s_waitcnt lgkmcnt(0)
	v_fmac_f32_e32 v63, v77, v70
	v_add_u32_e32 v60, s8, v62
	v_fmac_f32_e32 v63, v65, v71
	s_addc_u32 s9, s9, 0
	s_add_i32 s12, s12, 32
	s_add_i32 s13, s8, -7
	v_cmp_eq_u32_e32 vcc, 17, v60
	v_fmac_f32_e32 v63, v66, v72
	v_mov_b32_e32 v60, s13
	s_or_b64 s[10:11], vcc, s[10:11]
	v_fmac_f32_e32 v63, v67, v73
	s_andn2_b64 exec, exec, s[10:11]
	s_cbranch_execnz .LBB77_41
; %bb.42:
	s_or_b64 exec, exec, s[10:11]
.LBB77_43:
	s_or_b64 exec, exec, s[0:1]
	v_and_b32_e32 v30, 7, v64
	v_cmp_ne_u32_e32 vcc, 0, v30
	s_and_saveexec_b64 s[8:9], vcc
	s_cbranch_execz .LBB77_47
; %bb.44:
	v_lshl_add_u32 v62, v60, 2, 64
	v_mov_b32_e32 v31, 0
	s_mov_b64 s[10:11], 0
.LBB77_45:                              ; =>This Inner Loop Header: Depth=1
	v_cmp_eq_u32_e32 vcc, 1, v60
	v_cndmask_b32_e32 v64, v16, v17, vcc
	v_add_u32_e32 v30, -1, v30
	v_cmp_eq_u32_e32 vcc, 2, v60
	v_cndmask_b32_e32 v64, v64, v18, vcc
	v_cmp_eq_u32_e32 vcc, 0, v30
	v_cmp_eq_u32_e64 s[0:1], 3, v60
	v_cndmask_b32_e64 v64, v64, v19, s[0:1]
	s_or_b64 s[10:11], vcc, s[10:11]
	v_cmp_eq_u32_e32 vcc, 4, v60
	v_cndmask_b32_e32 v64, v64, v20, vcc
	v_cmp_eq_u32_e32 vcc, 5, v60
	v_cndmask_b32_e32 v64, v64, v21, vcc
	;; [unrolled: 2-line block ×5, first 2 shown]
	v_cmp_eq_u32_e32 vcc, 9, v60
	ds_read_b32 v65, v62
	v_cndmask_b32_e32 v64, v64, v25, vcc
	v_cmp_eq_u32_e32 vcc, 10, v60
	v_cndmask_b32_e32 v64, v64, v26, vcc
	v_cmp_eq_u32_e32 vcc, 11, v60
	v_cndmask_b32_e32 v64, v64, v27, vcc
	v_cmp_eq_u32_e32 vcc, 12, v60
	v_cndmask_b32_e32 v64, v64, v28, vcc
	v_cmp_eq_u32_e32 vcc, 13, v60
	v_add_co_u32_e64 v60, s[0:1], 1, v60
	v_cndmask_b32_e32 v64, v64, v29, vcc
	v_add_u32_e32 v62, 4, v62
	v_addc_co_u32_e64 v31, s[0:1], 0, v31, s[0:1]
	s_waitcnt lgkmcnt(0)
	v_fmac_f32_e32 v63, v64, v65
	s_andn2_b64 exec, exec, s[10:11]
	s_cbranch_execnz .LBB77_45
; %bb.46:
	s_or_b64 exec, exec, s[10:11]
.LBB77_47:
	s_or_b64 exec, exec, s[8:9]
.LBB77_48:
	s_or_b64 exec, exec, s[6:7]
	v_mov_b32_e32 v25, 0
	ds_read_b32 v25, v25 offset:36
	s_waitcnt lgkmcnt(0)
	v_mul_f32_e32 v25, v63, v25
.LBB77_49:
	s_or_b64 exec, exec, s[4:5]
	v_cmp_lt_u32_e64 s[0:1], 8, v0
	ds_write_b32 v61, v24
	s_waitcnt lgkmcnt(0)
	; wave barrier
	s_waitcnt lgkmcnt(0)
	s_and_saveexec_b64 s[4:5], s[0:1]
	s_cbranch_execz .LBB77_65
; %bb.50:
	s_andn2_b64 vcc, exec, s[30:31]
	s_cbranch_vccnz .LBB77_52
; %bb.51:
	v_cmp_eq_u32_e32 vcc, 1, v0
	v_cndmask_b32_e32 v60, v16, v17, vcc
	v_cmp_eq_u32_e32 vcc, 2, v0
	v_cndmask_b32_e32 v60, v60, v18, vcc
	;; [unrolled: 2-line block ×9, first 2 shown]
	v_cmp_eq_u32_e32 vcc, 10, v0
	ds_read_b32 v62, v61
	v_cndmask_b32_e32 v60, v60, v26, vcc
	v_cmp_eq_u32_e32 vcc, 11, v0
	v_cndmask_b32_e32 v60, v60, v27, vcc
	v_cmp_eq_u32_e32 vcc, 12, v0
	;; [unrolled: 2-line block ×3, first 2 shown]
	v_cndmask_b32_e32 v60, v60, v29, vcc
	s_waitcnt lgkmcnt(0)
	v_mul_f32_e32 v63, v60, v62
	s_cbranch_execz .LBB77_53
	s_branch .LBB77_54
.LBB77_52:
                                        ; implicit-def: $vgpr63
.LBB77_53:
	ds_read_b32 v63, v61
.LBB77_54:
	s_and_saveexec_b64 s[6:7], s[2:3]
	s_cbranch_execz .LBB77_64
; %bb.55:
	v_add_u32_e32 v60, -10, v0
	v_add_u32_e32 v64, -9, v0
	v_cmp_lt_u32_e32 vcc, 6, v60
	v_mov_b32_e32 v60, 9
	s_and_saveexec_b64 s[2:3], vcc
	s_cbranch_execz .LBB77_59
; %bb.56:
	v_and_b32_e32 v60, -8, v64
	v_sub_u32_e32 v62, 0, v60
	s_mov_b64 s[8:9], 16
	s_movk_i32 s12, 0x64
	s_mov_b64 s[10:11], 0
.LBB77_57:                              ; =>This Inner Loop Header: Depth=1
	s_add_i32 s13, s8, -7
	v_mov_b32_e32 v60, s12
	s_add_i32 s14, s8, -6
	s_set_gpr_idx_on s13, gpr_idx(SRC0)
	v_mov_b32_e32 v65, v16
	s_set_gpr_idx_off
	ds_read2_b32 v[66:67], v60 offset1:1
	s_add_i32 s15, s8, -5
	s_set_gpr_idx_on s14, gpr_idx(SRC0)
	v_mov_b32_e32 v72, v16
	s_set_gpr_idx_off
	s_add_i32 s16, s8, -4
	s_set_gpr_idx_on s15, gpr_idx(SRC0)
	v_mov_b32_e32 v73, v16
	s_set_gpr_idx_off
	ds_read2_b32 v[68:69], v60 offset0:2 offset1:3
	s_add_i32 s17, s8, -3
	s_set_gpr_idx_on s16, gpr_idx(SRC0)
	v_mov_b32_e32 v74, v16
	s_set_gpr_idx_off
	s_add_i32 s18, s8, -2
	s_set_gpr_idx_on s17, gpr_idx(SRC0)
	v_mov_b32_e32 v75, v16
	s_set_gpr_idx_off
	ds_read2_b32 v[70:71], v60 offset0:4 offset1:5
	s_add_i32 s19, s8, -1
	s_waitcnt lgkmcnt(2)
	v_fmac_f32_e32 v63, v65, v66
	s_set_gpr_idx_on s18, gpr_idx(SRC0)
	v_mov_b32_e32 v65, v16
	s_set_gpr_idx_off
	v_fmac_f32_e32 v63, v72, v67
	s_set_gpr_idx_on s19, gpr_idx(SRC0)
	v_mov_b32_e32 v72, v16
	s_set_gpr_idx_off
	ds_read2_b32 v[66:67], v60 offset0:6 offset1:7
	s_waitcnt lgkmcnt(2)
	v_fmac_f32_e32 v63, v73, v68
	s_set_gpr_idx_on s8, gpr_idx(SRC0)
	v_mov_b32_e32 v68, v16
	s_set_gpr_idx_off
	v_fmac_f32_e32 v63, v74, v69
	s_add_u32 s8, s8, 8
	s_waitcnt lgkmcnt(1)
	v_fmac_f32_e32 v63, v75, v70
	v_add_u32_e32 v60, s8, v62
	v_fmac_f32_e32 v63, v65, v71
	s_addc_u32 s9, s9, 0
	s_add_i32 s12, s12, 32
	s_add_i32 s13, s8, -7
	v_cmp_eq_u32_e32 vcc, 16, v60
	s_waitcnt lgkmcnt(0)
	v_fmac_f32_e32 v63, v72, v66
	v_mov_b32_e32 v60, s13
	s_or_b64 s[10:11], vcc, s[10:11]
	v_fmac_f32_e32 v63, v68, v67
	s_andn2_b64 exec, exec, s[10:11]
	s_cbranch_execnz .LBB77_57
; %bb.58:
	s_or_b64 exec, exec, s[10:11]
.LBB77_59:
	s_or_b64 exec, exec, s[2:3]
	v_and_b32_e32 v30, 7, v64
	v_cmp_ne_u32_e32 vcc, 0, v30
	s_and_saveexec_b64 s[8:9], vcc
	s_cbranch_execz .LBB77_63
; %bb.60:
	v_lshl_add_u32 v62, v60, 2, 64
	v_mov_b32_e32 v31, 0
	s_mov_b64 s[10:11], 0
.LBB77_61:                              ; =>This Inner Loop Header: Depth=1
	v_cmp_eq_u32_e32 vcc, 1, v60
	v_cndmask_b32_e32 v64, v16, v17, vcc
	v_add_u32_e32 v30, -1, v30
	v_cmp_eq_u32_e32 vcc, 2, v60
	v_cndmask_b32_e32 v64, v64, v18, vcc
	v_cmp_eq_u32_e32 vcc, 0, v30
	v_cmp_eq_u32_e64 s[2:3], 3, v60
	v_cndmask_b32_e64 v64, v64, v19, s[2:3]
	s_or_b64 s[10:11], vcc, s[10:11]
	v_cmp_eq_u32_e32 vcc, 4, v60
	v_cndmask_b32_e32 v64, v64, v20, vcc
	v_cmp_eq_u32_e32 vcc, 5, v60
	v_cndmask_b32_e32 v64, v64, v21, vcc
	;; [unrolled: 2-line block ×5, first 2 shown]
	v_cmp_eq_u32_e32 vcc, 9, v60
	ds_read_b32 v65, v62
	v_cndmask_b32_e32 v64, v64, v25, vcc
	v_cmp_eq_u32_e32 vcc, 10, v60
	v_cndmask_b32_e32 v64, v64, v26, vcc
	v_cmp_eq_u32_e32 vcc, 11, v60
	;; [unrolled: 2-line block ×4, first 2 shown]
	v_add_co_u32_e64 v60, s[2:3], 1, v60
	v_cndmask_b32_e32 v64, v64, v29, vcc
	v_add_u32_e32 v62, 4, v62
	v_addc_co_u32_e64 v31, s[2:3], 0, v31, s[2:3]
	s_waitcnt lgkmcnt(0)
	v_fmac_f32_e32 v63, v64, v65
	s_andn2_b64 exec, exec, s[10:11]
	s_cbranch_execnz .LBB77_61
; %bb.62:
	s_or_b64 exec, exec, s[10:11]
.LBB77_63:
	s_or_b64 exec, exec, s[8:9]
.LBB77_64:
	s_or_b64 exec, exec, s[6:7]
	v_mov_b32_e32 v24, 0
	ds_read_b32 v24, v24 offset:32
	s_waitcnt lgkmcnt(0)
	v_mul_f32_e32 v24, v63, v24
.LBB77_65:
	s_or_b64 exec, exec, s[4:5]
	v_cmp_lt_u32_e64 s[2:3], 7, v0
	ds_write_b32 v61, v23
	s_waitcnt lgkmcnt(0)
	; wave barrier
	s_waitcnt lgkmcnt(0)
	s_and_saveexec_b64 s[4:5], s[2:3]
	s_cbranch_execz .LBB77_81
; %bb.66:
	s_andn2_b64 vcc, exec, s[30:31]
	s_cbranch_vccnz .LBB77_68
; %bb.67:
	v_cmp_eq_u32_e32 vcc, 1, v0
	v_cndmask_b32_e32 v60, v16, v17, vcc
	v_cmp_eq_u32_e32 vcc, 2, v0
	v_cndmask_b32_e32 v60, v60, v18, vcc
	;; [unrolled: 2-line block ×9, first 2 shown]
	v_cmp_eq_u32_e32 vcc, 10, v0
	ds_read_b32 v62, v61
	v_cndmask_b32_e32 v60, v60, v26, vcc
	v_cmp_eq_u32_e32 vcc, 11, v0
	v_cndmask_b32_e32 v60, v60, v27, vcc
	v_cmp_eq_u32_e32 vcc, 12, v0
	;; [unrolled: 2-line block ×3, first 2 shown]
	v_cndmask_b32_e32 v60, v60, v29, vcc
	s_waitcnt lgkmcnt(0)
	v_mul_f32_e32 v63, v60, v62
	s_cbranch_execz .LBB77_69
	s_branch .LBB77_70
.LBB77_68:
                                        ; implicit-def: $vgpr63
.LBB77_69:
	ds_read_b32 v63, v61
.LBB77_70:
	s_and_saveexec_b64 s[6:7], s[0:1]
	s_cbranch_execz .LBB77_80
; %bb.71:
	v_add_u32_e32 v60, -9, v0
	v_cmp_lt_u32_e32 vcc, 6, v60
	v_mov_b32_e32 v60, 8
	s_and_saveexec_b64 s[0:1], vcc
	s_cbranch_execz .LBB77_75
; %bb.72:
	v_and_b32_e32 v60, 8, v0
	v_sub_u32_e32 v62, 0, v60
	s_mov_b64 s[8:9], 15
	s_movk_i32 s12, 0x60
	s_mov_b64 s[10:11], 0
.LBB77_73:                              ; =>This Inner Loop Header: Depth=1
	s_add_i32 s13, s8, -7
	v_mov_b32_e32 v60, s12
	s_add_i32 s14, s8, -6
	s_set_gpr_idx_on s13, gpr_idx(SRC0)
	v_mov_b32_e32 v72, v16
	s_set_gpr_idx_off
	s_add_i32 s15, s8, -5
	ds_read_b128 v[64:67], v60
	ds_read_b128 v[68:71], v60 offset:16
	s_set_gpr_idx_on s14, gpr_idx(SRC0)
	v_mov_b32_e32 v60, v16
	s_set_gpr_idx_off
	s_add_i32 s16, s8, -4
	s_set_gpr_idx_on s15, gpr_idx(SRC0)
	v_mov_b32_e32 v73, v16
	s_set_gpr_idx_off
	s_add_i32 s17, s8, -3
	;; [unrolled: 4-line block ×4, first 2 shown]
	s_waitcnt lgkmcnt(1)
	v_fmac_f32_e32 v63, v72, v64
	s_set_gpr_idx_on s18, gpr_idx(SRC0)
	v_mov_b32_e32 v64, v16
	s_set_gpr_idx_off
	v_fmac_f32_e32 v63, v60, v65
	s_set_gpr_idx_on s19, gpr_idx(SRC0)
	v_mov_b32_e32 v65, v16
	s_set_gpr_idx_off
	;; [unrolled: 4-line block ×3, first 2 shown]
	v_fmac_f32_e32 v63, v74, v67
	s_add_u32 s8, s8, 8
	s_waitcnt lgkmcnt(0)
	v_fmac_f32_e32 v63, v75, v68
	v_add_u32_e32 v60, s8, v62
	v_fmac_f32_e32 v63, v64, v69
	s_addc_u32 s9, s9, 0
	s_add_i32 s12, s12, 32
	s_add_i32 s13, s8, -7
	v_cmp_eq_u32_e32 vcc, 7, v60
	v_fmac_f32_e32 v63, v65, v70
	v_mov_b32_e32 v60, s13
	s_or_b64 s[10:11], vcc, s[10:11]
	v_fmac_f32_e32 v63, v66, v71
	s_andn2_b64 exec, exec, s[10:11]
	s_cbranch_execnz .LBB77_73
; %bb.74:
	s_or_b64 exec, exec, s[10:11]
.LBB77_75:
	s_or_b64 exec, exec, s[0:1]
	v_and_b32_e32 v30, 7, v0
	v_cmp_ne_u32_e32 vcc, 0, v30
	s_and_saveexec_b64 s[8:9], vcc
	s_cbranch_execz .LBB77_79
; %bb.76:
	v_lshl_add_u32 v62, v60, 2, 64
	v_mov_b32_e32 v31, 0
	s_mov_b64 s[10:11], 0
.LBB77_77:                              ; =>This Inner Loop Header: Depth=1
	v_cmp_eq_u32_e32 vcc, 1, v60
	v_cndmask_b32_e32 v64, v16, v17, vcc
	v_add_u32_e32 v30, -1, v30
	v_cmp_eq_u32_e32 vcc, 2, v60
	v_cndmask_b32_e32 v64, v64, v18, vcc
	v_cmp_eq_u32_e32 vcc, 0, v30
	v_cmp_eq_u32_e64 s[0:1], 3, v60
	v_cndmask_b32_e64 v64, v64, v19, s[0:1]
	s_or_b64 s[10:11], vcc, s[10:11]
	v_cmp_eq_u32_e32 vcc, 4, v60
	v_cndmask_b32_e32 v64, v64, v20, vcc
	v_cmp_eq_u32_e32 vcc, 5, v60
	v_cndmask_b32_e32 v64, v64, v21, vcc
	;; [unrolled: 2-line block ×5, first 2 shown]
	v_cmp_eq_u32_e32 vcc, 9, v60
	ds_read_b32 v65, v62
	v_cndmask_b32_e32 v64, v64, v25, vcc
	v_cmp_eq_u32_e32 vcc, 10, v60
	v_cndmask_b32_e32 v64, v64, v26, vcc
	v_cmp_eq_u32_e32 vcc, 11, v60
	;; [unrolled: 2-line block ×4, first 2 shown]
	v_add_co_u32_e64 v60, s[0:1], 1, v60
	v_cndmask_b32_e32 v64, v64, v29, vcc
	v_add_u32_e32 v62, 4, v62
	v_addc_co_u32_e64 v31, s[0:1], 0, v31, s[0:1]
	s_waitcnt lgkmcnt(0)
	v_fmac_f32_e32 v63, v64, v65
	s_andn2_b64 exec, exec, s[10:11]
	s_cbranch_execnz .LBB77_77
; %bb.78:
	s_or_b64 exec, exec, s[10:11]
.LBB77_79:
	s_or_b64 exec, exec, s[8:9]
.LBB77_80:
	s_or_b64 exec, exec, s[6:7]
	v_mov_b32_e32 v23, 0
	ds_read_b32 v23, v23 offset:28
	s_waitcnt lgkmcnt(0)
	v_mul_f32_e32 v23, v63, v23
.LBB77_81:
	s_or_b64 exec, exec, s[4:5]
	v_cmp_lt_u32_e64 s[0:1], 6, v0
	ds_write_b32 v61, v22
	s_waitcnt lgkmcnt(0)
	; wave barrier
	s_waitcnt lgkmcnt(0)
	s_and_saveexec_b64 s[4:5], s[0:1]
	s_cbranch_execz .LBB77_97
; %bb.82:
	s_andn2_b64 vcc, exec, s[30:31]
	s_cbranch_vccnz .LBB77_84
; %bb.83:
	v_cmp_eq_u32_e32 vcc, 1, v0
	v_cndmask_b32_e32 v60, v16, v17, vcc
	v_cmp_eq_u32_e32 vcc, 2, v0
	v_cndmask_b32_e32 v60, v60, v18, vcc
	;; [unrolled: 2-line block ×9, first 2 shown]
	v_cmp_eq_u32_e32 vcc, 10, v0
	ds_read_b32 v62, v61
	v_cndmask_b32_e32 v60, v60, v26, vcc
	v_cmp_eq_u32_e32 vcc, 11, v0
	v_cndmask_b32_e32 v60, v60, v27, vcc
	v_cmp_eq_u32_e32 vcc, 12, v0
	;; [unrolled: 2-line block ×3, first 2 shown]
	v_cndmask_b32_e32 v60, v60, v29, vcc
	s_waitcnt lgkmcnt(0)
	v_mul_f32_e32 v63, v60, v62
	s_cbranch_execz .LBB77_85
	s_branch .LBB77_86
.LBB77_84:
                                        ; implicit-def: $vgpr63
.LBB77_85:
	ds_read_b32 v63, v61
.LBB77_86:
	s_and_saveexec_b64 s[6:7], s[2:3]
	s_cbranch_execz .LBB77_96
; %bb.87:
	v_add_u32_e32 v60, -8, v0
	v_add_u32_e32 v64, -7, v0
	v_cmp_lt_u32_e32 vcc, 6, v60
	v_mov_b32_e32 v60, 7
	s_and_saveexec_b64 s[2:3], vcc
	s_cbranch_execz .LBB77_91
; %bb.88:
	v_and_b32_e32 v60, -8, v64
	v_sub_u32_e32 v62, 0, v60
	s_mov_b64 s[8:9], 14
	s_movk_i32 s12, 0x5c
	s_mov_b64 s[10:11], 0
.LBB77_89:                              ; =>This Inner Loop Header: Depth=1
	s_add_i32 s13, s8, -7
	v_mov_b32_e32 v60, s12
	s_add_i32 s14, s8, -6
	s_set_gpr_idx_on s13, gpr_idx(SRC0)
	v_mov_b32_e32 v65, v16
	s_set_gpr_idx_off
	ds_read2_b32 v[66:67], v60 offset1:1
	s_add_i32 s15, s8, -5
	s_set_gpr_idx_on s14, gpr_idx(SRC0)
	v_mov_b32_e32 v72, v16
	s_set_gpr_idx_off
	s_add_i32 s16, s8, -4
	s_set_gpr_idx_on s15, gpr_idx(SRC0)
	v_mov_b32_e32 v73, v16
	s_set_gpr_idx_off
	ds_read2_b32 v[68:69], v60 offset0:2 offset1:3
	s_add_i32 s17, s8, -3
	s_set_gpr_idx_on s16, gpr_idx(SRC0)
	v_mov_b32_e32 v74, v16
	s_set_gpr_idx_off
	s_add_i32 s18, s8, -2
	s_set_gpr_idx_on s17, gpr_idx(SRC0)
	v_mov_b32_e32 v75, v16
	s_set_gpr_idx_off
	ds_read2_b32 v[70:71], v60 offset0:4 offset1:5
	s_add_i32 s19, s8, -1
	s_waitcnt lgkmcnt(2)
	v_fmac_f32_e32 v63, v65, v66
	s_set_gpr_idx_on s18, gpr_idx(SRC0)
	v_mov_b32_e32 v65, v16
	s_set_gpr_idx_off
	v_fmac_f32_e32 v63, v72, v67
	s_set_gpr_idx_on s19, gpr_idx(SRC0)
	v_mov_b32_e32 v72, v16
	s_set_gpr_idx_off
	ds_read2_b32 v[66:67], v60 offset0:6 offset1:7
	s_waitcnt lgkmcnt(2)
	v_fmac_f32_e32 v63, v73, v68
	s_set_gpr_idx_on s8, gpr_idx(SRC0)
	v_mov_b32_e32 v68, v16
	s_set_gpr_idx_off
	v_fmac_f32_e32 v63, v74, v69
	s_add_u32 s8, s8, 8
	s_waitcnt lgkmcnt(1)
	v_fmac_f32_e32 v63, v75, v70
	v_add_u32_e32 v60, s8, v62
	v_fmac_f32_e32 v63, v65, v71
	s_addc_u32 s9, s9, 0
	s_add_i32 s12, s12, 32
	s_add_i32 s13, s8, -7
	v_cmp_eq_u32_e32 vcc, 14, v60
	s_waitcnt lgkmcnt(0)
	v_fmac_f32_e32 v63, v72, v66
	v_mov_b32_e32 v60, s13
	s_or_b64 s[10:11], vcc, s[10:11]
	v_fmac_f32_e32 v63, v68, v67
	s_andn2_b64 exec, exec, s[10:11]
	s_cbranch_execnz .LBB77_89
; %bb.90:
	s_or_b64 exec, exec, s[10:11]
.LBB77_91:
	s_or_b64 exec, exec, s[2:3]
	v_and_b32_e32 v30, 7, v64
	v_cmp_ne_u32_e32 vcc, 0, v30
	s_and_saveexec_b64 s[8:9], vcc
	s_cbranch_execz .LBB77_95
; %bb.92:
	v_lshl_add_u32 v62, v60, 2, 64
	v_mov_b32_e32 v31, 0
	s_mov_b64 s[10:11], 0
.LBB77_93:                              ; =>This Inner Loop Header: Depth=1
	v_cmp_eq_u32_e32 vcc, 1, v60
	v_cndmask_b32_e32 v64, v16, v17, vcc
	v_add_u32_e32 v30, -1, v30
	v_cmp_eq_u32_e32 vcc, 2, v60
	v_cndmask_b32_e32 v64, v64, v18, vcc
	v_cmp_eq_u32_e32 vcc, 0, v30
	v_cmp_eq_u32_e64 s[2:3], 3, v60
	v_cndmask_b32_e64 v64, v64, v19, s[2:3]
	s_or_b64 s[10:11], vcc, s[10:11]
	v_cmp_eq_u32_e32 vcc, 4, v60
	v_cndmask_b32_e32 v64, v64, v20, vcc
	v_cmp_eq_u32_e32 vcc, 5, v60
	v_cndmask_b32_e32 v64, v64, v21, vcc
	;; [unrolled: 2-line block ×5, first 2 shown]
	v_cmp_eq_u32_e32 vcc, 9, v60
	ds_read_b32 v65, v62
	v_cndmask_b32_e32 v64, v64, v25, vcc
	v_cmp_eq_u32_e32 vcc, 10, v60
	v_cndmask_b32_e32 v64, v64, v26, vcc
	v_cmp_eq_u32_e32 vcc, 11, v60
	;; [unrolled: 2-line block ×4, first 2 shown]
	v_add_co_u32_e64 v60, s[2:3], 1, v60
	v_cndmask_b32_e32 v64, v64, v29, vcc
	v_add_u32_e32 v62, 4, v62
	v_addc_co_u32_e64 v31, s[2:3], 0, v31, s[2:3]
	s_waitcnt lgkmcnt(0)
	v_fmac_f32_e32 v63, v64, v65
	s_andn2_b64 exec, exec, s[10:11]
	s_cbranch_execnz .LBB77_93
; %bb.94:
	s_or_b64 exec, exec, s[10:11]
.LBB77_95:
	s_or_b64 exec, exec, s[8:9]
.LBB77_96:
	s_or_b64 exec, exec, s[6:7]
	v_mov_b32_e32 v22, 0
	ds_read_b32 v22, v22 offset:24
	s_waitcnt lgkmcnt(0)
	v_mul_f32_e32 v22, v63, v22
.LBB77_97:
	s_or_b64 exec, exec, s[4:5]
	v_cmp_lt_u32_e64 s[2:3], 5, v0
	ds_write_b32 v61, v21
	s_waitcnt lgkmcnt(0)
	; wave barrier
	s_waitcnt lgkmcnt(0)
	s_and_saveexec_b64 s[4:5], s[2:3]
	s_cbranch_execz .LBB77_113
; %bb.98:
	s_andn2_b64 vcc, exec, s[30:31]
	s_cbranch_vccnz .LBB77_100
; %bb.99:
	v_cmp_eq_u32_e32 vcc, 1, v0
	v_cndmask_b32_e32 v60, v16, v17, vcc
	v_cmp_eq_u32_e32 vcc, 2, v0
	v_cndmask_b32_e32 v60, v60, v18, vcc
	;; [unrolled: 2-line block ×9, first 2 shown]
	v_cmp_eq_u32_e32 vcc, 10, v0
	ds_read_b32 v62, v61
	v_cndmask_b32_e32 v60, v60, v26, vcc
	v_cmp_eq_u32_e32 vcc, 11, v0
	v_cndmask_b32_e32 v60, v60, v27, vcc
	v_cmp_eq_u32_e32 vcc, 12, v0
	;; [unrolled: 2-line block ×3, first 2 shown]
	v_cndmask_b32_e32 v60, v60, v29, vcc
	s_waitcnt lgkmcnt(0)
	v_mul_f32_e32 v63, v60, v62
	s_cbranch_execz .LBB77_101
	s_branch .LBB77_102
.LBB77_100:
                                        ; implicit-def: $vgpr63
.LBB77_101:
	ds_read_b32 v63, v61
.LBB77_102:
	s_and_saveexec_b64 s[6:7], s[0:1]
	s_cbranch_execz .LBB77_112
; %bb.103:
	v_add_u32_e32 v60, -7, v0
	v_add_u32_e32 v64, -6, v0
	v_cmp_lt_u32_e32 vcc, 6, v60
	v_mov_b32_e32 v60, 6
	s_and_saveexec_b64 s[0:1], vcc
	s_cbranch_execz .LBB77_107
; %bb.104:
	v_and_b32_e32 v60, -8, v64
	v_sub_u32_e32 v62, 0, v60
	s_mov_b64 s[8:9], 13
	s_movk_i32 s12, 0x58
	s_mov_b64 s[10:11], 0
.LBB77_105:                             ; =>This Inner Loop Header: Depth=1
	s_add_i32 s13, s8, -7
	v_mov_b32_e32 v60, s12
	s_add_i32 s14, s8, -6
	s_set_gpr_idx_on s13, gpr_idx(SRC0)
	v_mov_b32_e32 v65, v16
	s_set_gpr_idx_off
	ds_read2_b64 v[66:69], v60 offset1:1
	s_add_i32 s15, s8, -5
	s_set_gpr_idx_on s14, gpr_idx(SRC0)
	v_mov_b32_e32 v74, v16
	s_set_gpr_idx_off
	s_add_i32 s16, s8, -4
	s_set_gpr_idx_on s15, gpr_idx(SRC0)
	v_mov_b32_e32 v75, v16
	s_set_gpr_idx_off
	;; [unrolled: 4-line block ×4, first 2 shown]
	ds_read2_b64 v[70:73], v60 offset0:2 offset1:3
	s_add_i32 s19, s8, -1
	s_waitcnt lgkmcnt(1)
	v_fmac_f32_e32 v63, v65, v66
	s_set_gpr_idx_on s18, gpr_idx(SRC0)
	v_mov_b32_e32 v65, v16
	s_set_gpr_idx_off
	v_fmac_f32_e32 v63, v74, v67
	s_set_gpr_idx_on s19, gpr_idx(SRC0)
	v_mov_b32_e32 v66, v16
	s_set_gpr_idx_off
	;; [unrolled: 4-line block ×3, first 2 shown]
	v_fmac_f32_e32 v63, v76, v69
	s_add_u32 s8, s8, 8
	s_waitcnt lgkmcnt(0)
	v_fmac_f32_e32 v63, v77, v70
	v_add_u32_e32 v60, s8, v62
	v_fmac_f32_e32 v63, v65, v71
	s_addc_u32 s9, s9, 0
	s_add_i32 s12, s12, 32
	s_add_i32 s13, s8, -7
	v_cmp_eq_u32_e32 vcc, 13, v60
	v_fmac_f32_e32 v63, v66, v72
	v_mov_b32_e32 v60, s13
	s_or_b64 s[10:11], vcc, s[10:11]
	v_fmac_f32_e32 v63, v67, v73
	s_andn2_b64 exec, exec, s[10:11]
	s_cbranch_execnz .LBB77_105
; %bb.106:
	s_or_b64 exec, exec, s[10:11]
.LBB77_107:
	s_or_b64 exec, exec, s[0:1]
	v_and_b32_e32 v30, 7, v64
	v_cmp_ne_u32_e32 vcc, 0, v30
	s_and_saveexec_b64 s[8:9], vcc
	s_cbranch_execz .LBB77_111
; %bb.108:
	v_lshl_add_u32 v62, v60, 2, 64
	v_mov_b32_e32 v31, 0
	s_mov_b64 s[10:11], 0
.LBB77_109:                             ; =>This Inner Loop Header: Depth=1
	v_cmp_eq_u32_e32 vcc, 1, v60
	v_cndmask_b32_e32 v64, v16, v17, vcc
	v_add_u32_e32 v30, -1, v30
	v_cmp_eq_u32_e32 vcc, 2, v60
	v_cndmask_b32_e32 v64, v64, v18, vcc
	v_cmp_eq_u32_e32 vcc, 0, v30
	v_cmp_eq_u32_e64 s[0:1], 3, v60
	v_cndmask_b32_e64 v64, v64, v19, s[0:1]
	s_or_b64 s[10:11], vcc, s[10:11]
	v_cmp_eq_u32_e32 vcc, 4, v60
	v_cndmask_b32_e32 v64, v64, v20, vcc
	v_cmp_eq_u32_e32 vcc, 5, v60
	v_cndmask_b32_e32 v64, v64, v21, vcc
	;; [unrolled: 2-line block ×5, first 2 shown]
	v_cmp_eq_u32_e32 vcc, 9, v60
	ds_read_b32 v65, v62
	v_cndmask_b32_e32 v64, v64, v25, vcc
	v_cmp_eq_u32_e32 vcc, 10, v60
	v_cndmask_b32_e32 v64, v64, v26, vcc
	v_cmp_eq_u32_e32 vcc, 11, v60
	;; [unrolled: 2-line block ×4, first 2 shown]
	v_add_co_u32_e64 v60, s[0:1], 1, v60
	v_cndmask_b32_e32 v64, v64, v29, vcc
	v_add_u32_e32 v62, 4, v62
	v_addc_co_u32_e64 v31, s[0:1], 0, v31, s[0:1]
	s_waitcnt lgkmcnt(0)
	v_fmac_f32_e32 v63, v64, v65
	s_andn2_b64 exec, exec, s[10:11]
	s_cbranch_execnz .LBB77_109
; %bb.110:
	s_or_b64 exec, exec, s[10:11]
.LBB77_111:
	s_or_b64 exec, exec, s[8:9]
.LBB77_112:
	s_or_b64 exec, exec, s[6:7]
	v_mov_b32_e32 v21, 0
	ds_read_b32 v21, v21 offset:20
	s_waitcnt lgkmcnt(0)
	v_mul_f32_e32 v21, v63, v21
.LBB77_113:
	s_or_b64 exec, exec, s[4:5]
	v_cmp_lt_u32_e64 s[0:1], 4, v0
	ds_write_b32 v61, v20
	s_waitcnt lgkmcnt(0)
	; wave barrier
	s_waitcnt lgkmcnt(0)
	s_and_saveexec_b64 s[4:5], s[0:1]
	s_cbranch_execz .LBB77_129
; %bb.114:
	s_andn2_b64 vcc, exec, s[30:31]
	s_cbranch_vccnz .LBB77_116
; %bb.115:
	v_cmp_eq_u32_e32 vcc, 1, v0
	v_cndmask_b32_e32 v60, v16, v17, vcc
	v_cmp_eq_u32_e32 vcc, 2, v0
	v_cndmask_b32_e32 v60, v60, v18, vcc
	;; [unrolled: 2-line block ×9, first 2 shown]
	v_cmp_eq_u32_e32 vcc, 10, v0
	ds_read_b32 v62, v61
	v_cndmask_b32_e32 v60, v60, v26, vcc
	v_cmp_eq_u32_e32 vcc, 11, v0
	v_cndmask_b32_e32 v60, v60, v27, vcc
	v_cmp_eq_u32_e32 vcc, 12, v0
	;; [unrolled: 2-line block ×3, first 2 shown]
	v_cndmask_b32_e32 v60, v60, v29, vcc
	s_waitcnt lgkmcnt(0)
	v_mul_f32_e32 v63, v60, v62
	s_cbranch_execz .LBB77_117
	s_branch .LBB77_118
.LBB77_116:
                                        ; implicit-def: $vgpr63
.LBB77_117:
	ds_read_b32 v63, v61
.LBB77_118:
	s_and_saveexec_b64 s[6:7], s[2:3]
	s_cbranch_execz .LBB77_128
; %bb.119:
	v_add_u32_e32 v60, -6, v0
	v_add_u32_e32 v64, -5, v0
	v_cmp_lt_u32_e32 vcc, 6, v60
	v_mov_b32_e32 v60, 5
	s_and_saveexec_b64 s[2:3], vcc
	s_cbranch_execz .LBB77_123
; %bb.120:
	v_and_b32_e32 v60, -8, v64
	v_sub_u32_e32 v62, 0, v60
	s_mov_b64 s[8:9], 12
	s_movk_i32 s12, 0x54
	s_mov_b64 s[10:11], 0
.LBB77_121:                             ; =>This Inner Loop Header: Depth=1
	s_add_i32 s13, s8, -7
	v_mov_b32_e32 v60, s12
	s_add_i32 s14, s8, -6
	s_set_gpr_idx_on s13, gpr_idx(SRC0)
	v_mov_b32_e32 v65, v16
	s_set_gpr_idx_off
	ds_read2_b32 v[66:67], v60 offset1:1
	s_add_i32 s15, s8, -5
	s_set_gpr_idx_on s14, gpr_idx(SRC0)
	v_mov_b32_e32 v72, v16
	s_set_gpr_idx_off
	s_add_i32 s16, s8, -4
	s_set_gpr_idx_on s15, gpr_idx(SRC0)
	v_mov_b32_e32 v73, v16
	s_set_gpr_idx_off
	ds_read2_b32 v[68:69], v60 offset0:2 offset1:3
	s_add_i32 s17, s8, -3
	s_set_gpr_idx_on s16, gpr_idx(SRC0)
	v_mov_b32_e32 v74, v16
	s_set_gpr_idx_off
	s_add_i32 s18, s8, -2
	s_set_gpr_idx_on s17, gpr_idx(SRC0)
	v_mov_b32_e32 v75, v16
	s_set_gpr_idx_off
	ds_read2_b32 v[70:71], v60 offset0:4 offset1:5
	s_add_i32 s19, s8, -1
	s_waitcnt lgkmcnt(2)
	v_fmac_f32_e32 v63, v65, v66
	s_set_gpr_idx_on s18, gpr_idx(SRC0)
	v_mov_b32_e32 v65, v16
	s_set_gpr_idx_off
	v_fmac_f32_e32 v63, v72, v67
	s_set_gpr_idx_on s19, gpr_idx(SRC0)
	v_mov_b32_e32 v72, v16
	s_set_gpr_idx_off
	ds_read2_b32 v[66:67], v60 offset0:6 offset1:7
	s_waitcnt lgkmcnt(2)
	v_fmac_f32_e32 v63, v73, v68
	s_set_gpr_idx_on s8, gpr_idx(SRC0)
	v_mov_b32_e32 v68, v16
	s_set_gpr_idx_off
	v_fmac_f32_e32 v63, v74, v69
	s_add_u32 s8, s8, 8
	s_waitcnt lgkmcnt(1)
	v_fmac_f32_e32 v63, v75, v70
	v_add_u32_e32 v60, s8, v62
	v_fmac_f32_e32 v63, v65, v71
	s_addc_u32 s9, s9, 0
	s_add_i32 s12, s12, 32
	s_add_i32 s13, s8, -7
	v_cmp_eq_u32_e32 vcc, 12, v60
	s_waitcnt lgkmcnt(0)
	v_fmac_f32_e32 v63, v72, v66
	v_mov_b32_e32 v60, s13
	s_or_b64 s[10:11], vcc, s[10:11]
	v_fmac_f32_e32 v63, v68, v67
	s_andn2_b64 exec, exec, s[10:11]
	s_cbranch_execnz .LBB77_121
; %bb.122:
	s_or_b64 exec, exec, s[10:11]
.LBB77_123:
	s_or_b64 exec, exec, s[2:3]
	v_and_b32_e32 v30, 7, v64
	v_cmp_ne_u32_e32 vcc, 0, v30
	s_and_saveexec_b64 s[8:9], vcc
	s_cbranch_execz .LBB77_127
; %bb.124:
	v_lshl_add_u32 v62, v60, 2, 64
	v_mov_b32_e32 v31, 0
	s_mov_b64 s[10:11], 0
.LBB77_125:                             ; =>This Inner Loop Header: Depth=1
	v_cmp_eq_u32_e32 vcc, 1, v60
	v_cndmask_b32_e32 v64, v16, v17, vcc
	v_add_u32_e32 v30, -1, v30
	v_cmp_eq_u32_e32 vcc, 2, v60
	v_cndmask_b32_e32 v64, v64, v18, vcc
	v_cmp_eq_u32_e32 vcc, 0, v30
	v_cmp_eq_u32_e64 s[2:3], 3, v60
	v_cndmask_b32_e64 v64, v64, v19, s[2:3]
	s_or_b64 s[10:11], vcc, s[10:11]
	v_cmp_eq_u32_e32 vcc, 4, v60
	v_cndmask_b32_e32 v64, v64, v20, vcc
	v_cmp_eq_u32_e32 vcc, 5, v60
	v_cndmask_b32_e32 v64, v64, v21, vcc
	;; [unrolled: 2-line block ×5, first 2 shown]
	v_cmp_eq_u32_e32 vcc, 9, v60
	ds_read_b32 v65, v62
	v_cndmask_b32_e32 v64, v64, v25, vcc
	v_cmp_eq_u32_e32 vcc, 10, v60
	v_cndmask_b32_e32 v64, v64, v26, vcc
	v_cmp_eq_u32_e32 vcc, 11, v60
	;; [unrolled: 2-line block ×4, first 2 shown]
	v_add_co_u32_e64 v60, s[2:3], 1, v60
	v_cndmask_b32_e32 v64, v64, v29, vcc
	v_add_u32_e32 v62, 4, v62
	v_addc_co_u32_e64 v31, s[2:3], 0, v31, s[2:3]
	s_waitcnt lgkmcnt(0)
	v_fmac_f32_e32 v63, v64, v65
	s_andn2_b64 exec, exec, s[10:11]
	s_cbranch_execnz .LBB77_125
; %bb.126:
	s_or_b64 exec, exec, s[10:11]
.LBB77_127:
	s_or_b64 exec, exec, s[8:9]
.LBB77_128:
	s_or_b64 exec, exec, s[6:7]
	v_mov_b32_e32 v20, 0
	ds_read_b32 v20, v20 offset:16
	s_waitcnt lgkmcnt(0)
	v_mul_f32_e32 v20, v63, v20
.LBB77_129:
	s_or_b64 exec, exec, s[4:5]
	v_cmp_lt_u32_e64 s[2:3], 3, v0
	ds_write_b32 v61, v19
	s_waitcnt lgkmcnt(0)
	; wave barrier
	s_waitcnt lgkmcnt(0)
	s_and_saveexec_b64 s[4:5], s[2:3]
	s_cbranch_execz .LBB77_145
; %bb.130:
	s_andn2_b64 vcc, exec, s[30:31]
	s_cbranch_vccnz .LBB77_132
; %bb.131:
	v_cmp_eq_u32_e32 vcc, 1, v0
	v_cndmask_b32_e32 v60, v16, v17, vcc
	v_cmp_eq_u32_e32 vcc, 2, v0
	v_cndmask_b32_e32 v60, v60, v18, vcc
	;; [unrolled: 2-line block ×9, first 2 shown]
	v_cmp_eq_u32_e32 vcc, 10, v0
	ds_read_b32 v62, v61
	v_cndmask_b32_e32 v60, v60, v26, vcc
	v_cmp_eq_u32_e32 vcc, 11, v0
	v_cndmask_b32_e32 v60, v60, v27, vcc
	v_cmp_eq_u32_e32 vcc, 12, v0
	;; [unrolled: 2-line block ×3, first 2 shown]
	v_cndmask_b32_e32 v60, v60, v29, vcc
	s_waitcnt lgkmcnt(0)
	v_mul_f32_e32 v63, v60, v62
	s_cbranch_execz .LBB77_133
	s_branch .LBB77_134
.LBB77_132:
                                        ; implicit-def: $vgpr63
.LBB77_133:
	ds_read_b32 v63, v61
.LBB77_134:
	s_and_saveexec_b64 s[6:7], s[0:1]
	s_cbranch_execz .LBB77_144
; %bb.135:
	v_add_u32_e32 v60, -5, v0
	v_add_u32_e32 v64, -4, v0
	v_cmp_lt_u32_e32 vcc, 6, v60
	v_mov_b32_e32 v60, 4
	s_and_saveexec_b64 s[0:1], vcc
	s_cbranch_execz .LBB77_139
; %bb.136:
	v_and_b32_e32 v60, -8, v64
	v_sub_u32_e32 v62, 0, v60
	s_mov_b64 s[8:9], 5
	s_movk_i32 s12, 0x50
	s_mov_b64 s[10:11], 0
.LBB77_137:                             ; =>This Inner Loop Header: Depth=1
	s_add_i32 s13, s8, -1
	v_mov_b32_e32 v60, s12
	s_set_gpr_idx_on s13, gpr_idx(SRC0)
	v_mov_b32_e32 v65, v16
	s_set_gpr_idx_off
	s_add_i32 s14, s8, 1
	ds_read_b128 v[66:69], v60
	ds_read_b128 v[70:73], v60 offset:16
	s_set_gpr_idx_on s8, gpr_idx(SRC0)
	v_mov_b32_e32 v74, v16
	s_set_gpr_idx_off
	s_add_i32 s15, s8, 2
	s_set_gpr_idx_on s14, gpr_idx(SRC0)
	v_mov_b32_e32 v75, v16
	s_set_gpr_idx_off
	s_add_i32 s16, s8, 3
	s_set_gpr_idx_on s15, gpr_idx(SRC0)
	v_mov_b32_e32 v76, v16
	s_set_gpr_idx_off
	s_add_i32 s17, s8, 4
	s_set_gpr_idx_on s16, gpr_idx(SRC0)
	v_mov_b32_e32 v77, v16
	s_set_gpr_idx_off
	s_add_i32 s18, s8, 5
	s_waitcnt lgkmcnt(1)
	v_fmac_f32_e32 v63, v65, v66
	s_set_gpr_idx_on s17, gpr_idx(SRC0)
	v_mov_b32_e32 v65, v16
	s_set_gpr_idx_off
	s_add_i32 s19, s8, 6
	v_fmac_f32_e32 v63, v74, v67
	s_set_gpr_idx_on s18, gpr_idx(SRC0)
	v_mov_b32_e32 v66, v16
	s_set_gpr_idx_off
	v_fmac_f32_e32 v63, v75, v68
	s_set_gpr_idx_on s19, gpr_idx(SRC0)
	v_mov_b32_e32 v67, v16
	s_set_gpr_idx_off
	v_fmac_f32_e32 v63, v76, v69
	s_add_u32 s8, s8, 8
	s_waitcnt lgkmcnt(0)
	v_fmac_f32_e32 v63, v77, v70
	v_add_u32_e32 v60, s8, v62
	v_fmac_f32_e32 v63, v65, v71
	s_addc_u32 s9, s9, 0
	s_add_i32 s12, s12, 32
	s_add_i32 s13, s8, -1
	v_cmp_eq_u32_e32 vcc, 5, v60
	v_fmac_f32_e32 v63, v66, v72
	v_mov_b32_e32 v60, s13
	s_or_b64 s[10:11], vcc, s[10:11]
	v_fmac_f32_e32 v63, v67, v73
	s_andn2_b64 exec, exec, s[10:11]
	s_cbranch_execnz .LBB77_137
; %bb.138:
	s_or_b64 exec, exec, s[10:11]
.LBB77_139:
	s_or_b64 exec, exec, s[0:1]
	v_and_b32_e32 v30, 7, v64
	v_cmp_ne_u32_e32 vcc, 0, v30
	s_and_saveexec_b64 s[8:9], vcc
	s_cbranch_execz .LBB77_143
; %bb.140:
	v_lshl_add_u32 v62, v60, 2, 64
	v_mov_b32_e32 v31, 0
	s_mov_b64 s[10:11], 0
.LBB77_141:                             ; =>This Inner Loop Header: Depth=1
	v_cmp_eq_u32_e32 vcc, 1, v60
	v_cndmask_b32_e32 v64, v16, v17, vcc
	v_add_u32_e32 v30, -1, v30
	v_cmp_eq_u32_e32 vcc, 2, v60
	v_cndmask_b32_e32 v64, v64, v18, vcc
	v_cmp_eq_u32_e32 vcc, 0, v30
	v_cmp_eq_u32_e64 s[0:1], 3, v60
	v_cndmask_b32_e64 v64, v64, v19, s[0:1]
	s_or_b64 s[10:11], vcc, s[10:11]
	v_cmp_eq_u32_e32 vcc, 4, v60
	v_cndmask_b32_e32 v64, v64, v20, vcc
	v_cmp_eq_u32_e32 vcc, 5, v60
	v_cndmask_b32_e32 v64, v64, v21, vcc
	;; [unrolled: 2-line block ×5, first 2 shown]
	v_cmp_eq_u32_e32 vcc, 9, v60
	ds_read_b32 v65, v62
	v_cndmask_b32_e32 v64, v64, v25, vcc
	v_cmp_eq_u32_e32 vcc, 10, v60
	v_cndmask_b32_e32 v64, v64, v26, vcc
	v_cmp_eq_u32_e32 vcc, 11, v60
	;; [unrolled: 2-line block ×4, first 2 shown]
	v_add_co_u32_e64 v60, s[0:1], 1, v60
	v_cndmask_b32_e32 v64, v64, v29, vcc
	v_add_u32_e32 v62, 4, v62
	v_addc_co_u32_e64 v31, s[0:1], 0, v31, s[0:1]
	s_waitcnt lgkmcnt(0)
	v_fmac_f32_e32 v63, v64, v65
	s_andn2_b64 exec, exec, s[10:11]
	s_cbranch_execnz .LBB77_141
; %bb.142:
	s_or_b64 exec, exec, s[10:11]
.LBB77_143:
	s_or_b64 exec, exec, s[8:9]
.LBB77_144:
	s_or_b64 exec, exec, s[6:7]
	v_mov_b32_e32 v19, 0
	ds_read_b32 v19, v19 offset:12
	s_waitcnt lgkmcnt(0)
	v_mul_f32_e32 v19, v63, v19
.LBB77_145:
	s_or_b64 exec, exec, s[4:5]
	v_cmp_lt_u32_e64 s[0:1], 2, v0
	ds_write_b32 v61, v18
	s_waitcnt lgkmcnt(0)
	; wave barrier
	s_waitcnt lgkmcnt(0)
	s_and_saveexec_b64 s[4:5], s[0:1]
	s_cbranch_execz .LBB77_161
; %bb.146:
	s_andn2_b64 vcc, exec, s[30:31]
	s_cbranch_vccnz .LBB77_148
; %bb.147:
	v_cmp_eq_u32_e32 vcc, 1, v0
	v_cndmask_b32_e32 v60, v16, v17, vcc
	v_cmp_eq_u32_e32 vcc, 2, v0
	v_cndmask_b32_e32 v60, v60, v18, vcc
	;; [unrolled: 2-line block ×9, first 2 shown]
	v_cmp_eq_u32_e32 vcc, 10, v0
	ds_read_b32 v62, v61
	v_cndmask_b32_e32 v60, v60, v26, vcc
	v_cmp_eq_u32_e32 vcc, 11, v0
	v_cndmask_b32_e32 v60, v60, v27, vcc
	v_cmp_eq_u32_e32 vcc, 12, v0
	;; [unrolled: 2-line block ×3, first 2 shown]
	v_cndmask_b32_e32 v60, v60, v29, vcc
	s_waitcnt lgkmcnt(0)
	v_mul_f32_e32 v63, v60, v62
	s_cbranch_execz .LBB77_149
	s_branch .LBB77_150
.LBB77_148:
                                        ; implicit-def: $vgpr63
.LBB77_149:
	ds_read_b32 v63, v61
.LBB77_150:
	s_and_saveexec_b64 s[6:7], s[2:3]
	s_cbranch_execz .LBB77_160
; %bb.151:
	v_add_u32_e32 v60, -4, v0
	v_add_u32_e32 v64, -3, v0
	v_cmp_lt_u32_e32 vcc, 6, v60
	v_mov_b32_e32 v60, 3
	s_and_saveexec_b64 s[2:3], vcc
	s_cbranch_execz .LBB77_155
; %bb.152:
	v_and_b32_e32 v60, -8, v64
	v_sub_u32_e32 v62, 0, v60
	s_mov_b64 s[8:9], 10
	s_movk_i32 s12, 0x4c
	s_mov_b64 s[10:11], 0
.LBB77_153:                             ; =>This Inner Loop Header: Depth=1
	s_add_i32 s13, s8, -7
	v_mov_b32_e32 v60, s12
	s_add_i32 s14, s8, -6
	s_set_gpr_idx_on s13, gpr_idx(SRC0)
	v_mov_b32_e32 v65, v16
	s_set_gpr_idx_off
	ds_read2_b32 v[66:67], v60 offset1:1
	s_add_i32 s15, s8, -5
	s_set_gpr_idx_on s14, gpr_idx(SRC0)
	v_mov_b32_e32 v72, v16
	s_set_gpr_idx_off
	s_add_i32 s16, s8, -4
	s_set_gpr_idx_on s15, gpr_idx(SRC0)
	v_mov_b32_e32 v73, v16
	s_set_gpr_idx_off
	ds_read2_b32 v[68:69], v60 offset0:2 offset1:3
	s_add_i32 s17, s8, -3
	s_set_gpr_idx_on s16, gpr_idx(SRC0)
	v_mov_b32_e32 v74, v16
	s_set_gpr_idx_off
	s_add_i32 s18, s8, -2
	s_set_gpr_idx_on s17, gpr_idx(SRC0)
	v_mov_b32_e32 v75, v16
	s_set_gpr_idx_off
	ds_read2_b32 v[70:71], v60 offset0:4 offset1:5
	s_add_i32 s19, s8, -1
	s_waitcnt lgkmcnt(2)
	v_fmac_f32_e32 v63, v65, v66
	s_set_gpr_idx_on s18, gpr_idx(SRC0)
	v_mov_b32_e32 v65, v16
	s_set_gpr_idx_off
	v_fmac_f32_e32 v63, v72, v67
	s_set_gpr_idx_on s19, gpr_idx(SRC0)
	v_mov_b32_e32 v72, v16
	s_set_gpr_idx_off
	ds_read2_b32 v[66:67], v60 offset0:6 offset1:7
	s_waitcnt lgkmcnt(2)
	v_fmac_f32_e32 v63, v73, v68
	s_set_gpr_idx_on s8, gpr_idx(SRC0)
	v_mov_b32_e32 v68, v16
	s_set_gpr_idx_off
	v_fmac_f32_e32 v63, v74, v69
	s_add_u32 s8, s8, 8
	s_waitcnt lgkmcnt(1)
	v_fmac_f32_e32 v63, v75, v70
	v_add_u32_e32 v60, s8, v62
	v_fmac_f32_e32 v63, v65, v71
	s_addc_u32 s9, s9, 0
	s_add_i32 s12, s12, 32
	s_add_i32 s13, s8, -7
	v_cmp_eq_u32_e32 vcc, 10, v60
	s_waitcnt lgkmcnt(0)
	v_fmac_f32_e32 v63, v72, v66
	v_mov_b32_e32 v60, s13
	s_or_b64 s[10:11], vcc, s[10:11]
	v_fmac_f32_e32 v63, v68, v67
	s_andn2_b64 exec, exec, s[10:11]
	s_cbranch_execnz .LBB77_153
; %bb.154:
	s_or_b64 exec, exec, s[10:11]
.LBB77_155:
	s_or_b64 exec, exec, s[2:3]
	v_and_b32_e32 v30, 7, v64
	v_cmp_ne_u32_e32 vcc, 0, v30
	s_and_saveexec_b64 s[8:9], vcc
	s_cbranch_execz .LBB77_159
; %bb.156:
	v_lshl_add_u32 v62, v60, 2, 64
	v_mov_b32_e32 v31, 0
	s_mov_b64 s[10:11], 0
.LBB77_157:                             ; =>This Inner Loop Header: Depth=1
	v_cmp_eq_u32_e32 vcc, 1, v60
	v_cndmask_b32_e32 v64, v16, v17, vcc
	v_add_u32_e32 v30, -1, v30
	v_cmp_eq_u32_e32 vcc, 2, v60
	v_cndmask_b32_e32 v64, v64, v18, vcc
	v_cmp_eq_u32_e32 vcc, 0, v30
	v_cmp_eq_u32_e64 s[2:3], 3, v60
	v_cndmask_b32_e64 v64, v64, v19, s[2:3]
	s_or_b64 s[10:11], vcc, s[10:11]
	v_cmp_eq_u32_e32 vcc, 4, v60
	v_cndmask_b32_e32 v64, v64, v20, vcc
	v_cmp_eq_u32_e32 vcc, 5, v60
	v_cndmask_b32_e32 v64, v64, v21, vcc
	;; [unrolled: 2-line block ×5, first 2 shown]
	v_cmp_eq_u32_e32 vcc, 9, v60
	ds_read_b32 v65, v62
	v_cndmask_b32_e32 v64, v64, v25, vcc
	v_cmp_eq_u32_e32 vcc, 10, v60
	v_cndmask_b32_e32 v64, v64, v26, vcc
	v_cmp_eq_u32_e32 vcc, 11, v60
	v_cndmask_b32_e32 v64, v64, v27, vcc
	v_cmp_eq_u32_e32 vcc, 12, v60
	v_cndmask_b32_e32 v64, v64, v28, vcc
	v_cmp_eq_u32_e32 vcc, 13, v60
	v_add_co_u32_e64 v60, s[2:3], 1, v60
	v_cndmask_b32_e32 v64, v64, v29, vcc
	v_add_u32_e32 v62, 4, v62
	v_addc_co_u32_e64 v31, s[2:3], 0, v31, s[2:3]
	s_waitcnt lgkmcnt(0)
	v_fmac_f32_e32 v63, v64, v65
	s_andn2_b64 exec, exec, s[10:11]
	s_cbranch_execnz .LBB77_157
; %bb.158:
	s_or_b64 exec, exec, s[10:11]
.LBB77_159:
	s_or_b64 exec, exec, s[8:9]
.LBB77_160:
	s_or_b64 exec, exec, s[6:7]
	v_mov_b32_e32 v18, 0
	ds_read_b32 v18, v18 offset:8
	s_waitcnt lgkmcnt(0)
	v_mul_f32_e32 v18, v63, v18
.LBB77_161:
	s_or_b64 exec, exec, s[4:5]
	v_cmp_lt_u32_e64 s[2:3], 1, v0
	ds_write_b32 v61, v17
	s_waitcnt lgkmcnt(0)
	; wave barrier
	s_waitcnt lgkmcnt(0)
	s_and_saveexec_b64 s[4:5], s[2:3]
	s_cbranch_execz .LBB77_177
; %bb.162:
	s_andn2_b64 vcc, exec, s[30:31]
	s_cbranch_vccnz .LBB77_164
; %bb.163:
	v_cmp_eq_u32_e32 vcc, 1, v0
	v_cndmask_b32_e32 v60, v16, v17, vcc
	v_cmp_eq_u32_e32 vcc, 2, v0
	v_cndmask_b32_e32 v60, v60, v18, vcc
	;; [unrolled: 2-line block ×9, first 2 shown]
	v_cmp_eq_u32_e32 vcc, 10, v0
	ds_read_b32 v62, v61
	v_cndmask_b32_e32 v60, v60, v26, vcc
	v_cmp_eq_u32_e32 vcc, 11, v0
	v_cndmask_b32_e32 v60, v60, v27, vcc
	v_cmp_eq_u32_e32 vcc, 12, v0
	;; [unrolled: 2-line block ×3, first 2 shown]
	v_cndmask_b32_e32 v60, v60, v29, vcc
	s_waitcnt lgkmcnt(0)
	v_mul_f32_e32 v63, v60, v62
	s_cbranch_execz .LBB77_165
	s_branch .LBB77_166
.LBB77_164:
                                        ; implicit-def: $vgpr63
.LBB77_165:
	ds_read_b32 v63, v61
.LBB77_166:
	s_and_saveexec_b64 s[6:7], s[0:1]
	s_cbranch_execz .LBB77_176
; %bb.167:
	v_add_u32_e32 v60, -3, v0
	v_add_u32_e32 v64, -2, v0
	v_cmp_lt_u32_e32 vcc, 6, v60
	v_mov_b32_e32 v60, 2
	s_and_saveexec_b64 s[0:1], vcc
	s_cbranch_execz .LBB77_171
; %bb.168:
	v_and_b32_e32 v60, -8, v64
	v_sub_u32_e32 v62, 0, v60
	s_mov_b64 s[8:9], 9
	s_movk_i32 s12, 0x48
	s_mov_b64 s[10:11], 0
.LBB77_169:                             ; =>This Inner Loop Header: Depth=1
	s_add_i32 s13, s8, -7
	v_mov_b32_e32 v60, s12
	s_add_i32 s14, s8, -6
	s_set_gpr_idx_on s13, gpr_idx(SRC0)
	v_mov_b32_e32 v65, v16
	s_set_gpr_idx_off
	ds_read2_b64 v[66:69], v60 offset1:1
	s_add_i32 s15, s8, -5
	s_set_gpr_idx_on s14, gpr_idx(SRC0)
	v_mov_b32_e32 v74, v16
	s_set_gpr_idx_off
	s_add_i32 s16, s8, -4
	s_set_gpr_idx_on s15, gpr_idx(SRC0)
	v_mov_b32_e32 v75, v16
	s_set_gpr_idx_off
	;; [unrolled: 4-line block ×4, first 2 shown]
	ds_read2_b64 v[70:73], v60 offset0:2 offset1:3
	s_add_i32 s19, s8, -1
	s_waitcnt lgkmcnt(1)
	v_fmac_f32_e32 v63, v65, v66
	s_set_gpr_idx_on s18, gpr_idx(SRC0)
	v_mov_b32_e32 v65, v16
	s_set_gpr_idx_off
	v_fmac_f32_e32 v63, v74, v67
	s_set_gpr_idx_on s19, gpr_idx(SRC0)
	v_mov_b32_e32 v66, v16
	s_set_gpr_idx_off
	;; [unrolled: 4-line block ×3, first 2 shown]
	v_fmac_f32_e32 v63, v76, v69
	s_add_u32 s8, s8, 8
	s_waitcnt lgkmcnt(0)
	v_fmac_f32_e32 v63, v77, v70
	v_add_u32_e32 v60, s8, v62
	v_fmac_f32_e32 v63, v65, v71
	s_addc_u32 s9, s9, 0
	s_add_i32 s12, s12, 32
	s_add_i32 s13, s8, -7
	v_cmp_eq_u32_e32 vcc, 9, v60
	v_fmac_f32_e32 v63, v66, v72
	v_mov_b32_e32 v60, s13
	s_or_b64 s[10:11], vcc, s[10:11]
	v_fmac_f32_e32 v63, v67, v73
	s_andn2_b64 exec, exec, s[10:11]
	s_cbranch_execnz .LBB77_169
; %bb.170:
	s_or_b64 exec, exec, s[10:11]
.LBB77_171:
	s_or_b64 exec, exec, s[0:1]
	v_and_b32_e32 v30, 7, v64
	v_cmp_ne_u32_e32 vcc, 0, v30
	s_and_saveexec_b64 s[8:9], vcc
	s_cbranch_execz .LBB77_175
; %bb.172:
	v_lshl_add_u32 v62, v60, 2, 64
	v_mov_b32_e32 v31, 0
	s_mov_b64 s[10:11], 0
.LBB77_173:                             ; =>This Inner Loop Header: Depth=1
	v_cmp_eq_u32_e32 vcc, 1, v60
	v_cndmask_b32_e32 v64, v16, v17, vcc
	v_add_u32_e32 v30, -1, v30
	v_cmp_eq_u32_e32 vcc, 2, v60
	v_cndmask_b32_e32 v64, v64, v18, vcc
	v_cmp_eq_u32_e32 vcc, 0, v30
	v_cmp_eq_u32_e64 s[0:1], 3, v60
	v_cndmask_b32_e64 v64, v64, v19, s[0:1]
	s_or_b64 s[10:11], vcc, s[10:11]
	v_cmp_eq_u32_e32 vcc, 4, v60
	v_cndmask_b32_e32 v64, v64, v20, vcc
	v_cmp_eq_u32_e32 vcc, 5, v60
	v_cndmask_b32_e32 v64, v64, v21, vcc
	;; [unrolled: 2-line block ×5, first 2 shown]
	v_cmp_eq_u32_e32 vcc, 9, v60
	ds_read_b32 v65, v62
	v_cndmask_b32_e32 v64, v64, v25, vcc
	v_cmp_eq_u32_e32 vcc, 10, v60
	v_cndmask_b32_e32 v64, v64, v26, vcc
	v_cmp_eq_u32_e32 vcc, 11, v60
	;; [unrolled: 2-line block ×4, first 2 shown]
	v_add_co_u32_e64 v60, s[0:1], 1, v60
	v_cndmask_b32_e32 v64, v64, v29, vcc
	v_add_u32_e32 v62, 4, v62
	v_addc_co_u32_e64 v31, s[0:1], 0, v31, s[0:1]
	s_waitcnt lgkmcnt(0)
	v_fmac_f32_e32 v63, v64, v65
	s_andn2_b64 exec, exec, s[10:11]
	s_cbranch_execnz .LBB77_173
; %bb.174:
	s_or_b64 exec, exec, s[10:11]
.LBB77_175:
	s_or_b64 exec, exec, s[8:9]
.LBB77_176:
	s_or_b64 exec, exec, s[6:7]
	v_mov_b32_e32 v17, 0
	ds_read_b32 v17, v17 offset:4
	s_waitcnt lgkmcnt(0)
	v_mul_f32_e32 v17, v63, v17
.LBB77_177:
	s_or_b64 exec, exec, s[4:5]
	v_cmp_ne_u32_e32 vcc, 0, v0
	ds_write_b32 v61, v16
	s_waitcnt lgkmcnt(0)
	; wave barrier
	s_waitcnt lgkmcnt(0)
	s_and_saveexec_b64 s[4:5], vcc
	s_cbranch_execz .LBB77_193
; %bb.178:
	s_andn2_b64 vcc, exec, s[30:31]
	s_cbranch_vccnz .LBB77_180
; %bb.179:
	v_cmp_eq_u32_e32 vcc, 1, v0
	v_cndmask_b32_e32 v60, v16, v17, vcc
	v_cmp_eq_u32_e32 vcc, 2, v0
	v_cndmask_b32_e32 v60, v60, v18, vcc
	;; [unrolled: 2-line block ×9, first 2 shown]
	v_cmp_eq_u32_e32 vcc, 10, v0
	ds_read_b32 v62, v61
	v_cndmask_b32_e32 v60, v60, v26, vcc
	v_cmp_eq_u32_e32 vcc, 11, v0
	v_cndmask_b32_e32 v60, v60, v27, vcc
	v_cmp_eq_u32_e32 vcc, 12, v0
	;; [unrolled: 2-line block ×3, first 2 shown]
	v_cndmask_b32_e32 v60, v60, v29, vcc
	s_waitcnt lgkmcnt(0)
	v_mul_f32_e32 v63, v60, v62
	s_cbranch_execz .LBB77_181
	s_branch .LBB77_182
.LBB77_180:
                                        ; implicit-def: $vgpr63
.LBB77_181:
	ds_read_b32 v63, v61
.LBB77_182:
	s_and_saveexec_b64 s[6:7], s[2:3]
	s_cbranch_execz .LBB77_192
; %bb.183:
	v_add_u32_e32 v60, -2, v0
	v_add_u32_e32 v64, -1, v0
	v_cmp_lt_u32_e32 vcc, 6, v60
	v_mov_b32_e32 v60, 1
	s_and_saveexec_b64 s[0:1], vcc
	s_cbranch_execz .LBB77_187
; %bb.184:
	v_and_b32_e32 v60, -8, v64
	v_sub_u32_e32 v62, 0, v60
	s_mov_b64 s[2:3], 8
	s_movk_i32 s10, 0x44
	s_mov_b64 s[8:9], 0
.LBB77_185:                             ; =>This Inner Loop Header: Depth=1
	s_add_i32 s11, s2, -7
	v_mov_b32_e32 v60, s10
	s_add_i32 s12, s2, -6
	s_set_gpr_idx_on s11, gpr_idx(SRC0)
	v_mov_b32_e32 v65, v16
	s_set_gpr_idx_off
	ds_read2_b32 v[66:67], v60 offset1:1
	s_add_i32 s13, s2, -5
	s_set_gpr_idx_on s12, gpr_idx(SRC0)
	v_mov_b32_e32 v72, v16
	s_set_gpr_idx_off
	s_add_i32 s14, s2, -4
	s_set_gpr_idx_on s13, gpr_idx(SRC0)
	v_mov_b32_e32 v73, v16
	s_set_gpr_idx_off
	ds_read2_b32 v[68:69], v60 offset0:2 offset1:3
	s_add_i32 s15, s2, -3
	s_set_gpr_idx_on s14, gpr_idx(SRC0)
	v_mov_b32_e32 v74, v16
	s_set_gpr_idx_off
	s_add_i32 s16, s2, -2
	s_set_gpr_idx_on s15, gpr_idx(SRC0)
	v_mov_b32_e32 v75, v16
	s_set_gpr_idx_off
	ds_read2_b32 v[70:71], v60 offset0:4 offset1:5
	s_add_i32 s17, s2, -1
	s_waitcnt lgkmcnt(2)
	v_fmac_f32_e32 v63, v65, v66
	s_set_gpr_idx_on s16, gpr_idx(SRC0)
	v_mov_b32_e32 v65, v16
	s_set_gpr_idx_off
	v_fmac_f32_e32 v63, v72, v67
	s_set_gpr_idx_on s17, gpr_idx(SRC0)
	v_mov_b32_e32 v72, v16
	s_set_gpr_idx_off
	ds_read2_b32 v[66:67], v60 offset0:6 offset1:7
	s_waitcnt lgkmcnt(2)
	v_fmac_f32_e32 v63, v73, v68
	s_set_gpr_idx_on s2, gpr_idx(SRC0)
	v_mov_b32_e32 v68, v16
	s_set_gpr_idx_off
	v_fmac_f32_e32 v63, v74, v69
	s_add_u32 s2, s2, 8
	s_waitcnt lgkmcnt(1)
	v_fmac_f32_e32 v63, v75, v70
	v_add_u32_e32 v60, s2, v62
	v_fmac_f32_e32 v63, v65, v71
	s_addc_u32 s3, s3, 0
	s_add_i32 s10, s10, 32
	s_add_i32 s11, s2, -7
	v_cmp_eq_u32_e32 vcc, 8, v60
	s_waitcnt lgkmcnt(0)
	v_fmac_f32_e32 v63, v72, v66
	v_mov_b32_e32 v60, s11
	s_or_b64 s[8:9], vcc, s[8:9]
	v_fmac_f32_e32 v63, v68, v67
	s_andn2_b64 exec, exec, s[8:9]
	s_cbranch_execnz .LBB77_185
; %bb.186:
	s_or_b64 exec, exec, s[8:9]
.LBB77_187:
	s_or_b64 exec, exec, s[0:1]
	v_and_b32_e32 v30, 7, v64
	v_cmp_ne_u32_e32 vcc, 0, v30
	s_and_saveexec_b64 s[2:3], vcc
	s_cbranch_execz .LBB77_191
; %bb.188:
	v_lshl_add_u32 v62, v60, 2, 64
	v_mov_b32_e32 v31, 0
	s_mov_b64 s[8:9], 0
.LBB77_189:                             ; =>This Inner Loop Header: Depth=1
	v_cmp_eq_u32_e32 vcc, 1, v60
	v_cndmask_b32_e32 v64, v16, v17, vcc
	v_add_u32_e32 v30, -1, v30
	v_cmp_eq_u32_e32 vcc, 2, v60
	v_cndmask_b32_e32 v64, v64, v18, vcc
	v_cmp_eq_u32_e32 vcc, 0, v30
	v_cmp_eq_u32_e64 s[0:1], 3, v60
	v_cndmask_b32_e64 v64, v64, v19, s[0:1]
	s_or_b64 s[8:9], vcc, s[8:9]
	v_cmp_eq_u32_e32 vcc, 4, v60
	v_cndmask_b32_e32 v64, v64, v20, vcc
	v_cmp_eq_u32_e32 vcc, 5, v60
	v_cndmask_b32_e32 v64, v64, v21, vcc
	;; [unrolled: 2-line block ×5, first 2 shown]
	v_cmp_eq_u32_e32 vcc, 9, v60
	ds_read_b32 v65, v62
	v_cndmask_b32_e32 v64, v64, v25, vcc
	v_cmp_eq_u32_e32 vcc, 10, v60
	v_cndmask_b32_e32 v64, v64, v26, vcc
	v_cmp_eq_u32_e32 vcc, 11, v60
	;; [unrolled: 2-line block ×4, first 2 shown]
	v_add_co_u32_e64 v60, s[0:1], 1, v60
	v_cndmask_b32_e32 v64, v64, v29, vcc
	v_add_u32_e32 v62, 4, v62
	v_addc_co_u32_e64 v31, s[0:1], 0, v31, s[0:1]
	s_waitcnt lgkmcnt(0)
	v_fmac_f32_e32 v63, v64, v65
	s_andn2_b64 exec, exec, s[8:9]
	s_cbranch_execnz .LBB77_189
; %bb.190:
	s_or_b64 exec, exec, s[8:9]
.LBB77_191:
	s_or_b64 exec, exec, s[2:3]
.LBB77_192:
	s_or_b64 exec, exec, s[6:7]
	v_mov_b32_e32 v16, 0
	ds_read_b32 v16, v16
	s_waitcnt lgkmcnt(0)
	v_mul_f32_e32 v16, v63, v16
.LBB77_193:
	s_or_b64 exec, exec, s[4:5]
	s_branch .LBB77_329
.LBB77_194:
	v_cmp_eq_u32_e64 s[2:3], 0, v0
	s_waitcnt vmcnt(13)
	ds_write_b32 v61, v3
	s_waitcnt lgkmcnt(0)
	; wave barrier
	s_waitcnt lgkmcnt(0)
	s_and_saveexec_b64 s[0:1], s[2:3]
	s_cbranch_execz .LBB77_200
; %bb.195:
	s_and_b64 vcc, exec, s[30:31]
	s_cbranch_vccz .LBB77_197
; %bb.196:
	v_cmp_eq_u32_e32 vcc, 1, v0
	s_waitcnt vmcnt(1)
	v_cndmask_b32_e32 v3, v2, v3, vcc
	v_cmp_eq_u32_e32 vcc, 2, v0
	v_cndmask_b32_e32 v3, v3, v4, vcc
	v_cmp_eq_u32_e32 vcc, 3, v0
	;; [unrolled: 2-line block ×9, first 2 shown]
	ds_read_b32 v16, v61
	v_cndmask_b32_e32 v3, v3, v12, vcc
	v_cmp_eq_u32_e32 vcc, 11, v0
	v_cndmask_b32_e32 v3, v3, v13, vcc
	v_cmp_eq_u32_e32 vcc, 12, v0
	;; [unrolled: 2-line block ×3, first 2 shown]
	s_waitcnt vmcnt(0)
	v_cndmask_b32_e32 v3, v3, v15, vcc
	s_waitcnt lgkmcnt(0)
	v_mul_f32_e32 v3, v3, v16
	s_cbranch_execz .LBB77_198
	s_branch .LBB77_199
.LBB77_197:
                                        ; implicit-def: $vgpr3
.LBB77_198:
	ds_read_b32 v3, v61
.LBB77_199:
	v_mov_b32_e32 v16, 0
	ds_read_b32 v16, v16 offset:4
	s_waitcnt lgkmcnt(0)
	v_mul_f32_e32 v3, v3, v16
.LBB77_200:
	s_or_b64 exec, exec, s[0:1]
	v_cndmask_b32_e64 v16, 0, 1, s[30:31]
	v_add_u32_e32 v18, 1, v0
	v_cmp_gt_u32_e32 vcc, 2, v0
	v_cmp_ne_u32_e64 s[0:1], 1, v16
	s_waitcnt vmcnt(12)
	ds_write_b32 v61, v4
	s_waitcnt lgkmcnt(0)
	; wave barrier
	s_waitcnt lgkmcnt(0)
	s_and_saveexec_b64 s[4:5], vcc
	s_cbranch_execz .LBB77_208
; %bb.201:
	s_and_b64 vcc, exec, s[0:1]
	s_cbranch_vccnz .LBB77_203
; %bb.202:
	v_cmp_eq_u32_e32 vcc, 1, v0
	s_waitcnt vmcnt(1)
	v_cndmask_b32_e32 v16, v2, v3, vcc
	v_cmp_eq_u32_e32 vcc, 2, v0
	v_cndmask_b32_e32 v16, v16, v4, vcc
	v_cmp_eq_u32_e32 vcc, 3, v0
	;; [unrolled: 2-line block ×9, first 2 shown]
	ds_read_b32 v17, v61
	v_cndmask_b32_e32 v16, v16, v12, vcc
	v_cmp_eq_u32_e32 vcc, 11, v0
	v_cndmask_b32_e32 v16, v16, v13, vcc
	v_cmp_eq_u32_e32 vcc, 12, v0
	;; [unrolled: 2-line block ×3, first 2 shown]
	s_waitcnt vmcnt(0)
	v_cndmask_b32_e32 v16, v16, v15, vcc
	s_waitcnt lgkmcnt(0)
	v_mul_f32_e32 v16, v16, v17
	s_cbranch_execz .LBB77_204
	s_branch .LBB77_205
.LBB77_203:
                                        ; implicit-def: $vgpr16
.LBB77_204:
	ds_read_b32 v16, v61
.LBB77_205:
	s_and_saveexec_b64 s[6:7], s[2:3]
	s_cbranch_execz .LBB77_207
; %bb.206:
	v_cmp_eq_u32_e32 vcc, 1, v18
	s_waitcnt vmcnt(1)
	v_cndmask_b32_e32 v17, v2, v3, vcc
	v_cmp_eq_u32_e32 vcc, 2, v18
	v_cndmask_b32_e32 v4, v17, v4, vcc
	v_cmp_eq_u32_e32 vcc, 3, v18
	;; [unrolled: 2-line block ×9, first 2 shown]
	ds_read_b32 v17, v61 offset:4
	v_cndmask_b32_e32 v4, v4, v12, vcc
	v_cmp_eq_u32_e32 vcc, 11, v18
	v_cndmask_b32_e32 v4, v4, v13, vcc
	v_cmp_eq_u32_e32 vcc, 12, v18
	;; [unrolled: 2-line block ×3, first 2 shown]
	s_waitcnt vmcnt(0)
	v_cndmask_b32_e32 v4, v4, v15, vcc
	s_waitcnt lgkmcnt(0)
	v_fmac_f32_e32 v16, v4, v17
.LBB77_207:
	s_or_b64 exec, exec, s[6:7]
	v_mov_b32_e32 v4, 0
	ds_read_b32 v4, v4 offset:8
	s_waitcnt lgkmcnt(0)
	v_mul_f32_e32 v4, v16, v4
.LBB77_208:
	s_or_b64 exec, exec, s[4:5]
	v_cmp_gt_u32_e64 s[4:5], 3, v0
	s_waitcnt vmcnt(11)
	ds_write_b32 v61, v5
	s_waitcnt lgkmcnt(0)
	; wave barrier
	s_waitcnt lgkmcnt(0)
	s_and_saveexec_b64 s[6:7], s[4:5]
	s_cbranch_execz .LBB77_216
; %bb.209:
	s_and_b64 vcc, exec, s[0:1]
	s_cbranch_vccnz .LBB77_211
; %bb.210:
	v_cmp_eq_u32_e32 vcc, 1, v0
	s_waitcnt vmcnt(1)
	v_cndmask_b32_e32 v16, v2, v3, vcc
	v_cmp_eq_u32_e32 vcc, 2, v0
	v_cndmask_b32_e32 v16, v16, v4, vcc
	v_cmp_eq_u32_e32 vcc, 3, v0
	;; [unrolled: 2-line block ×9, first 2 shown]
	ds_read_b32 v17, v61
	v_cndmask_b32_e32 v16, v16, v12, vcc
	v_cmp_eq_u32_e32 vcc, 11, v0
	v_cndmask_b32_e32 v16, v16, v13, vcc
	v_cmp_eq_u32_e32 vcc, 12, v0
	;; [unrolled: 2-line block ×3, first 2 shown]
	s_waitcnt vmcnt(0)
	v_cndmask_b32_e32 v16, v16, v15, vcc
	s_waitcnt lgkmcnt(0)
	v_mul_f32_e32 v16, v16, v17
	s_cbranch_execz .LBB77_212
	s_branch .LBB77_213
.LBB77_211:
                                        ; implicit-def: $vgpr16
.LBB77_212:
	ds_read_b32 v16, v61
.LBB77_213:
	v_cmp_ne_u32_e32 vcc, 2, v0
	s_and_saveexec_b64 s[8:9], vcc
	s_cbranch_execz .LBB77_215
; %bb.214:
	v_cmp_eq_u32_e32 vcc, 1, v18
	s_waitcnt vmcnt(1)
	v_cndmask_b32_e32 v17, v2, v3, vcc
	v_cmp_eq_u32_e32 vcc, 2, v18
	v_cndmask_b32_e32 v17, v17, v4, vcc
	v_cmp_eq_u32_e32 vcc, 3, v18
	;; [unrolled: 2-line block ×9, first 2 shown]
	v_mov_b32_e32 v17, 0
	v_cndmask_b32_e32 v5, v5, v12, vcc
	v_cmp_eq_u32_e32 vcc, 11, v18
	ds_read_b32 v19, v61 offset:4
	ds_read_b32 v17, v17 offset:72
	v_cndmask_b32_e32 v5, v5, v13, vcc
	v_cmp_eq_u32_e32 vcc, 12, v18
	v_cndmask_b32_e32 v5, v5, v14, vcc
	v_cmp_eq_u32_e32 vcc, 13, v18
	s_waitcnt vmcnt(0)
	v_cndmask_b32_e32 v5, v5, v15, vcc
	s_waitcnt lgkmcnt(1)
	v_fmac_f32_e32 v16, v5, v19
	s_waitcnt lgkmcnt(0)
	v_fma_f32 v5, v4, v17, v16
	v_cndmask_b32_e64 v16, v16, v5, s[2:3]
.LBB77_215:
	s_or_b64 exec, exec, s[8:9]
	v_mov_b32_e32 v5, 0
	ds_read_b32 v5, v5 offset:12
	s_waitcnt lgkmcnt(0)
	v_mul_f32_e32 v5, v16, v5
.LBB77_216:
	s_or_b64 exec, exec, s[6:7]
	v_cmp_gt_u32_e32 vcc, 4, v0
	s_waitcnt vmcnt(10)
	ds_write_b32 v61, v6
	s_waitcnt lgkmcnt(0)
	; wave barrier
	s_waitcnt lgkmcnt(0)
	s_and_saveexec_b64 s[8:9], vcc
	s_cbranch_execz .LBB77_226
; %bb.217:
	s_and_b64 vcc, exec, s[0:1]
	s_cbranch_vccnz .LBB77_219
; %bb.218:
	v_cmp_eq_u32_e32 vcc, 1, v0
	s_waitcnt vmcnt(1)
	v_cndmask_b32_e32 v16, v2, v3, vcc
	v_cmp_eq_u32_e32 vcc, 2, v0
	v_cndmask_b32_e32 v16, v16, v4, vcc
	v_cmp_eq_u32_e32 vcc, 3, v0
	;; [unrolled: 2-line block ×9, first 2 shown]
	ds_read_b32 v17, v61
	v_cndmask_b32_e32 v16, v16, v12, vcc
	v_cmp_eq_u32_e32 vcc, 11, v0
	v_cndmask_b32_e32 v16, v16, v13, vcc
	v_cmp_eq_u32_e32 vcc, 12, v0
	;; [unrolled: 2-line block ×3, first 2 shown]
	s_waitcnt vmcnt(0)
	v_cndmask_b32_e32 v16, v16, v15, vcc
	s_waitcnt lgkmcnt(0)
	v_mul_f32_e32 v19, v16, v17
	s_cbranch_execz .LBB77_220
	s_branch .LBB77_221
.LBB77_219:
                                        ; implicit-def: $vgpr19
.LBB77_220:
	ds_read_b32 v19, v61
.LBB77_221:
	v_cmp_ne_u32_e32 vcc, 3, v0
	s_and_saveexec_b64 s[10:11], vcc
	s_cbranch_execz .LBB77_225
; %bb.222:
	v_mov_b32_e32 v16, 0x44
	v_lshl_add_u32 v20, v0, 2, v16
	s_mov_b64 s[12:13], 0
	v_pk_mov_b32 v[16:17], v[0:1], v[0:1] op_sel:[0,1]
.LBB77_223:                             ; =>This Inner Loop Header: Depth=1
	v_add_co_u32_e32 v16, vcc, 1, v16
	v_addc_co_u32_e32 v17, vcc, 0, v17, vcc
	v_cmp_eq_u32_e32 vcc, 1, v16
	s_waitcnt vmcnt(1)
	v_cndmask_b32_e32 v22, v2, v3, vcc
	v_cmp_lt_u32_e32 vcc, 2, v16
	v_cmp_eq_u32_e64 s[6:7], 2, v16
	v_cndmask_b32_e64 v22, v22, v4, s[6:7]
	s_or_b64 s[12:13], vcc, s[12:13]
	v_cmp_eq_u32_e32 vcc, 3, v16
	v_cndmask_b32_e32 v22, v22, v5, vcc
	v_cmp_eq_u32_e32 vcc, 4, v16
	v_cndmask_b32_e32 v22, v22, v6, vcc
	;; [unrolled: 2-line block ×6, first 2 shown]
	v_cmp_eq_u32_e32 vcc, 9, v16
	ds_read_b32 v21, v20
	v_cndmask_b32_e32 v22, v22, v11, vcc
	v_cmp_eq_u32_e32 vcc, 10, v16
	v_cndmask_b32_e32 v22, v22, v12, vcc
	v_cmp_eq_u32_e32 vcc, 11, v16
	;; [unrolled: 2-line block ×4, first 2 shown]
	s_waitcnt vmcnt(0)
	v_cndmask_b32_e32 v22, v22, v15, vcc
	v_add_u32_e32 v20, 4, v20
	s_waitcnt lgkmcnt(0)
	v_fmac_f32_e32 v19, v22, v21
	s_andn2_b64 exec, exec, s[12:13]
	s_cbranch_execnz .LBB77_223
; %bb.224:
	s_or_b64 exec, exec, s[12:13]
.LBB77_225:
	s_or_b64 exec, exec, s[10:11]
	v_mov_b32_e32 v6, 0
	ds_read_b32 v6, v6 offset:16
	s_waitcnt lgkmcnt(0)
	v_mul_f32_e32 v6, v19, v6
.LBB77_226:
	s_or_b64 exec, exec, s[8:9]
	v_cmp_gt_u32_e64 s[6:7], 5, v0
	s_waitcnt vmcnt(9)
	ds_write_b32 v61, v7
	s_waitcnt lgkmcnt(0)
	; wave barrier
	s_waitcnt lgkmcnt(0)
	s_and_saveexec_b64 s[10:11], s[6:7]
	s_cbranch_execz .LBB77_236
; %bb.227:
	s_and_b64 vcc, exec, s[0:1]
	s_cbranch_vccnz .LBB77_229
; %bb.228:
	v_cmp_eq_u32_e32 vcc, 1, v0
	s_waitcnt vmcnt(1)
	v_cndmask_b32_e32 v16, v2, v3, vcc
	v_cmp_eq_u32_e32 vcc, 2, v0
	v_cndmask_b32_e32 v16, v16, v4, vcc
	v_cmp_eq_u32_e32 vcc, 3, v0
	;; [unrolled: 2-line block ×9, first 2 shown]
	ds_read_b32 v17, v61
	v_cndmask_b32_e32 v16, v16, v12, vcc
	v_cmp_eq_u32_e32 vcc, 11, v0
	v_cndmask_b32_e32 v16, v16, v13, vcc
	v_cmp_eq_u32_e32 vcc, 12, v0
	v_cndmask_b32_e32 v16, v16, v14, vcc
	v_cmp_eq_u32_e32 vcc, 13, v0
	s_waitcnt vmcnt(0)
	v_cndmask_b32_e32 v16, v16, v15, vcc
	s_waitcnt lgkmcnt(0)
	v_mul_f32_e32 v19, v16, v17
	s_cbranch_execz .LBB77_230
	s_branch .LBB77_231
.LBB77_229:
                                        ; implicit-def: $vgpr19
.LBB77_230:
	ds_read_b32 v19, v61
.LBB77_231:
	v_cmp_ne_u32_e32 vcc, 4, v0
	s_and_saveexec_b64 s[12:13], vcc
	s_cbranch_execz .LBB77_235
; %bb.232:
	v_mov_b32_e32 v16, 0x44
	v_lshl_add_u32 v20, v0, 2, v16
	s_mov_b64 s[14:15], 0
	v_pk_mov_b32 v[16:17], v[0:1], v[0:1] op_sel:[0,1]
.LBB77_233:                             ; =>This Inner Loop Header: Depth=1
	v_add_co_u32_e32 v16, vcc, 1, v16
	v_addc_co_u32_e32 v17, vcc, 0, v17, vcc
	v_cmp_eq_u32_e32 vcc, 1, v16
	s_waitcnt vmcnt(1)
	v_cndmask_b32_e32 v22, v2, v3, vcc
	v_cmp_lt_u32_e32 vcc, 3, v16
	v_cmp_eq_u32_e64 s[8:9], 2, v16
	v_cndmask_b32_e64 v22, v22, v4, s[8:9]
	s_or_b64 s[14:15], vcc, s[14:15]
	v_cmp_eq_u32_e32 vcc, 3, v16
	v_cndmask_b32_e32 v22, v22, v5, vcc
	v_cmp_eq_u32_e32 vcc, 4, v16
	v_cndmask_b32_e32 v22, v22, v6, vcc
	;; [unrolled: 2-line block ×6, first 2 shown]
	v_cmp_eq_u32_e32 vcc, 9, v16
	ds_read_b32 v21, v20
	v_cndmask_b32_e32 v22, v22, v11, vcc
	v_cmp_eq_u32_e32 vcc, 10, v16
	v_cndmask_b32_e32 v22, v22, v12, vcc
	v_cmp_eq_u32_e32 vcc, 11, v16
	;; [unrolled: 2-line block ×4, first 2 shown]
	s_waitcnt vmcnt(0)
	v_cndmask_b32_e32 v22, v22, v15, vcc
	v_add_u32_e32 v20, 4, v20
	s_waitcnt lgkmcnt(0)
	v_fmac_f32_e32 v19, v22, v21
	s_andn2_b64 exec, exec, s[14:15]
	s_cbranch_execnz .LBB77_233
; %bb.234:
	s_or_b64 exec, exec, s[14:15]
.LBB77_235:
	s_or_b64 exec, exec, s[12:13]
	v_mov_b32_e32 v7, 0
	ds_read_b32 v7, v7 offset:20
	s_waitcnt lgkmcnt(0)
	v_mul_f32_e32 v7, v19, v7
.LBB77_236:
	s_or_b64 exec, exec, s[10:11]
	v_cmp_gt_u32_e32 vcc, 6, v0
	s_waitcnt vmcnt(8)
	ds_write_b32 v61, v8
	s_waitcnt lgkmcnt(0)
	; wave barrier
	s_waitcnt lgkmcnt(0)
	s_and_saveexec_b64 s[10:11], vcc
	s_cbranch_execz .LBB77_246
; %bb.237:
	s_and_b64 vcc, exec, s[0:1]
	s_cbranch_vccnz .LBB77_239
; %bb.238:
	v_cmp_eq_u32_e32 vcc, 1, v0
	s_waitcnt vmcnt(1)
	v_cndmask_b32_e32 v16, v2, v3, vcc
	v_cmp_eq_u32_e32 vcc, 2, v0
	v_cndmask_b32_e32 v16, v16, v4, vcc
	v_cmp_eq_u32_e32 vcc, 3, v0
	;; [unrolled: 2-line block ×9, first 2 shown]
	ds_read_b32 v17, v61
	v_cndmask_b32_e32 v16, v16, v12, vcc
	v_cmp_eq_u32_e32 vcc, 11, v0
	v_cndmask_b32_e32 v16, v16, v13, vcc
	v_cmp_eq_u32_e32 vcc, 12, v0
	;; [unrolled: 2-line block ×3, first 2 shown]
	s_waitcnt vmcnt(0)
	v_cndmask_b32_e32 v16, v16, v15, vcc
	s_waitcnt lgkmcnt(0)
	v_mul_f32_e32 v19, v16, v17
	s_cbranch_execz .LBB77_240
	s_branch .LBB77_241
.LBB77_239:
                                        ; implicit-def: $vgpr19
.LBB77_240:
	ds_read_b32 v19, v61
.LBB77_241:
	v_cmp_ne_u32_e32 vcc, 5, v0
	s_and_saveexec_b64 s[12:13], vcc
	s_cbranch_execz .LBB77_245
; %bb.242:
	v_mov_b32_e32 v16, 0x44
	v_lshl_add_u32 v20, v0, 2, v16
	s_mov_b64 s[14:15], 0
	v_pk_mov_b32 v[16:17], v[0:1], v[0:1] op_sel:[0,1]
.LBB77_243:                             ; =>This Inner Loop Header: Depth=1
	v_add_co_u32_e32 v16, vcc, 1, v16
	v_addc_co_u32_e32 v17, vcc, 0, v17, vcc
	v_cmp_eq_u32_e32 vcc, 1, v16
	s_waitcnt vmcnt(1)
	v_cndmask_b32_e32 v22, v2, v3, vcc
	v_cmp_lt_u32_e32 vcc, 4, v16
	v_cmp_eq_u32_e64 s[8:9], 2, v16
	v_cndmask_b32_e64 v22, v22, v4, s[8:9]
	s_or_b64 s[14:15], vcc, s[14:15]
	v_cmp_eq_u32_e32 vcc, 3, v16
	v_cndmask_b32_e32 v22, v22, v5, vcc
	v_cmp_eq_u32_e32 vcc, 4, v16
	v_cndmask_b32_e32 v22, v22, v6, vcc
	;; [unrolled: 2-line block ×6, first 2 shown]
	v_cmp_eq_u32_e32 vcc, 9, v16
	ds_read_b32 v21, v20
	v_cndmask_b32_e32 v22, v22, v11, vcc
	v_cmp_eq_u32_e32 vcc, 10, v16
	v_cndmask_b32_e32 v22, v22, v12, vcc
	v_cmp_eq_u32_e32 vcc, 11, v16
	;; [unrolled: 2-line block ×4, first 2 shown]
	s_waitcnt vmcnt(0)
	v_cndmask_b32_e32 v22, v22, v15, vcc
	v_add_u32_e32 v20, 4, v20
	s_waitcnt lgkmcnt(0)
	v_fmac_f32_e32 v19, v22, v21
	s_andn2_b64 exec, exec, s[14:15]
	s_cbranch_execnz .LBB77_243
; %bb.244:
	s_or_b64 exec, exec, s[14:15]
.LBB77_245:
	s_or_b64 exec, exec, s[12:13]
	v_mov_b32_e32 v8, 0
	ds_read_b32 v8, v8 offset:24
	s_waitcnt lgkmcnt(0)
	v_mul_f32_e32 v8, v19, v8
.LBB77_246:
	s_or_b64 exec, exec, s[10:11]
	v_cmp_gt_u32_e64 s[8:9], 7, v0
	s_waitcnt vmcnt(7)
	ds_write_b32 v61, v9
	s_waitcnt lgkmcnt(0)
	; wave barrier
	s_waitcnt lgkmcnt(0)
	s_and_saveexec_b64 s[12:13], s[8:9]
	s_cbranch_execz .LBB77_256
; %bb.247:
	s_and_b64 vcc, exec, s[0:1]
	s_cbranch_vccnz .LBB77_249
; %bb.248:
	v_cmp_eq_u32_e32 vcc, 1, v0
	s_waitcnt vmcnt(1)
	v_cndmask_b32_e32 v16, v2, v3, vcc
	v_cmp_eq_u32_e32 vcc, 2, v0
	v_cndmask_b32_e32 v16, v16, v4, vcc
	v_cmp_eq_u32_e32 vcc, 3, v0
	;; [unrolled: 2-line block ×9, first 2 shown]
	ds_read_b32 v17, v61
	v_cndmask_b32_e32 v16, v16, v12, vcc
	v_cmp_eq_u32_e32 vcc, 11, v0
	v_cndmask_b32_e32 v16, v16, v13, vcc
	v_cmp_eq_u32_e32 vcc, 12, v0
	v_cndmask_b32_e32 v16, v16, v14, vcc
	v_cmp_eq_u32_e32 vcc, 13, v0
	s_waitcnt vmcnt(0)
	v_cndmask_b32_e32 v16, v16, v15, vcc
	s_waitcnt lgkmcnt(0)
	v_mul_f32_e32 v19, v16, v17
	s_cbranch_execz .LBB77_250
	s_branch .LBB77_251
.LBB77_249:
                                        ; implicit-def: $vgpr19
.LBB77_250:
	ds_read_b32 v19, v61
.LBB77_251:
	v_cmp_ne_u32_e32 vcc, 6, v0
	s_and_saveexec_b64 s[14:15], vcc
	s_cbranch_execz .LBB77_255
; %bb.252:
	v_mov_b32_e32 v16, 0x44
	v_lshl_add_u32 v20, v0, 2, v16
	s_mov_b64 s[16:17], 0
	v_pk_mov_b32 v[16:17], v[0:1], v[0:1] op_sel:[0,1]
.LBB77_253:                             ; =>This Inner Loop Header: Depth=1
	v_add_co_u32_e32 v16, vcc, 1, v16
	v_addc_co_u32_e32 v17, vcc, 0, v17, vcc
	v_cmp_eq_u32_e32 vcc, 1, v16
	s_waitcnt vmcnt(1)
	v_cndmask_b32_e32 v22, v2, v3, vcc
	v_cmp_lt_u32_e32 vcc, 5, v16
	v_cmp_eq_u32_e64 s[10:11], 2, v16
	v_cndmask_b32_e64 v22, v22, v4, s[10:11]
	s_or_b64 s[16:17], vcc, s[16:17]
	v_cmp_eq_u32_e32 vcc, 3, v16
	v_cndmask_b32_e32 v22, v22, v5, vcc
	v_cmp_eq_u32_e32 vcc, 4, v16
	v_cndmask_b32_e32 v22, v22, v6, vcc
	;; [unrolled: 2-line block ×6, first 2 shown]
	v_cmp_eq_u32_e32 vcc, 9, v16
	ds_read_b32 v21, v20
	v_cndmask_b32_e32 v22, v22, v11, vcc
	v_cmp_eq_u32_e32 vcc, 10, v16
	v_cndmask_b32_e32 v22, v22, v12, vcc
	v_cmp_eq_u32_e32 vcc, 11, v16
	;; [unrolled: 2-line block ×4, first 2 shown]
	s_waitcnt vmcnt(0)
	v_cndmask_b32_e32 v22, v22, v15, vcc
	v_add_u32_e32 v20, 4, v20
	s_waitcnt lgkmcnt(0)
	v_fmac_f32_e32 v19, v22, v21
	s_andn2_b64 exec, exec, s[16:17]
	s_cbranch_execnz .LBB77_253
; %bb.254:
	s_or_b64 exec, exec, s[16:17]
.LBB77_255:
	s_or_b64 exec, exec, s[14:15]
	v_mov_b32_e32 v9, 0
	ds_read_b32 v9, v9 offset:28
	s_waitcnt lgkmcnt(0)
	v_mul_f32_e32 v9, v19, v9
.LBB77_256:
	s_or_b64 exec, exec, s[12:13]
	v_cmp_gt_u32_e32 vcc, 8, v0
	s_waitcnt vmcnt(6)
	ds_write_b32 v61, v10
	s_waitcnt lgkmcnt(0)
	; wave barrier
	s_waitcnt lgkmcnt(0)
	s_and_saveexec_b64 s[12:13], vcc
	s_cbranch_execz .LBB77_266
; %bb.257:
	s_and_b64 vcc, exec, s[0:1]
	s_cbranch_vccnz .LBB77_259
; %bb.258:
	v_cmp_eq_u32_e32 vcc, 1, v0
	s_waitcnt vmcnt(1)
	v_cndmask_b32_e32 v16, v2, v3, vcc
	v_cmp_eq_u32_e32 vcc, 2, v0
	v_cndmask_b32_e32 v16, v16, v4, vcc
	v_cmp_eq_u32_e32 vcc, 3, v0
	;; [unrolled: 2-line block ×9, first 2 shown]
	ds_read_b32 v17, v61
	v_cndmask_b32_e32 v16, v16, v12, vcc
	v_cmp_eq_u32_e32 vcc, 11, v0
	v_cndmask_b32_e32 v16, v16, v13, vcc
	v_cmp_eq_u32_e32 vcc, 12, v0
	v_cndmask_b32_e32 v16, v16, v14, vcc
	v_cmp_eq_u32_e32 vcc, 13, v0
	s_waitcnt vmcnt(0)
	v_cndmask_b32_e32 v16, v16, v15, vcc
	s_waitcnt lgkmcnt(0)
	v_mul_f32_e32 v19, v16, v17
	s_cbranch_execz .LBB77_260
	s_branch .LBB77_261
.LBB77_259:
                                        ; implicit-def: $vgpr19
.LBB77_260:
	ds_read_b32 v19, v61
.LBB77_261:
	v_cmp_ne_u32_e32 vcc, 7, v0
	s_and_saveexec_b64 s[14:15], vcc
	s_cbranch_execz .LBB77_265
; %bb.262:
	v_mov_b32_e32 v16, 0x44
	v_lshl_add_u32 v20, v0, 2, v16
	s_mov_b64 s[16:17], 0
	v_pk_mov_b32 v[16:17], v[0:1], v[0:1] op_sel:[0,1]
.LBB77_263:                             ; =>This Inner Loop Header: Depth=1
	v_add_co_u32_e32 v16, vcc, 1, v16
	v_addc_co_u32_e32 v17, vcc, 0, v17, vcc
	v_cmp_eq_u32_e32 vcc, 1, v16
	s_waitcnt vmcnt(1)
	v_cndmask_b32_e32 v22, v2, v3, vcc
	v_cmp_lt_u32_e32 vcc, 6, v16
	v_cmp_eq_u32_e64 s[10:11], 2, v16
	v_cndmask_b32_e64 v22, v22, v4, s[10:11]
	s_or_b64 s[16:17], vcc, s[16:17]
	v_cmp_eq_u32_e32 vcc, 3, v16
	v_cndmask_b32_e32 v22, v22, v5, vcc
	v_cmp_eq_u32_e32 vcc, 4, v16
	v_cndmask_b32_e32 v22, v22, v6, vcc
	;; [unrolled: 2-line block ×6, first 2 shown]
	v_cmp_eq_u32_e32 vcc, 9, v16
	ds_read_b32 v21, v20
	v_cndmask_b32_e32 v22, v22, v11, vcc
	v_cmp_eq_u32_e32 vcc, 10, v16
	v_cndmask_b32_e32 v22, v22, v12, vcc
	v_cmp_eq_u32_e32 vcc, 11, v16
	;; [unrolled: 2-line block ×4, first 2 shown]
	s_waitcnt vmcnt(0)
	v_cndmask_b32_e32 v22, v22, v15, vcc
	v_add_u32_e32 v20, 4, v20
	s_waitcnt lgkmcnt(0)
	v_fmac_f32_e32 v19, v22, v21
	s_andn2_b64 exec, exec, s[16:17]
	s_cbranch_execnz .LBB77_263
; %bb.264:
	s_or_b64 exec, exec, s[16:17]
.LBB77_265:
	s_or_b64 exec, exec, s[14:15]
	v_mov_b32_e32 v10, 0
	ds_read_b32 v10, v10 offset:32
	s_waitcnt lgkmcnt(0)
	v_mul_f32_e32 v10, v19, v10
.LBB77_266:
	s_or_b64 exec, exec, s[12:13]
	v_cmp_gt_u32_e32 vcc, 9, v0
	s_waitcnt vmcnt(5)
	ds_write_b32 v61, v11
	s_waitcnt lgkmcnt(0)
	; wave barrier
	s_waitcnt lgkmcnt(0)
	s_and_saveexec_b64 s[10:11], vcc
	s_cbranch_execz .LBB77_288
; %bb.267:
	s_and_b64 vcc, exec, s[0:1]
	s_cbranch_vccnz .LBB77_269
; %bb.268:
	v_cmp_eq_u32_e32 vcc, 1, v0
	s_waitcnt vmcnt(1)
	v_cndmask_b32_e32 v16, v2, v3, vcc
	v_cmp_eq_u32_e32 vcc, 2, v0
	v_cndmask_b32_e32 v16, v16, v4, vcc
	v_cmp_eq_u32_e32 vcc, 3, v0
	;; [unrolled: 2-line block ×9, first 2 shown]
	ds_read_b32 v17, v61
	v_cndmask_b32_e32 v16, v16, v12, vcc
	v_cmp_eq_u32_e32 vcc, 11, v0
	v_cndmask_b32_e32 v16, v16, v13, vcc
	v_cmp_eq_u32_e32 vcc, 12, v0
	;; [unrolled: 2-line block ×3, first 2 shown]
	s_waitcnt vmcnt(0)
	v_cndmask_b32_e32 v16, v16, v15, vcc
	s_waitcnt lgkmcnt(0)
	v_mul_f32_e32 v16, v16, v17
	s_cbranch_execz .LBB77_270
	s_branch .LBB77_271
.LBB77_269:
                                        ; implicit-def: $vgpr16
.LBB77_270:
	ds_read_b32 v16, v61
.LBB77_271:
	v_cmp_ne_u32_e32 vcc, 8, v0
	s_and_saveexec_b64 s[12:13], vcc
	s_cbranch_execz .LBB77_287
; %bb.272:
	v_cmp_eq_u32_e32 vcc, 1, v18
	s_waitcnt vmcnt(1)
	v_cndmask_b32_e32 v17, v2, v3, vcc
	v_cmp_eq_u32_e32 vcc, 2, v18
	v_cndmask_b32_e32 v17, v17, v4, vcc
	v_cmp_eq_u32_e32 vcc, 3, v18
	;; [unrolled: 2-line block ×9, first 2 shown]
	ds_read_b32 v19, v61 offset:4
	v_cndmask_b32_e32 v17, v17, v12, vcc
	v_cmp_eq_u32_e32 vcc, 11, v18
	v_cndmask_b32_e32 v17, v17, v13, vcc
	v_cmp_eq_u32_e32 vcc, 12, v18
	;; [unrolled: 2-line block ×3, first 2 shown]
	s_waitcnt vmcnt(0)
	v_cndmask_b32_e32 v17, v17, v15, vcc
	s_waitcnt lgkmcnt(0)
	v_fmac_f32_e32 v16, v17, v19
	s_and_saveexec_b64 s[14:15], s[8:9]
	s_cbranch_execz .LBB77_286
; %bb.273:
	v_add_u32_e32 v17, 2, v0
	v_cmp_eq_u32_e32 vcc, 1, v17
	v_cndmask_b32_e32 v18, v2, v3, vcc
	v_cmp_eq_u32_e32 vcc, 2, v17
	v_cndmask_b32_e32 v18, v18, v4, vcc
	;; [unrolled: 2-line block ×9, first 2 shown]
	v_cmp_eq_u32_e32 vcc, 10, v17
	ds_read_b32 v19, v61 offset:8
	v_cndmask_b32_e32 v18, v18, v12, vcc
	v_cmp_eq_u32_e32 vcc, 11, v17
	v_cndmask_b32_e32 v18, v18, v13, vcc
	v_cmp_eq_u32_e32 vcc, 12, v17
	;; [unrolled: 2-line block ×3, first 2 shown]
	v_cndmask_b32_e32 v17, v18, v15, vcc
	s_waitcnt lgkmcnt(0)
	v_fmac_f32_e32 v16, v17, v19
	v_cmp_ne_u32_e32 vcc, 6, v0
	s_and_saveexec_b64 s[8:9], vcc
	s_cbranch_execz .LBB77_285
; %bb.274:
	v_add_u32_e32 v17, 3, v0
	v_cmp_eq_u32_e32 vcc, 1, v17
	v_cndmask_b32_e32 v18, v2, v3, vcc
	v_cmp_eq_u32_e32 vcc, 2, v17
	v_cndmask_b32_e32 v18, v18, v4, vcc
	;; [unrolled: 2-line block ×9, first 2 shown]
	v_cmp_eq_u32_e32 vcc, 10, v17
	ds_read_b32 v19, v61 offset:12
	v_cndmask_b32_e32 v18, v18, v12, vcc
	v_cmp_eq_u32_e32 vcc, 11, v17
	v_cndmask_b32_e32 v18, v18, v13, vcc
	v_cmp_eq_u32_e32 vcc, 12, v17
	;; [unrolled: 2-line block ×3, first 2 shown]
	v_cndmask_b32_e32 v17, v18, v15, vcc
	s_waitcnt lgkmcnt(0)
	v_fmac_f32_e32 v16, v17, v19
	s_and_saveexec_b64 s[16:17], s[6:7]
	s_cbranch_execz .LBB77_284
; %bb.275:
	v_add_u32_e32 v17, 4, v0
	v_cmp_eq_u32_e32 vcc, 1, v17
	v_cndmask_b32_e32 v18, v2, v3, vcc
	v_cmp_eq_u32_e32 vcc, 2, v17
	v_cndmask_b32_e32 v18, v18, v4, vcc
	;; [unrolled: 2-line block ×9, first 2 shown]
	v_cmp_eq_u32_e32 vcc, 10, v17
	ds_read_b32 v19, v61 offset:16
	v_cndmask_b32_e32 v18, v18, v12, vcc
	v_cmp_eq_u32_e32 vcc, 11, v17
	v_cndmask_b32_e32 v18, v18, v13, vcc
	v_cmp_eq_u32_e32 vcc, 12, v17
	;; [unrolled: 2-line block ×3, first 2 shown]
	v_cndmask_b32_e32 v17, v18, v15, vcc
	s_waitcnt lgkmcnt(0)
	v_fmac_f32_e32 v16, v17, v19
	v_cmp_ne_u32_e32 vcc, 4, v0
	s_and_saveexec_b64 s[6:7], vcc
	s_cbranch_execz .LBB77_283
; %bb.276:
	v_add_u32_e32 v17, 5, v0
	v_cmp_eq_u32_e32 vcc, 1, v17
	v_cndmask_b32_e32 v18, v2, v3, vcc
	v_cmp_eq_u32_e32 vcc, 2, v17
	v_cndmask_b32_e32 v18, v18, v4, vcc
	;; [unrolled: 2-line block ×9, first 2 shown]
	v_cmp_eq_u32_e32 vcc, 10, v17
	ds_read_b32 v19, v61 offset:20
	v_cndmask_b32_e32 v18, v18, v12, vcc
	v_cmp_eq_u32_e32 vcc, 11, v17
	v_cndmask_b32_e32 v18, v18, v13, vcc
	v_cmp_eq_u32_e32 vcc, 12, v17
	;; [unrolled: 2-line block ×3, first 2 shown]
	v_cndmask_b32_e32 v17, v18, v15, vcc
	s_waitcnt lgkmcnt(0)
	v_fmac_f32_e32 v16, v17, v19
	s_and_saveexec_b64 s[18:19], s[4:5]
	s_cbranch_execz .LBB77_282
; %bb.277:
	v_add_u32_e32 v17, 6, v0
	v_cmp_eq_u32_e32 vcc, 1, v17
	v_cndmask_b32_e32 v18, v2, v3, vcc
	v_cmp_eq_u32_e32 vcc, 2, v17
	v_cndmask_b32_e32 v18, v18, v4, vcc
	;; [unrolled: 2-line block ×9, first 2 shown]
	v_cmp_eq_u32_e32 vcc, 10, v17
	ds_read_b32 v19, v61 offset:24
	v_cndmask_b32_e32 v18, v18, v12, vcc
	v_cmp_eq_u32_e32 vcc, 11, v17
	v_cndmask_b32_e32 v18, v18, v13, vcc
	v_cmp_eq_u32_e32 vcc, 12, v17
	;; [unrolled: 2-line block ×3, first 2 shown]
	v_cndmask_b32_e32 v17, v18, v15, vcc
	s_waitcnt lgkmcnt(0)
	v_fmac_f32_e32 v16, v17, v19
	v_cmp_ne_u32_e32 vcc, 2, v0
	s_and_saveexec_b64 s[4:5], vcc
	s_cbranch_execz .LBB77_281
; %bb.278:
	v_add_u32_e32 v17, 7, v0
	v_cmp_eq_u32_e32 vcc, 1, v17
	v_cndmask_b32_e32 v18, v2, v3, vcc
	v_cmp_eq_u32_e32 vcc, 2, v17
	v_cndmask_b32_e32 v18, v18, v4, vcc
	;; [unrolled: 2-line block ×9, first 2 shown]
	v_cmp_eq_u32_e32 vcc, 10, v17
	ds_read_b32 v18, v61 offset:28
	v_cndmask_b32_e32 v11, v11, v12, vcc
	v_cmp_eq_u32_e32 vcc, 11, v17
	v_cndmask_b32_e32 v11, v11, v13, vcc
	v_cmp_eq_u32_e32 vcc, 12, v17
	;; [unrolled: 2-line block ×3, first 2 shown]
	v_cndmask_b32_e32 v11, v11, v15, vcc
	s_waitcnt lgkmcnt(0)
	v_fmac_f32_e32 v16, v11, v18
	s_and_saveexec_b64 s[20:21], s[2:3]
	s_cbranch_execz .LBB77_280
; %bb.279:
	ds_read_b32 v11, v61 offset:32
	s_waitcnt lgkmcnt(0)
	v_fmac_f32_e32 v16, v10, v11
.LBB77_280:
	s_or_b64 exec, exec, s[20:21]
.LBB77_281:
	s_or_b64 exec, exec, s[4:5]
.LBB77_282:
	s_or_b64 exec, exec, s[18:19]
.LBB77_283:
	s_or_b64 exec, exec, s[6:7]
.LBB77_284:
	s_or_b64 exec, exec, s[16:17]
.LBB77_285:
	s_or_b64 exec, exec, s[8:9]
.LBB77_286:
	s_or_b64 exec, exec, s[14:15]
.LBB77_287:
	s_or_b64 exec, exec, s[12:13]
	v_mov_b32_e32 v11, 0
	ds_read_b32 v11, v11 offset:36
	s_waitcnt lgkmcnt(0)
	v_mul_f32_e32 v11, v16, v11
.LBB77_288:
	s_or_b64 exec, exec, s[10:11]
	v_cmp_gt_u32_e32 vcc, 10, v0
	s_waitcnt vmcnt(4)
	ds_write_b32 v61, v12
	s_waitcnt lgkmcnt(0)
	; wave barrier
	s_waitcnt lgkmcnt(0)
	s_and_saveexec_b64 s[4:5], vcc
	s_cbranch_execz .LBB77_298
; %bb.289:
	s_and_b64 vcc, exec, s[0:1]
	s_cbranch_vccnz .LBB77_291
; %bb.290:
	v_cmp_eq_u32_e32 vcc, 1, v0
	s_waitcnt vmcnt(1)
	v_cndmask_b32_e32 v16, v2, v3, vcc
	v_cmp_eq_u32_e32 vcc, 2, v0
	v_cndmask_b32_e32 v16, v16, v4, vcc
	v_cmp_eq_u32_e32 vcc, 3, v0
	;; [unrolled: 2-line block ×9, first 2 shown]
	ds_read_b32 v17, v61
	v_cndmask_b32_e32 v16, v16, v12, vcc
	v_cmp_eq_u32_e32 vcc, 11, v0
	v_cndmask_b32_e32 v16, v16, v13, vcc
	v_cmp_eq_u32_e32 vcc, 12, v0
	;; [unrolled: 2-line block ×3, first 2 shown]
	s_waitcnt vmcnt(0)
	v_cndmask_b32_e32 v16, v16, v15, vcc
	s_waitcnt lgkmcnt(0)
	v_mul_f32_e32 v18, v16, v17
	s_cbranch_execz .LBB77_292
	s_branch .LBB77_293
.LBB77_291:
                                        ; implicit-def: $vgpr18
.LBB77_292:
	ds_read_b32 v18, v61
.LBB77_293:
	v_cmp_ne_u32_e32 vcc, 9, v0
	s_and_saveexec_b64 s[6:7], vcc
	s_cbranch_execz .LBB77_297
; %bb.294:
	v_mov_b32_e32 v16, 0x44
	v_lshl_add_u32 v19, v0, 2, v16
	s_mov_b64 s[8:9], 0
	v_pk_mov_b32 v[16:17], v[0:1], v[0:1] op_sel:[0,1]
.LBB77_295:                             ; =>This Inner Loop Header: Depth=1
	v_add_co_u32_e32 v16, vcc, 1, v16
	v_addc_co_u32_e32 v17, vcc, 0, v17, vcc
	v_cmp_eq_u32_e32 vcc, 1, v16
	s_waitcnt vmcnt(1)
	v_cndmask_b32_e32 v21, v2, v3, vcc
	v_cmp_lt_u32_e32 vcc, 8, v16
	v_cmp_eq_u32_e64 s[2:3], 2, v16
	v_cndmask_b32_e64 v21, v21, v4, s[2:3]
	s_or_b64 s[8:9], vcc, s[8:9]
	v_cmp_eq_u32_e32 vcc, 3, v16
	v_cndmask_b32_e32 v21, v21, v5, vcc
	v_cmp_eq_u32_e32 vcc, 4, v16
	v_cndmask_b32_e32 v21, v21, v6, vcc
	;; [unrolled: 2-line block ×6, first 2 shown]
	v_cmp_eq_u32_e32 vcc, 9, v16
	ds_read_b32 v20, v19
	v_cndmask_b32_e32 v21, v21, v11, vcc
	v_cmp_eq_u32_e32 vcc, 10, v16
	v_cndmask_b32_e32 v21, v21, v12, vcc
	v_cmp_eq_u32_e32 vcc, 11, v16
	;; [unrolled: 2-line block ×4, first 2 shown]
	s_waitcnt vmcnt(0)
	v_cndmask_b32_e32 v21, v21, v15, vcc
	v_add_u32_e32 v19, 4, v19
	s_waitcnt lgkmcnt(0)
	v_fmac_f32_e32 v18, v21, v20
	s_andn2_b64 exec, exec, s[8:9]
	s_cbranch_execnz .LBB77_295
; %bb.296:
	s_or_b64 exec, exec, s[8:9]
.LBB77_297:
	s_or_b64 exec, exec, s[6:7]
	v_mov_b32_e32 v12, 0
	ds_read_b32 v12, v12 offset:40
	s_waitcnt lgkmcnt(0)
	v_mul_f32_e32 v12, v18, v12
.LBB77_298:
	s_or_b64 exec, exec, s[4:5]
	v_cmp_gt_u32_e32 vcc, 11, v0
	s_waitcnt vmcnt(3)
	ds_write_b32 v61, v13
	s_waitcnt lgkmcnt(0)
	; wave barrier
	s_waitcnt lgkmcnt(0)
	s_and_saveexec_b64 s[4:5], vcc
	s_cbranch_execz .LBB77_308
; %bb.299:
	s_and_b64 vcc, exec, s[0:1]
	s_cbranch_vccnz .LBB77_301
; %bb.300:
	v_cmp_eq_u32_e32 vcc, 1, v0
	s_waitcnt vmcnt(1)
	v_cndmask_b32_e32 v16, v2, v3, vcc
	v_cmp_eq_u32_e32 vcc, 2, v0
	v_cndmask_b32_e32 v16, v16, v4, vcc
	v_cmp_eq_u32_e32 vcc, 3, v0
	;; [unrolled: 2-line block ×9, first 2 shown]
	ds_read_b32 v17, v61
	v_cndmask_b32_e32 v16, v16, v12, vcc
	v_cmp_eq_u32_e32 vcc, 11, v0
	v_cndmask_b32_e32 v16, v16, v13, vcc
	v_cmp_eq_u32_e32 vcc, 12, v0
	;; [unrolled: 2-line block ×3, first 2 shown]
	s_waitcnt vmcnt(0)
	v_cndmask_b32_e32 v16, v16, v15, vcc
	s_waitcnt lgkmcnt(0)
	v_mul_f32_e32 v18, v16, v17
	s_cbranch_execz .LBB77_302
	s_branch .LBB77_303
.LBB77_301:
                                        ; implicit-def: $vgpr18
.LBB77_302:
	ds_read_b32 v18, v61
.LBB77_303:
	v_cmp_ne_u32_e32 vcc, 10, v0
	s_and_saveexec_b64 s[6:7], vcc
	s_cbranch_execz .LBB77_307
; %bb.304:
	v_mov_b32_e32 v16, 0x44
	v_lshl_add_u32 v19, v0, 2, v16
	s_mov_b64 s[8:9], 0
	v_pk_mov_b32 v[16:17], v[0:1], v[0:1] op_sel:[0,1]
.LBB77_305:                             ; =>This Inner Loop Header: Depth=1
	v_add_co_u32_e32 v16, vcc, 1, v16
	v_addc_co_u32_e32 v17, vcc, 0, v17, vcc
	v_cmp_eq_u32_e32 vcc, 1, v16
	s_waitcnt vmcnt(1)
	v_cndmask_b32_e32 v21, v2, v3, vcc
	v_cmp_lt_u32_e32 vcc, 9, v16
	v_cmp_eq_u32_e64 s[2:3], 2, v16
	v_cndmask_b32_e64 v21, v21, v4, s[2:3]
	s_or_b64 s[8:9], vcc, s[8:9]
	v_cmp_eq_u32_e32 vcc, 3, v16
	v_cndmask_b32_e32 v21, v21, v5, vcc
	v_cmp_eq_u32_e32 vcc, 4, v16
	v_cndmask_b32_e32 v21, v21, v6, vcc
	;; [unrolled: 2-line block ×6, first 2 shown]
	v_cmp_eq_u32_e32 vcc, 9, v16
	ds_read_b32 v20, v19
	v_cndmask_b32_e32 v21, v21, v11, vcc
	v_cmp_eq_u32_e32 vcc, 10, v16
	v_cndmask_b32_e32 v21, v21, v12, vcc
	v_cmp_eq_u32_e32 vcc, 11, v16
	;; [unrolled: 2-line block ×4, first 2 shown]
	s_waitcnt vmcnt(0)
	v_cndmask_b32_e32 v21, v21, v15, vcc
	v_add_u32_e32 v19, 4, v19
	s_waitcnt lgkmcnt(0)
	v_fmac_f32_e32 v18, v21, v20
	s_andn2_b64 exec, exec, s[8:9]
	s_cbranch_execnz .LBB77_305
; %bb.306:
	s_or_b64 exec, exec, s[8:9]
.LBB77_307:
	s_or_b64 exec, exec, s[6:7]
	v_mov_b32_e32 v13, 0
	ds_read_b32 v13, v13 offset:44
	s_waitcnt lgkmcnt(0)
	v_mul_f32_e32 v13, v18, v13
.LBB77_308:
	s_or_b64 exec, exec, s[4:5]
	v_cmp_gt_u32_e64 s[2:3], 12, v0
	s_waitcnt vmcnt(2)
	ds_write_b32 v61, v14
	s_waitcnt lgkmcnt(0)
	; wave barrier
	s_waitcnt lgkmcnt(0)
	s_and_saveexec_b64 s[6:7], s[2:3]
	s_cbranch_execz .LBB77_318
; %bb.309:
	s_and_b64 vcc, exec, s[0:1]
	s_cbranch_vccnz .LBB77_311
; %bb.310:
	v_cmp_eq_u32_e32 vcc, 1, v0
	s_waitcnt vmcnt(1)
	v_cndmask_b32_e32 v16, v2, v3, vcc
	v_cmp_eq_u32_e32 vcc, 2, v0
	v_cndmask_b32_e32 v16, v16, v4, vcc
	v_cmp_eq_u32_e32 vcc, 3, v0
	;; [unrolled: 2-line block ×9, first 2 shown]
	ds_read_b32 v17, v61
	v_cndmask_b32_e32 v16, v16, v12, vcc
	v_cmp_eq_u32_e32 vcc, 11, v0
	v_cndmask_b32_e32 v16, v16, v13, vcc
	v_cmp_eq_u32_e32 vcc, 12, v0
	;; [unrolled: 2-line block ×3, first 2 shown]
	s_waitcnt vmcnt(0)
	v_cndmask_b32_e32 v16, v16, v15, vcc
	s_waitcnt lgkmcnt(0)
	v_mul_f32_e32 v18, v16, v17
	s_cbranch_execz .LBB77_312
	s_branch .LBB77_313
.LBB77_311:
                                        ; implicit-def: $vgpr18
.LBB77_312:
	ds_read_b32 v18, v61
.LBB77_313:
	v_cmp_ne_u32_e32 vcc, 11, v0
	s_and_saveexec_b64 s[8:9], vcc
	s_cbranch_execz .LBB77_317
; %bb.314:
	v_mov_b32_e32 v16, 0x44
	v_lshl_add_u32 v19, v0, 2, v16
	s_mov_b64 s[10:11], 0
	v_pk_mov_b32 v[16:17], v[0:1], v[0:1] op_sel:[0,1]
.LBB77_315:                             ; =>This Inner Loop Header: Depth=1
	v_add_co_u32_e32 v16, vcc, 1, v16
	v_addc_co_u32_e32 v17, vcc, 0, v17, vcc
	v_cmp_eq_u32_e32 vcc, 1, v16
	s_waitcnt vmcnt(1)
	v_cndmask_b32_e32 v21, v2, v3, vcc
	v_cmp_lt_u32_e32 vcc, 10, v16
	v_cmp_eq_u32_e64 s[4:5], 2, v16
	v_cndmask_b32_e64 v21, v21, v4, s[4:5]
	s_or_b64 s[10:11], vcc, s[10:11]
	v_cmp_eq_u32_e32 vcc, 3, v16
	v_cndmask_b32_e32 v21, v21, v5, vcc
	v_cmp_eq_u32_e32 vcc, 4, v16
	v_cndmask_b32_e32 v21, v21, v6, vcc
	;; [unrolled: 2-line block ×6, first 2 shown]
	v_cmp_eq_u32_e32 vcc, 9, v16
	ds_read_b32 v20, v19
	v_cndmask_b32_e32 v21, v21, v11, vcc
	v_cmp_eq_u32_e32 vcc, 10, v16
	v_cndmask_b32_e32 v21, v21, v12, vcc
	v_cmp_eq_u32_e32 vcc, 11, v16
	;; [unrolled: 2-line block ×4, first 2 shown]
	s_waitcnt vmcnt(0)
	v_cndmask_b32_e32 v21, v21, v15, vcc
	v_add_u32_e32 v19, 4, v19
	s_waitcnt lgkmcnt(0)
	v_fmac_f32_e32 v18, v21, v20
	s_andn2_b64 exec, exec, s[10:11]
	s_cbranch_execnz .LBB77_315
; %bb.316:
	s_or_b64 exec, exec, s[10:11]
.LBB77_317:
	s_or_b64 exec, exec, s[8:9]
	v_mov_b32_e32 v14, 0
	ds_read_b32 v14, v14 offset:48
	s_waitcnt lgkmcnt(0)
	v_mul_f32_e32 v14, v18, v14
.LBB77_318:
	s_or_b64 exec, exec, s[6:7]
	v_cmp_ne_u32_e32 vcc, 13, v0
	s_waitcnt vmcnt(0)
	ds_write_b32 v61, v15
	s_waitcnt lgkmcnt(0)
	; wave barrier
	s_waitcnt lgkmcnt(0)
	s_and_saveexec_b64 s[4:5], vcc
	s_cbranch_execz .LBB77_328
; %bb.319:
	s_and_b64 vcc, exec, s[0:1]
	s_cbranch_vccnz .LBB77_321
; %bb.320:
	v_cmp_eq_u32_e32 vcc, 1, v0
	v_cndmask_b32_e32 v16, v2, v3, vcc
	v_cmp_eq_u32_e32 vcc, 2, v0
	v_cndmask_b32_e32 v16, v16, v4, vcc
	;; [unrolled: 2-line block ×9, first 2 shown]
	v_cmp_eq_u32_e32 vcc, 10, v0
	ds_read_b32 v17, v61
	v_cndmask_b32_e32 v16, v16, v12, vcc
	v_cmp_eq_u32_e32 vcc, 11, v0
	v_cndmask_b32_e32 v16, v16, v13, vcc
	v_cmp_eq_u32_e32 vcc, 12, v0
	;; [unrolled: 2-line block ×3, first 2 shown]
	v_cndmask_b32_e32 v16, v16, v15, vcc
	s_waitcnt lgkmcnt(0)
	v_mul_f32_e32 v16, v16, v17
	s_cbranch_execz .LBB77_322
	s_branch .LBB77_323
.LBB77_321:
                                        ; implicit-def: $vgpr16
.LBB77_322:
	ds_read_b32 v16, v61
.LBB77_323:
	s_and_saveexec_b64 s[6:7], s[2:3]
	s_cbranch_execz .LBB77_327
; %bb.324:
	v_mov_b32_e32 v17, 0x44
	v_lshl_add_u32 v17, v0, 2, v17
	s_mov_b64 s[2:3], 0
.LBB77_325:                             ; =>This Inner Loop Header: Depth=1
	v_add_co_u32_e32 v0, vcc, 1, v0
	v_addc_co_u32_e32 v1, vcc, 0, v1, vcc
	v_cmp_eq_u32_e32 vcc, 1, v0
	v_cndmask_b32_e32 v19, v2, v3, vcc
	v_cmp_lt_u32_e32 vcc, 11, v0
	v_cmp_eq_u32_e64 s[0:1], 2, v0
	v_cndmask_b32_e64 v19, v19, v4, s[0:1]
	s_or_b64 s[2:3], vcc, s[2:3]
	v_cmp_eq_u32_e32 vcc, 3, v0
	v_cndmask_b32_e32 v19, v19, v5, vcc
	v_cmp_eq_u32_e32 vcc, 4, v0
	v_cndmask_b32_e32 v19, v19, v6, vcc
	;; [unrolled: 2-line block ×6, first 2 shown]
	v_cmp_eq_u32_e32 vcc, 9, v0
	ds_read_b32 v18, v17
	v_cndmask_b32_e32 v19, v19, v11, vcc
	v_cmp_eq_u32_e32 vcc, 10, v0
	v_cndmask_b32_e32 v19, v19, v12, vcc
	v_cmp_eq_u32_e32 vcc, 11, v0
	;; [unrolled: 2-line block ×4, first 2 shown]
	v_cndmask_b32_e32 v19, v19, v15, vcc
	v_add_u32_e32 v17, 4, v17
	s_waitcnt lgkmcnt(0)
	v_fmac_f32_e32 v16, v19, v18
	s_andn2_b64 exec, exec, s[2:3]
	s_cbranch_execnz .LBB77_325
; %bb.326:
	s_or_b64 exec, exec, s[2:3]
.LBB77_327:
	s_or_b64 exec, exec, s[6:7]
	v_mov_b32_e32 v0, 0
	ds_read_b32 v0, v0 offset:52
	s_waitcnt lgkmcnt(0)
	v_mul_f32_e32 v15, v16, v0
.LBB77_328:
	s_or_b64 exec, exec, s[4:5]
	v_pk_mov_b32 v[30:31], v[16:17], v[16:17] op_sel:[0,1]
	v_pk_mov_b32 v[28:29], v[14:15], v[14:15] op_sel:[0,1]
	;; [unrolled: 1-line block ×8, first 2 shown]
.LBB77_329:
	global_store_dword v[32:33], v16, off
	global_store_dword v[34:35], v17, off
	;; [unrolled: 1-line block ×14, first 2 shown]
.LBB77_330:
	s_endpgm
	.section	.rodata,"a",@progbits
	.p2align	6, 0x0
	.amdhsa_kernel _ZN9rocsolver6v33100L18trti2_kernel_smallILi14EfPKPfEEv13rocblas_fill_17rocblas_diagonal_T1_iil
		.amdhsa_group_segment_fixed_size 120
		.amdhsa_private_segment_fixed_size 0
		.amdhsa_kernarg_size 32
		.amdhsa_user_sgpr_count 6
		.amdhsa_user_sgpr_private_segment_buffer 1
		.amdhsa_user_sgpr_dispatch_ptr 0
		.amdhsa_user_sgpr_queue_ptr 0
		.amdhsa_user_sgpr_kernarg_segment_ptr 1
		.amdhsa_user_sgpr_dispatch_id 0
		.amdhsa_user_sgpr_flat_scratch_init 0
		.amdhsa_user_sgpr_kernarg_preload_length 0
		.amdhsa_user_sgpr_kernarg_preload_offset 0
		.amdhsa_user_sgpr_private_segment_size 0
		.amdhsa_uses_dynamic_stack 0
		.amdhsa_system_sgpr_private_segment_wavefront_offset 0
		.amdhsa_system_sgpr_workgroup_id_x 1
		.amdhsa_system_sgpr_workgroup_id_y 0
		.amdhsa_system_sgpr_workgroup_id_z 0
		.amdhsa_system_sgpr_workgroup_info 0
		.amdhsa_system_vgpr_workitem_id 0
		.amdhsa_next_free_vgpr 78
		.amdhsa_next_free_sgpr 36
		.amdhsa_accum_offset 80
		.amdhsa_reserve_vcc 1
		.amdhsa_reserve_flat_scratch 0
		.amdhsa_float_round_mode_32 0
		.amdhsa_float_round_mode_16_64 0
		.amdhsa_float_denorm_mode_32 3
		.amdhsa_float_denorm_mode_16_64 3
		.amdhsa_dx10_clamp 1
		.amdhsa_ieee_mode 1
		.amdhsa_fp16_overflow 0
		.amdhsa_tg_split 0
		.amdhsa_exception_fp_ieee_invalid_op 0
		.amdhsa_exception_fp_denorm_src 0
		.amdhsa_exception_fp_ieee_div_zero 0
		.amdhsa_exception_fp_ieee_overflow 0
		.amdhsa_exception_fp_ieee_underflow 0
		.amdhsa_exception_fp_ieee_inexact 0
		.amdhsa_exception_int_div_zero 0
	.end_amdhsa_kernel
	.section	.text._ZN9rocsolver6v33100L18trti2_kernel_smallILi14EfPKPfEEv13rocblas_fill_17rocblas_diagonal_T1_iil,"axG",@progbits,_ZN9rocsolver6v33100L18trti2_kernel_smallILi14EfPKPfEEv13rocblas_fill_17rocblas_diagonal_T1_iil,comdat
.Lfunc_end77:
	.size	_ZN9rocsolver6v33100L18trti2_kernel_smallILi14EfPKPfEEv13rocblas_fill_17rocblas_diagonal_T1_iil, .Lfunc_end77-_ZN9rocsolver6v33100L18trti2_kernel_smallILi14EfPKPfEEv13rocblas_fill_17rocblas_diagonal_T1_iil
                                        ; -- End function
	.section	.AMDGPU.csdata,"",@progbits
; Kernel info:
; codeLenInByte = 15448
; NumSgprs: 40
; NumVgprs: 78
; NumAgprs: 0
; TotalNumVgprs: 78
; ScratchSize: 0
; MemoryBound: 0
; FloatMode: 240
; IeeeMode: 1
; LDSByteSize: 120 bytes/workgroup (compile time only)
; SGPRBlocks: 4
; VGPRBlocks: 9
; NumSGPRsForWavesPerEU: 40
; NumVGPRsForWavesPerEU: 78
; AccumOffset: 80
; Occupancy: 6
; WaveLimiterHint : 1
; COMPUTE_PGM_RSRC2:SCRATCH_EN: 0
; COMPUTE_PGM_RSRC2:USER_SGPR: 6
; COMPUTE_PGM_RSRC2:TRAP_HANDLER: 0
; COMPUTE_PGM_RSRC2:TGID_X_EN: 1
; COMPUTE_PGM_RSRC2:TGID_Y_EN: 0
; COMPUTE_PGM_RSRC2:TGID_Z_EN: 0
; COMPUTE_PGM_RSRC2:TIDIG_COMP_CNT: 0
; COMPUTE_PGM_RSRC3_GFX90A:ACCUM_OFFSET: 19
; COMPUTE_PGM_RSRC3_GFX90A:TG_SPLIT: 0
	.section	.text._ZN9rocsolver6v33100L18trti2_kernel_smallILi15EfPKPfEEv13rocblas_fill_17rocblas_diagonal_T1_iil,"axG",@progbits,_ZN9rocsolver6v33100L18trti2_kernel_smallILi15EfPKPfEEv13rocblas_fill_17rocblas_diagonal_T1_iil,comdat
	.globl	_ZN9rocsolver6v33100L18trti2_kernel_smallILi15EfPKPfEEv13rocblas_fill_17rocblas_diagonal_T1_iil ; -- Begin function _ZN9rocsolver6v33100L18trti2_kernel_smallILi15EfPKPfEEv13rocblas_fill_17rocblas_diagonal_T1_iil
	.p2align	8
	.type	_ZN9rocsolver6v33100L18trti2_kernel_smallILi15EfPKPfEEv13rocblas_fill_17rocblas_diagonal_T1_iil,@function
_ZN9rocsolver6v33100L18trti2_kernel_smallILi15EfPKPfEEv13rocblas_fill_17rocblas_diagonal_T1_iil: ; @_ZN9rocsolver6v33100L18trti2_kernel_smallILi15EfPKPfEEv13rocblas_fill_17rocblas_diagonal_T1_iil
; %bb.0:
	v_cmp_gt_u32_e32 vcc, 15, v0
	s_and_saveexec_b64 s[0:1], vcc
	s_cbranch_execz .LBB78_356
; %bb.1:
	s_load_dwordx2 s[0:1], s[4:5], 0x10
	s_load_dwordx4 s[36:39], s[4:5], 0x0
	s_ashr_i32 s7, s6, 31
	s_lshl_b64 s[2:3], s[6:7], 3
	v_lshlrev_b32_e32 v17, 2, v0
	s_waitcnt lgkmcnt(0)
	s_ashr_i32 s5, s0, 31
	s_add_u32 s2, s38, s2
	s_addc_u32 s3, s39, s3
	s_load_dwordx2 s[2:3], s[2:3], 0x0
	s_mov_b32 s4, s0
	s_lshl_b64 s[4:5], s[4:5], 2
	s_waitcnt lgkmcnt(0)
	s_add_u32 s2, s2, s4
	s_addc_u32 s3, s3, s5
	v_mov_b32_e32 v1, s3
	v_add_co_u32_e32 v34, vcc, s2, v17
	s_ashr_i32 s5, s1, 31
	s_mov_b32 s4, s1
	s_add_i32 s0, s1, s1
	v_addc_co_u32_e32 v35, vcc, 0, v1, vcc
	s_lshl_b64 s[4:5], s[4:5], 2
	v_add_u32_e32 v2, s0, v0
	v_mov_b32_e32 v1, s5
	v_add_co_u32_e32 v36, vcc, s4, v34
	v_ashrrev_i32_e32 v3, 31, v2
	v_addc_co_u32_e32 v37, vcc, v35, v1, vcc
	v_lshlrev_b64 v[4:5], 2, v[2:3]
	v_add_u32_e32 v2, s1, v2
	v_mov_b32_e32 v1, s3
	v_add_co_u32_e32 v38, vcc, s2, v4
	v_ashrrev_i32_e32 v3, 31, v2
	v_addc_co_u32_e32 v39, vcc, v1, v5, vcc
	v_lshlrev_b64 v[4:5], 2, v[2:3]
	v_add_u32_e32 v2, s1, v2
	v_add_co_u32_e32 v40, vcc, s2, v4
	v_ashrrev_i32_e32 v3, 31, v2
	v_addc_co_u32_e32 v41, vcc, v1, v5, vcc
	v_lshlrev_b64 v[4:5], 2, v[2:3]
	v_add_u32_e32 v2, s1, v2
	;; [unrolled: 5-line block ×10, first 2 shown]
	global_load_dword v3, v[36:37], off
	global_load_dword v4, v[38:39], off
	;; [unrolled: 1-line block ×8, first 2 shown]
	v_add_co_u32_e32 v58, vcc, s2, v14
	v_ashrrev_i32_e32 v19, 31, v18
	v_addc_co_u32_e32 v59, vcc, v1, v15, vcc
	v_lshlrev_b64 v[12:13], 2, v[18:19]
	v_add_co_u32_e32 v60, vcc, s2, v12
	v_add_u32_e32 v18, s1, v18
	v_addc_co_u32_e32 v61, vcc, v1, v13, vcc
	global_load_dword v11, v[52:53], off
	global_load_dword v12, v[54:55], off
	global_load_dword v13, v[56:57], off
	global_load_dword v14, v[58:59], off
	global_load_dword v15, v[60:61], off
	v_ashrrev_i32_e32 v19, 31, v18
	v_lshlrev_b64 v[18:19], 2, v[18:19]
	v_add_co_u32_e32 v62, vcc, s2, v18
	v_addc_co_u32_e32 v63, vcc, v1, v19, vcc
	global_load_dword v2, v17, s[2:3]
	global_load_dword v16, v[62:63], off
	s_cmpk_lg_i32 s37, 0x84
	v_mov_b32_e32 v1, 0
	s_cselect_b64 s[30:31], -1, 0
	s_cmpk_eq_i32 s37, 0x84
	v_mov_b32_e32 v18, -1.0
	v_cmp_eq_u32_e64 s[0:1], 0, v0
	s_cbranch_scc1 .LBB78_3
; %bb.2:
	v_cmp_eq_u32_e64 s[2:3], 1, v0
	s_waitcnt vmcnt(1)
	v_cndmask_b32_e64 v18, v2, v3, s[2:3]
	v_cmp_eq_u32_e64 s[4:5], 2, v0
	v_cndmask_b32_e64 v18, v18, v4, s[4:5]
	v_cmp_eq_u32_e64 s[6:7], 3, v0
	;; [unrolled: 2-line block ×13, first 2 shown]
	s_waitcnt vmcnt(0)
	v_cndmask_b32_e64 v18, v18, v16, s[28:29]
	v_div_scale_f32 v19, s[34:35], v18, v18, 1.0
	v_rcp_f32_e32 v20, v19
	v_fma_f32 v21, -v19, v20, 1.0
	v_fmac_f32_e32 v20, v21, v20
	v_div_scale_f32 v21, vcc, 1.0, v18, 1.0
	v_mul_f32_e32 v22, v21, v20
	v_fma_f32 v23, -v19, v22, v21
	v_fmac_f32_e32 v22, v23, v20
	v_fma_f32 v19, -v19, v22, v21
	v_div_fmas_f32 v19, v19, v20, v22
	v_div_fixup_f32 v18, v19, v18, 1.0
	v_cndmask_b32_e64 v16, v16, v18, s[28:29]
	v_cndmask_b32_e64 v15, v15, v18, s[26:27]
	;; [unrolled: 1-line block ×15, first 2 shown]
	v_xor_b32_e32 v18, 0x80000000, v18
.LBB78_3:
	s_cmpk_eq_i32 s36, 0x79
	v_add_u32_e32 v65, 64, v17
	ds_write_b32 v17, v18
	s_cbranch_scc1 .LBB78_7
; %bb.4:
	s_waitcnt vmcnt(0)
	v_pk_mov_b32 v[32:33], v[16:17], v[16:17] op_sel:[0,1]
	v_cmp_eq_u32_e64 s[2:3], 14, v0
	v_pk_mov_b32 v[30:31], v[14:15], v[14:15] op_sel:[0,1]
	v_pk_mov_b32 v[28:29], v[12:13], v[12:13] op_sel:[0,1]
	v_pk_mov_b32 v[26:27], v[10:11], v[10:11] op_sel:[0,1]
	v_pk_mov_b32 v[24:25], v[8:9], v[8:9] op_sel:[0,1]
	v_pk_mov_b32 v[22:23], v[6:7], v[6:7] op_sel:[0,1]
	v_pk_mov_b32 v[20:21], v[4:5], v[4:5] op_sel:[0,1]
	v_pk_mov_b32 v[18:19], v[2:3], v[2:3] op_sel:[0,1]
	ds_write_b32 v65, v15
	s_waitcnt lgkmcnt(0)
	; wave barrier
	s_waitcnt lgkmcnt(0)
	s_and_saveexec_b64 s[0:1], s[2:3]
	s_cbranch_execz .LBB78_11
; %bb.5:
	s_and_b64 vcc, exec, s[30:31]
	s_cbranch_vccz .LBB78_8
; %bb.6:
	v_cmp_eq_u32_e32 vcc, 1, v0
	v_cndmask_b32_e32 v17, v2, v3, vcc
	v_cmp_eq_u32_e32 vcc, 2, v0
	v_cndmask_b32_e32 v17, v17, v4, vcc
	;; [unrolled: 2-line block ×10, first 2 shown]
	v_cmp_eq_u32_e32 vcc, 11, v0
	ds_read_b32 v18, v65
	v_cndmask_b32_e32 v17, v17, v13, vcc
	v_cmp_eq_u32_e32 vcc, 12, v0
	v_cndmask_b32_e32 v17, v17, v14, vcc
	v_cmp_eq_u32_e32 vcc, 13, v0
	;; [unrolled: 2-line block ×3, first 2 shown]
	v_cndmask_b32_e32 v17, v17, v16, vcc
	s_waitcnt lgkmcnt(0)
	v_mul_f32_e32 v17, v17, v18
	s_cbranch_execz .LBB78_9
	s_branch .LBB78_10
.LBB78_7:
                                        ; implicit-def: $vgpr18_vgpr19_vgpr20_vgpr21_vgpr22_vgpr23_vgpr24_vgpr25_vgpr26_vgpr27_vgpr28_vgpr29_vgpr30_vgpr31_vgpr32_vgpr33
	s_cbranch_execnz .LBB78_210
	s_branch .LBB78_355
.LBB78_8:
                                        ; implicit-def: $vgpr17
.LBB78_9:
	ds_read_b32 v17, v65
.LBB78_10:
	v_mov_b32_e32 v18, 0
	ds_read_b32 v22, v18 offset:52
	v_mov_b32_e32 v18, v2
	v_mov_b32_e32 v19, v3
	;; [unrolled: 1-line block ×4, first 2 shown]
	s_waitcnt lgkmcnt(0)
	v_mul_f32_e32 v31, v17, v22
	v_mov_b32_e32 v22, v6
	v_mov_b32_e32 v23, v7
	;; [unrolled: 1-line block ×10, first 2 shown]
.LBB78_11:
	s_or_b64 exec, exec, s[0:1]
	v_cmp_lt_u32_e64 s[0:1], 12, v0
	ds_write_b32 v65, v30
	s_waitcnt lgkmcnt(0)
	; wave barrier
	s_waitcnt lgkmcnt(0)
	s_and_saveexec_b64 s[4:5], s[0:1]
	s_cbranch_execz .LBB78_17
; %bb.12:
	s_andn2_b64 vcc, exec, s[30:31]
	s_cbranch_vccnz .LBB78_14
; %bb.13:
	v_cmp_eq_u32_e32 vcc, 1, v0
	v_cndmask_b32_e32 v17, v18, v19, vcc
	v_cmp_eq_u32_e32 vcc, 2, v0
	v_cndmask_b32_e32 v17, v17, v20, vcc
	;; [unrolled: 2-line block ×12, first 2 shown]
	ds_read_b32 v30, v65
	v_cmp_eq_u32_e32 vcc, 13, v0
	v_cndmask_b32_e32 v17, v17, v31, vcc
	v_cmp_eq_u32_e32 vcc, 14, v0
	v_cndmask_b32_e32 v17, v17, v32, vcc
	s_waitcnt lgkmcnt(0)
	v_mul_f32_e32 v17, v17, v30
	s_cbranch_execz .LBB78_15
	s_branch .LBB78_16
.LBB78_14:
                                        ; implicit-def: $vgpr17
.LBB78_15:
	ds_read_b32 v17, v65
.LBB78_16:
	v_mov_b32_e32 v30, 0
	ds_read2_b32 v[66:67], v30 offset0:12 offset1:29
	s_waitcnt lgkmcnt(0)
	v_fma_f32 v30, v31, v67, v17
	v_cndmask_b32_e64 v17, v17, v30, s[2:3]
	v_mul_f32_e32 v30, v17, v66
.LBB78_17:
	s_or_b64 exec, exec, s[4:5]
	v_cmp_lt_u32_e64 s[2:3], 11, v0
	ds_write_b32 v65, v29
	s_waitcnt lgkmcnt(0)
	; wave barrier
	s_waitcnt lgkmcnt(0)
	s_and_saveexec_b64 s[4:5], s[2:3]
	s_cbranch_execz .LBB78_33
; %bb.18:
	s_andn2_b64 vcc, exec, s[30:31]
	s_cbranch_vccnz .LBB78_20
; %bb.19:
	v_cmp_eq_u32_e32 vcc, 1, v0
	v_cndmask_b32_e32 v17, v18, v19, vcc
	v_cmp_eq_u32_e32 vcc, 2, v0
	v_cndmask_b32_e32 v17, v17, v20, vcc
	;; [unrolled: 2-line block ×10, first 2 shown]
	v_cmp_eq_u32_e32 vcc, 11, v0
	ds_read_b32 v64, v65
	v_cndmask_b32_e32 v17, v17, v29, vcc
	v_cmp_eq_u32_e32 vcc, 12, v0
	v_cndmask_b32_e32 v17, v17, v30, vcc
	v_cmp_eq_u32_e32 vcc, 13, v0
	;; [unrolled: 2-line block ×3, first 2 shown]
	v_cndmask_b32_e32 v17, v17, v32, vcc
	s_waitcnt lgkmcnt(0)
	v_mul_f32_e32 v67, v17, v64
	s_cbranch_execz .LBB78_21
	s_branch .LBB78_22
.LBB78_20:
                                        ; implicit-def: $vgpr67
.LBB78_21:
	ds_read_b32 v67, v65
.LBB78_22:
	s_and_saveexec_b64 s[6:7], s[0:1]
	s_cbranch_execz .LBB78_32
; %bb.23:
	v_add_u32_e32 v64, -13, v0
	v_add_u32_e32 v17, -12, v0
	v_cmp_lt_u32_e32 vcc, 6, v64
	v_mov_b32_e32 v64, 12
	s_and_saveexec_b64 s[0:1], vcc
	s_cbranch_execz .LBB78_27
; %bb.24:
	v_and_b32_e32 v64, -8, v17
	v_sub_u32_e32 v66, 0, v64
	s_mov_b64 s[8:9], 19
	s_movk_i32 s12, 0x70
	s_mov_b64 s[10:11], 0
.LBB78_25:                              ; =>This Inner Loop Header: Depth=1
	s_add_i32 s13, s8, -7
	v_mov_b32_e32 v64, s12
	s_add_i32 s14, s8, -6
	s_set_gpr_idx_on s13, gpr_idx(SRC0)
	v_mov_b32_e32 v76, v18
	s_set_gpr_idx_off
	s_add_i32 s15, s8, -5
	ds_read_b128 v[68:71], v64
	ds_read_b128 v[72:75], v64 offset:16
	s_set_gpr_idx_on s14, gpr_idx(SRC0)
	v_mov_b32_e32 v64, v18
	s_set_gpr_idx_off
	s_add_i32 s16, s8, -4
	s_set_gpr_idx_on s15, gpr_idx(SRC0)
	v_mov_b32_e32 v77, v18
	s_set_gpr_idx_off
	s_add_i32 s17, s8, -3
	;; [unrolled: 4-line block ×4, first 2 shown]
	s_waitcnt lgkmcnt(1)
	v_fmac_f32_e32 v67, v76, v68
	s_set_gpr_idx_on s18, gpr_idx(SRC0)
	v_mov_b32_e32 v68, v18
	s_set_gpr_idx_off
	v_fmac_f32_e32 v67, v64, v69
	s_set_gpr_idx_on s19, gpr_idx(SRC0)
	v_mov_b32_e32 v69, v18
	s_set_gpr_idx_off
	v_fmac_f32_e32 v67, v77, v70
	s_set_gpr_idx_on s8, gpr_idx(SRC0)
	v_mov_b32_e32 v70, v18
	s_set_gpr_idx_off
	v_fmac_f32_e32 v67, v78, v71
	s_add_u32 s8, s8, 8
	s_waitcnt lgkmcnt(0)
	v_fmac_f32_e32 v67, v79, v72
	v_add_u32_e32 v64, s8, v66
	v_fmac_f32_e32 v67, v68, v73
	s_addc_u32 s9, s9, 0
	s_add_i32 s12, s12, 32
	s_add_i32 s13, s8, -7
	v_cmp_eq_u32_e32 vcc, 19, v64
	v_fmac_f32_e32 v67, v69, v74
	v_mov_b32_e32 v64, s13
	s_or_b64 s[10:11], vcc, s[10:11]
	v_fmac_f32_e32 v67, v70, v75
	s_andn2_b64 exec, exec, s[10:11]
	s_cbranch_execnz .LBB78_25
; %bb.26:
	s_or_b64 exec, exec, s[10:11]
.LBB78_27:
	s_or_b64 exec, exec, s[0:1]
	v_and_b32_e32 v33, 7, v17
	v_cmp_ne_u32_e32 vcc, 0, v33
	s_and_saveexec_b64 s[8:9], vcc
	s_cbranch_execz .LBB78_31
; %bb.28:
	v_lshl_add_u32 v66, v64, 2, 64
	v_mov_b32_e32 v17, 0
	s_mov_b64 s[10:11], 0
.LBB78_29:                              ; =>This Inner Loop Header: Depth=1
	v_cmp_eq_u32_e32 vcc, 1, v64
	v_cndmask_b32_e32 v68, v18, v19, vcc
	v_add_u32_e32 v33, -1, v33
	v_cmp_eq_u32_e32 vcc, 2, v64
	v_cndmask_b32_e32 v68, v68, v20, vcc
	v_cmp_eq_u32_e32 vcc, 0, v33
	v_cmp_eq_u32_e64 s[0:1], 3, v64
	v_cndmask_b32_e64 v68, v68, v21, s[0:1]
	s_or_b64 s[10:11], vcc, s[10:11]
	v_cmp_eq_u32_e32 vcc, 4, v64
	v_cndmask_b32_e32 v68, v68, v22, vcc
	v_cmp_eq_u32_e32 vcc, 5, v64
	v_cndmask_b32_e32 v68, v68, v23, vcc
	;; [unrolled: 2-line block ×6, first 2 shown]
	v_cmp_eq_u32_e32 vcc, 10, v64
	ds_read_b32 v69, v66
	v_cndmask_b32_e32 v68, v68, v28, vcc
	v_cmp_eq_u32_e32 vcc, 11, v64
	v_cndmask_b32_e32 v68, v68, v29, vcc
	v_cmp_eq_u32_e32 vcc, 12, v64
	;; [unrolled: 2-line block ×4, first 2 shown]
	v_add_co_u32_e64 v64, s[0:1], 1, v64
	v_cndmask_b32_e32 v68, v68, v32, vcc
	v_add_u32_e32 v66, 4, v66
	v_addc_co_u32_e64 v17, s[0:1], 0, v17, s[0:1]
	s_waitcnt lgkmcnt(0)
	v_fmac_f32_e32 v67, v68, v69
	s_andn2_b64 exec, exec, s[10:11]
	s_cbranch_execnz .LBB78_29
; %bb.30:
	s_or_b64 exec, exec, s[10:11]
.LBB78_31:
	s_or_b64 exec, exec, s[8:9]
.LBB78_32:
	s_or_b64 exec, exec, s[6:7]
	v_mov_b32_e32 v17, 0
	ds_read_b32 v17, v17 offset:44
	s_waitcnt lgkmcnt(0)
	v_mul_f32_e32 v29, v67, v17
.LBB78_33:
	s_or_b64 exec, exec, s[4:5]
	v_cmp_lt_u32_e64 s[0:1], 10, v0
	ds_write_b32 v65, v28
	s_waitcnt lgkmcnt(0)
	; wave barrier
	s_waitcnt lgkmcnt(0)
	s_and_saveexec_b64 s[4:5], s[0:1]
	s_cbranch_execz .LBB78_49
; %bb.34:
	s_andn2_b64 vcc, exec, s[30:31]
	s_cbranch_vccnz .LBB78_36
; %bb.35:
	v_cmp_eq_u32_e32 vcc, 1, v0
	v_cndmask_b32_e32 v17, v18, v19, vcc
	v_cmp_eq_u32_e32 vcc, 2, v0
	v_cndmask_b32_e32 v17, v17, v20, vcc
	;; [unrolled: 2-line block ×10, first 2 shown]
	v_cmp_eq_u32_e32 vcc, 11, v0
	ds_read_b32 v64, v65
	v_cndmask_b32_e32 v17, v17, v29, vcc
	v_cmp_eq_u32_e32 vcc, 12, v0
	v_cndmask_b32_e32 v17, v17, v30, vcc
	v_cmp_eq_u32_e32 vcc, 13, v0
	;; [unrolled: 2-line block ×3, first 2 shown]
	v_cndmask_b32_e32 v17, v17, v32, vcc
	s_waitcnt lgkmcnt(0)
	v_mul_f32_e32 v67, v17, v64
	s_cbranch_execz .LBB78_37
	s_branch .LBB78_38
.LBB78_36:
                                        ; implicit-def: $vgpr67
.LBB78_37:
	ds_read_b32 v67, v65
.LBB78_38:
	s_and_saveexec_b64 s[6:7], s[2:3]
	s_cbranch_execz .LBB78_48
; %bb.39:
	v_add_u32_e32 v64, -12, v0
	v_add_u32_e32 v17, -11, v0
	v_cmp_lt_u32_e32 vcc, 6, v64
	v_mov_b32_e32 v64, 11
	s_and_saveexec_b64 s[2:3], vcc
	s_cbranch_execz .LBB78_43
; %bb.40:
	v_and_b32_e32 v64, -8, v17
	v_sub_u32_e32 v66, 0, v64
	s_mov_b64 s[8:9], 18
	s_movk_i32 s12, 0x6c
	s_mov_b64 s[10:11], 0
.LBB78_41:                              ; =>This Inner Loop Header: Depth=1
	s_add_i32 s13, s8, -7
	v_mov_b32_e32 v64, s12
	s_add_i32 s14, s8, -6
	s_set_gpr_idx_on s13, gpr_idx(SRC0)
	v_mov_b32_e32 v74, v18
	s_set_gpr_idx_off
	ds_read2_b32 v[68:69], v64 offset1:1
	s_add_i32 s15, s8, -5
	s_set_gpr_idx_on s14, gpr_idx(SRC0)
	v_mov_b32_e32 v75, v18
	s_set_gpr_idx_off
	s_add_i32 s16, s8, -4
	s_set_gpr_idx_on s15, gpr_idx(SRC0)
	v_mov_b32_e32 v76, v18
	s_set_gpr_idx_off
	ds_read2_b32 v[70:71], v64 offset0:2 offset1:3
	s_add_i32 s17, s8, -3
	s_set_gpr_idx_on s16, gpr_idx(SRC0)
	v_mov_b32_e32 v77, v18
	s_set_gpr_idx_off
	s_add_i32 s18, s8, -2
	s_set_gpr_idx_on s17, gpr_idx(SRC0)
	v_mov_b32_e32 v78, v18
	s_set_gpr_idx_off
	ds_read2_b32 v[72:73], v64 offset0:4 offset1:5
	s_add_i32 s19, s8, -1
	s_waitcnt lgkmcnt(2)
	v_fmac_f32_e32 v67, v74, v68
	s_set_gpr_idx_on s18, gpr_idx(SRC0)
	v_mov_b32_e32 v74, v18
	s_set_gpr_idx_off
	v_fmac_f32_e32 v67, v75, v69
	s_set_gpr_idx_on s19, gpr_idx(SRC0)
	v_mov_b32_e32 v75, v18
	s_set_gpr_idx_off
	ds_read2_b32 v[68:69], v64 offset0:6 offset1:7
	s_waitcnt lgkmcnt(2)
	v_fmac_f32_e32 v67, v76, v70
	s_set_gpr_idx_on s8, gpr_idx(SRC0)
	v_mov_b32_e32 v70, v18
	s_set_gpr_idx_off
	v_fmac_f32_e32 v67, v77, v71
	s_add_u32 s8, s8, 8
	s_waitcnt lgkmcnt(1)
	v_fmac_f32_e32 v67, v78, v72
	v_add_u32_e32 v64, s8, v66
	v_fmac_f32_e32 v67, v74, v73
	s_addc_u32 s9, s9, 0
	s_add_i32 s12, s12, 32
	s_add_i32 s13, s8, -7
	v_cmp_eq_u32_e32 vcc, 18, v64
	s_waitcnt lgkmcnt(0)
	v_fmac_f32_e32 v67, v75, v68
	v_mov_b32_e32 v64, s13
	s_or_b64 s[10:11], vcc, s[10:11]
	v_fmac_f32_e32 v67, v70, v69
	s_andn2_b64 exec, exec, s[10:11]
	s_cbranch_execnz .LBB78_41
; %bb.42:
	s_or_b64 exec, exec, s[10:11]
.LBB78_43:
	s_or_b64 exec, exec, s[2:3]
	v_and_b32_e32 v33, 7, v17
	v_cmp_ne_u32_e32 vcc, 0, v33
	s_and_saveexec_b64 s[8:9], vcc
	s_cbranch_execz .LBB78_47
; %bb.44:
	v_lshl_add_u32 v66, v64, 2, 64
	v_mov_b32_e32 v17, 0
	s_mov_b64 s[10:11], 0
.LBB78_45:                              ; =>This Inner Loop Header: Depth=1
	v_cmp_eq_u32_e32 vcc, 1, v64
	v_cndmask_b32_e32 v68, v18, v19, vcc
	v_add_u32_e32 v33, -1, v33
	v_cmp_eq_u32_e32 vcc, 2, v64
	v_cndmask_b32_e32 v68, v68, v20, vcc
	v_cmp_eq_u32_e32 vcc, 0, v33
	v_cmp_eq_u32_e64 s[2:3], 3, v64
	v_cndmask_b32_e64 v68, v68, v21, s[2:3]
	s_or_b64 s[10:11], vcc, s[10:11]
	v_cmp_eq_u32_e32 vcc, 4, v64
	v_cndmask_b32_e32 v68, v68, v22, vcc
	v_cmp_eq_u32_e32 vcc, 5, v64
	v_cndmask_b32_e32 v68, v68, v23, vcc
	;; [unrolled: 2-line block ×6, first 2 shown]
	v_cmp_eq_u32_e32 vcc, 10, v64
	ds_read_b32 v69, v66
	v_cndmask_b32_e32 v68, v68, v28, vcc
	v_cmp_eq_u32_e32 vcc, 11, v64
	v_cndmask_b32_e32 v68, v68, v29, vcc
	v_cmp_eq_u32_e32 vcc, 12, v64
	;; [unrolled: 2-line block ×4, first 2 shown]
	v_add_co_u32_e64 v64, s[2:3], 1, v64
	v_cndmask_b32_e32 v68, v68, v32, vcc
	v_add_u32_e32 v66, 4, v66
	v_addc_co_u32_e64 v17, s[2:3], 0, v17, s[2:3]
	s_waitcnt lgkmcnt(0)
	v_fmac_f32_e32 v67, v68, v69
	s_andn2_b64 exec, exec, s[10:11]
	s_cbranch_execnz .LBB78_45
; %bb.46:
	s_or_b64 exec, exec, s[10:11]
.LBB78_47:
	s_or_b64 exec, exec, s[8:9]
.LBB78_48:
	s_or_b64 exec, exec, s[6:7]
	v_mov_b32_e32 v17, 0
	ds_read_b32 v17, v17 offset:40
	s_waitcnt lgkmcnt(0)
	v_mul_f32_e32 v28, v67, v17
.LBB78_49:
	s_or_b64 exec, exec, s[4:5]
	v_cmp_lt_u32_e64 s[2:3], 9, v0
	ds_write_b32 v65, v27
	s_waitcnt lgkmcnt(0)
	; wave barrier
	s_waitcnt lgkmcnt(0)
	s_and_saveexec_b64 s[4:5], s[2:3]
	s_cbranch_execz .LBB78_65
; %bb.50:
	s_andn2_b64 vcc, exec, s[30:31]
	s_cbranch_vccnz .LBB78_52
; %bb.51:
	v_cmp_eq_u32_e32 vcc, 1, v0
	v_cndmask_b32_e32 v17, v18, v19, vcc
	v_cmp_eq_u32_e32 vcc, 2, v0
	v_cndmask_b32_e32 v17, v17, v20, vcc
	;; [unrolled: 2-line block ×10, first 2 shown]
	v_cmp_eq_u32_e32 vcc, 11, v0
	ds_read_b32 v64, v65
	v_cndmask_b32_e32 v17, v17, v29, vcc
	v_cmp_eq_u32_e32 vcc, 12, v0
	v_cndmask_b32_e32 v17, v17, v30, vcc
	v_cmp_eq_u32_e32 vcc, 13, v0
	;; [unrolled: 2-line block ×3, first 2 shown]
	v_cndmask_b32_e32 v17, v17, v32, vcc
	s_waitcnt lgkmcnt(0)
	v_mul_f32_e32 v67, v17, v64
	s_cbranch_execz .LBB78_53
	s_branch .LBB78_54
.LBB78_52:
                                        ; implicit-def: $vgpr67
.LBB78_53:
	ds_read_b32 v67, v65
.LBB78_54:
	s_and_saveexec_b64 s[6:7], s[0:1]
	s_cbranch_execz .LBB78_64
; %bb.55:
	v_add_u32_e32 v64, -11, v0
	v_add_u32_e32 v17, -10, v0
	v_cmp_lt_u32_e32 vcc, 6, v64
	v_mov_b32_e32 v64, 10
	s_and_saveexec_b64 s[0:1], vcc
	s_cbranch_execz .LBB78_59
; %bb.56:
	v_and_b32_e32 v64, -8, v17
	v_sub_u32_e32 v66, 0, v64
	s_mov_b64 s[8:9], 17
	s_movk_i32 s12, 0x68
	s_mov_b64 s[10:11], 0
.LBB78_57:                              ; =>This Inner Loop Header: Depth=1
	s_add_i32 s13, s8, -7
	v_mov_b32_e32 v64, s12
	s_add_i32 s14, s8, -6
	s_set_gpr_idx_on s13, gpr_idx(SRC0)
	v_mov_b32_e32 v76, v18
	s_set_gpr_idx_off
	ds_read2_b64 v[68:71], v64 offset1:1
	s_add_i32 s15, s8, -5
	s_set_gpr_idx_on s14, gpr_idx(SRC0)
	v_mov_b32_e32 v77, v18
	s_set_gpr_idx_off
	s_add_i32 s16, s8, -4
	s_set_gpr_idx_on s15, gpr_idx(SRC0)
	v_mov_b32_e32 v78, v18
	s_set_gpr_idx_off
	;; [unrolled: 4-line block ×4, first 2 shown]
	ds_read2_b64 v[72:75], v64 offset0:2 offset1:3
	s_add_i32 s19, s8, -1
	s_waitcnt lgkmcnt(1)
	v_fmac_f32_e32 v67, v76, v68
	s_set_gpr_idx_on s18, gpr_idx(SRC0)
	v_mov_b32_e32 v68, v18
	s_set_gpr_idx_off
	v_fmac_f32_e32 v67, v77, v69
	s_set_gpr_idx_on s19, gpr_idx(SRC0)
	v_mov_b32_e32 v69, v18
	s_set_gpr_idx_off
	;; [unrolled: 4-line block ×3, first 2 shown]
	v_fmac_f32_e32 v67, v79, v71
	s_add_u32 s8, s8, 8
	s_waitcnt lgkmcnt(0)
	v_fmac_f32_e32 v67, v80, v72
	v_add_u32_e32 v64, s8, v66
	v_fmac_f32_e32 v67, v68, v73
	s_addc_u32 s9, s9, 0
	s_add_i32 s12, s12, 32
	s_add_i32 s13, s8, -7
	v_cmp_eq_u32_e32 vcc, 17, v64
	v_fmac_f32_e32 v67, v69, v74
	v_mov_b32_e32 v64, s13
	s_or_b64 s[10:11], vcc, s[10:11]
	v_fmac_f32_e32 v67, v70, v75
	s_andn2_b64 exec, exec, s[10:11]
	s_cbranch_execnz .LBB78_57
; %bb.58:
	s_or_b64 exec, exec, s[10:11]
.LBB78_59:
	s_or_b64 exec, exec, s[0:1]
	v_and_b32_e32 v33, 7, v17
	v_cmp_ne_u32_e32 vcc, 0, v33
	s_and_saveexec_b64 s[8:9], vcc
	s_cbranch_execz .LBB78_63
; %bb.60:
	v_lshl_add_u32 v66, v64, 2, 64
	v_mov_b32_e32 v17, 0
	s_mov_b64 s[10:11], 0
.LBB78_61:                              ; =>This Inner Loop Header: Depth=1
	v_cmp_eq_u32_e32 vcc, 1, v64
	v_cndmask_b32_e32 v68, v18, v19, vcc
	v_add_u32_e32 v33, -1, v33
	v_cmp_eq_u32_e32 vcc, 2, v64
	v_cndmask_b32_e32 v68, v68, v20, vcc
	v_cmp_eq_u32_e32 vcc, 0, v33
	v_cmp_eq_u32_e64 s[0:1], 3, v64
	v_cndmask_b32_e64 v68, v68, v21, s[0:1]
	s_or_b64 s[10:11], vcc, s[10:11]
	v_cmp_eq_u32_e32 vcc, 4, v64
	v_cndmask_b32_e32 v68, v68, v22, vcc
	v_cmp_eq_u32_e32 vcc, 5, v64
	v_cndmask_b32_e32 v68, v68, v23, vcc
	;; [unrolled: 2-line block ×6, first 2 shown]
	v_cmp_eq_u32_e32 vcc, 10, v64
	ds_read_b32 v69, v66
	v_cndmask_b32_e32 v68, v68, v28, vcc
	v_cmp_eq_u32_e32 vcc, 11, v64
	v_cndmask_b32_e32 v68, v68, v29, vcc
	v_cmp_eq_u32_e32 vcc, 12, v64
	;; [unrolled: 2-line block ×4, first 2 shown]
	v_add_co_u32_e64 v64, s[0:1], 1, v64
	v_cndmask_b32_e32 v68, v68, v32, vcc
	v_add_u32_e32 v66, 4, v66
	v_addc_co_u32_e64 v17, s[0:1], 0, v17, s[0:1]
	s_waitcnt lgkmcnt(0)
	v_fmac_f32_e32 v67, v68, v69
	s_andn2_b64 exec, exec, s[10:11]
	s_cbranch_execnz .LBB78_61
; %bb.62:
	s_or_b64 exec, exec, s[10:11]
.LBB78_63:
	s_or_b64 exec, exec, s[8:9]
.LBB78_64:
	s_or_b64 exec, exec, s[6:7]
	v_mov_b32_e32 v17, 0
	ds_read_b32 v17, v17 offset:36
	s_waitcnt lgkmcnt(0)
	v_mul_f32_e32 v27, v67, v17
.LBB78_65:
	s_or_b64 exec, exec, s[4:5]
	v_cmp_lt_u32_e64 s[0:1], 8, v0
	ds_write_b32 v65, v26
	s_waitcnt lgkmcnt(0)
	; wave barrier
	s_waitcnt lgkmcnt(0)
	s_and_saveexec_b64 s[4:5], s[0:1]
	s_cbranch_execz .LBB78_81
; %bb.66:
	s_andn2_b64 vcc, exec, s[30:31]
	s_cbranch_vccnz .LBB78_68
; %bb.67:
	v_cmp_eq_u32_e32 vcc, 1, v0
	v_cndmask_b32_e32 v17, v18, v19, vcc
	v_cmp_eq_u32_e32 vcc, 2, v0
	v_cndmask_b32_e32 v17, v17, v20, vcc
	;; [unrolled: 2-line block ×10, first 2 shown]
	v_cmp_eq_u32_e32 vcc, 11, v0
	ds_read_b32 v64, v65
	v_cndmask_b32_e32 v17, v17, v29, vcc
	v_cmp_eq_u32_e32 vcc, 12, v0
	v_cndmask_b32_e32 v17, v17, v30, vcc
	v_cmp_eq_u32_e32 vcc, 13, v0
	v_cndmask_b32_e32 v17, v17, v31, vcc
	v_cmp_eq_u32_e32 vcc, 14, v0
	v_cndmask_b32_e32 v17, v17, v32, vcc
	s_waitcnt lgkmcnt(0)
	v_mul_f32_e32 v67, v17, v64
	s_cbranch_execz .LBB78_69
	s_branch .LBB78_70
.LBB78_68:
                                        ; implicit-def: $vgpr67
.LBB78_69:
	ds_read_b32 v67, v65
.LBB78_70:
	s_and_saveexec_b64 s[6:7], s[2:3]
	s_cbranch_execz .LBB78_80
; %bb.71:
	v_add_u32_e32 v64, -10, v0
	v_add_u32_e32 v17, -9, v0
	v_cmp_lt_u32_e32 vcc, 6, v64
	v_mov_b32_e32 v64, 9
	s_and_saveexec_b64 s[2:3], vcc
	s_cbranch_execz .LBB78_75
; %bb.72:
	v_and_b32_e32 v64, -8, v17
	v_sub_u32_e32 v66, 0, v64
	s_mov_b64 s[8:9], 16
	s_movk_i32 s12, 0x64
	s_mov_b64 s[10:11], 0
.LBB78_73:                              ; =>This Inner Loop Header: Depth=1
	s_add_i32 s13, s8, -7
	v_mov_b32_e32 v64, s12
	s_add_i32 s14, s8, -6
	s_set_gpr_idx_on s13, gpr_idx(SRC0)
	v_mov_b32_e32 v74, v18
	s_set_gpr_idx_off
	ds_read2_b32 v[68:69], v64 offset1:1
	s_add_i32 s15, s8, -5
	s_set_gpr_idx_on s14, gpr_idx(SRC0)
	v_mov_b32_e32 v75, v18
	s_set_gpr_idx_off
	s_add_i32 s16, s8, -4
	s_set_gpr_idx_on s15, gpr_idx(SRC0)
	v_mov_b32_e32 v76, v18
	s_set_gpr_idx_off
	ds_read2_b32 v[70:71], v64 offset0:2 offset1:3
	s_add_i32 s17, s8, -3
	s_set_gpr_idx_on s16, gpr_idx(SRC0)
	v_mov_b32_e32 v77, v18
	s_set_gpr_idx_off
	s_add_i32 s18, s8, -2
	s_set_gpr_idx_on s17, gpr_idx(SRC0)
	v_mov_b32_e32 v78, v18
	s_set_gpr_idx_off
	ds_read2_b32 v[72:73], v64 offset0:4 offset1:5
	s_add_i32 s19, s8, -1
	s_waitcnt lgkmcnt(2)
	v_fmac_f32_e32 v67, v74, v68
	s_set_gpr_idx_on s18, gpr_idx(SRC0)
	v_mov_b32_e32 v74, v18
	s_set_gpr_idx_off
	v_fmac_f32_e32 v67, v75, v69
	s_set_gpr_idx_on s19, gpr_idx(SRC0)
	v_mov_b32_e32 v75, v18
	s_set_gpr_idx_off
	ds_read2_b32 v[68:69], v64 offset0:6 offset1:7
	s_waitcnt lgkmcnt(2)
	v_fmac_f32_e32 v67, v76, v70
	s_set_gpr_idx_on s8, gpr_idx(SRC0)
	v_mov_b32_e32 v70, v18
	s_set_gpr_idx_off
	v_fmac_f32_e32 v67, v77, v71
	s_add_u32 s8, s8, 8
	s_waitcnt lgkmcnt(1)
	v_fmac_f32_e32 v67, v78, v72
	v_add_u32_e32 v64, s8, v66
	v_fmac_f32_e32 v67, v74, v73
	s_addc_u32 s9, s9, 0
	s_add_i32 s12, s12, 32
	s_add_i32 s13, s8, -7
	v_cmp_eq_u32_e32 vcc, 16, v64
	s_waitcnt lgkmcnt(0)
	v_fmac_f32_e32 v67, v75, v68
	v_mov_b32_e32 v64, s13
	s_or_b64 s[10:11], vcc, s[10:11]
	v_fmac_f32_e32 v67, v70, v69
	s_andn2_b64 exec, exec, s[10:11]
	s_cbranch_execnz .LBB78_73
; %bb.74:
	s_or_b64 exec, exec, s[10:11]
.LBB78_75:
	s_or_b64 exec, exec, s[2:3]
	v_and_b32_e32 v33, 7, v17
	v_cmp_ne_u32_e32 vcc, 0, v33
	s_and_saveexec_b64 s[8:9], vcc
	s_cbranch_execz .LBB78_79
; %bb.76:
	v_lshl_add_u32 v66, v64, 2, 64
	v_mov_b32_e32 v17, 0
	s_mov_b64 s[10:11], 0
.LBB78_77:                              ; =>This Inner Loop Header: Depth=1
	v_cmp_eq_u32_e32 vcc, 1, v64
	v_cndmask_b32_e32 v68, v18, v19, vcc
	v_add_u32_e32 v33, -1, v33
	v_cmp_eq_u32_e32 vcc, 2, v64
	v_cndmask_b32_e32 v68, v68, v20, vcc
	v_cmp_eq_u32_e32 vcc, 0, v33
	v_cmp_eq_u32_e64 s[2:3], 3, v64
	v_cndmask_b32_e64 v68, v68, v21, s[2:3]
	s_or_b64 s[10:11], vcc, s[10:11]
	v_cmp_eq_u32_e32 vcc, 4, v64
	v_cndmask_b32_e32 v68, v68, v22, vcc
	v_cmp_eq_u32_e32 vcc, 5, v64
	v_cndmask_b32_e32 v68, v68, v23, vcc
	;; [unrolled: 2-line block ×6, first 2 shown]
	v_cmp_eq_u32_e32 vcc, 10, v64
	ds_read_b32 v69, v66
	v_cndmask_b32_e32 v68, v68, v28, vcc
	v_cmp_eq_u32_e32 vcc, 11, v64
	v_cndmask_b32_e32 v68, v68, v29, vcc
	v_cmp_eq_u32_e32 vcc, 12, v64
	;; [unrolled: 2-line block ×4, first 2 shown]
	v_add_co_u32_e64 v64, s[2:3], 1, v64
	v_cndmask_b32_e32 v68, v68, v32, vcc
	v_add_u32_e32 v66, 4, v66
	v_addc_co_u32_e64 v17, s[2:3], 0, v17, s[2:3]
	s_waitcnt lgkmcnt(0)
	v_fmac_f32_e32 v67, v68, v69
	s_andn2_b64 exec, exec, s[10:11]
	s_cbranch_execnz .LBB78_77
; %bb.78:
	s_or_b64 exec, exec, s[10:11]
.LBB78_79:
	s_or_b64 exec, exec, s[8:9]
.LBB78_80:
	s_or_b64 exec, exec, s[6:7]
	v_mov_b32_e32 v17, 0
	ds_read_b32 v17, v17 offset:32
	s_waitcnt lgkmcnt(0)
	v_mul_f32_e32 v26, v67, v17
.LBB78_81:
	s_or_b64 exec, exec, s[4:5]
	v_cmp_lt_u32_e64 s[2:3], 7, v0
	ds_write_b32 v65, v25
	s_waitcnt lgkmcnt(0)
	; wave barrier
	s_waitcnt lgkmcnt(0)
	s_and_saveexec_b64 s[4:5], s[2:3]
	s_cbranch_execz .LBB78_97
; %bb.82:
	s_andn2_b64 vcc, exec, s[30:31]
	s_cbranch_vccnz .LBB78_84
; %bb.83:
	v_cmp_eq_u32_e32 vcc, 1, v0
	v_cndmask_b32_e32 v17, v18, v19, vcc
	v_cmp_eq_u32_e32 vcc, 2, v0
	v_cndmask_b32_e32 v17, v17, v20, vcc
	;; [unrolled: 2-line block ×10, first 2 shown]
	v_cmp_eq_u32_e32 vcc, 11, v0
	ds_read_b32 v64, v65
	v_cndmask_b32_e32 v17, v17, v29, vcc
	v_cmp_eq_u32_e32 vcc, 12, v0
	v_cndmask_b32_e32 v17, v17, v30, vcc
	v_cmp_eq_u32_e32 vcc, 13, v0
	v_cndmask_b32_e32 v17, v17, v31, vcc
	v_cmp_eq_u32_e32 vcc, 14, v0
	v_cndmask_b32_e32 v17, v17, v32, vcc
	s_waitcnt lgkmcnt(0)
	v_mul_f32_e32 v67, v17, v64
	s_cbranch_execz .LBB78_85
	s_branch .LBB78_86
.LBB78_84:
                                        ; implicit-def: $vgpr67
.LBB78_85:
	ds_read_b32 v67, v65
.LBB78_86:
	s_and_saveexec_b64 s[6:7], s[0:1]
	s_cbranch_execz .LBB78_96
; %bb.87:
	v_add_u32_e32 v17, -9, v0
	v_cmp_lt_u32_e32 vcc, 6, v17
	v_mov_b32_e32 v64, 8
	s_and_saveexec_b64 s[0:1], vcc
	s_cbranch_execz .LBB78_91
; %bb.88:
	v_and_b32_e32 v17, 8, v0
	v_sub_u32_e32 v66, 0, v17
	s_mov_b64 s[8:9], 15
	s_movk_i32 s12, 0x60
	s_mov_b64 s[10:11], 0
.LBB78_89:                              ; =>This Inner Loop Header: Depth=1
	s_add_i32 s13, s8, -7
	v_mov_b32_e32 v17, s12
	s_add_i32 s14, s8, -6
	s_set_gpr_idx_on s13, gpr_idx(SRC0)
	v_mov_b32_e32 v64, v18
	s_set_gpr_idx_off
	s_add_i32 s15, s8, -5
	ds_read_b128 v[68:71], v17
	ds_read_b128 v[72:75], v17 offset:16
	s_set_gpr_idx_on s14, gpr_idx(SRC0)
	v_mov_b32_e32 v17, v18
	s_set_gpr_idx_off
	s_add_i32 s16, s8, -4
	s_set_gpr_idx_on s15, gpr_idx(SRC0)
	v_mov_b32_e32 v76, v18
	s_set_gpr_idx_off
	s_add_i32 s17, s8, -3
	s_set_gpr_idx_on s16, gpr_idx(SRC0)
	v_mov_b32_e32 v77, v18
	s_set_gpr_idx_off
	s_add_i32 s18, s8, -2
	s_set_gpr_idx_on s17, gpr_idx(SRC0)
	v_mov_b32_e32 v78, v18
	s_set_gpr_idx_off
	s_add_i32 s19, s8, -1
	s_waitcnt lgkmcnt(1)
	v_fmac_f32_e32 v67, v64, v68
	s_set_gpr_idx_on s18, gpr_idx(SRC0)
	v_mov_b32_e32 v68, v18
	s_set_gpr_idx_off
	v_fmac_f32_e32 v67, v17, v69
	s_set_gpr_idx_on s19, gpr_idx(SRC0)
	v_mov_b32_e32 v17, v18
	s_set_gpr_idx_off
	;; [unrolled: 4-line block ×3, first 2 shown]
	v_fmac_f32_e32 v67, v77, v71
	s_add_u32 s8, s8, 8
	s_waitcnt lgkmcnt(0)
	v_fmac_f32_e32 v67, v78, v72
	v_add_u32_e32 v64, s8, v66
	v_fmac_f32_e32 v67, v68, v73
	s_addc_u32 s9, s9, 0
	s_add_i32 s12, s12, 32
	s_add_i32 s13, s8, -7
	v_cmp_eq_u32_e32 vcc, 7, v64
	v_fmac_f32_e32 v67, v17, v74
	v_mov_b32_e32 v64, s13
	s_or_b64 s[10:11], vcc, s[10:11]
	v_fmac_f32_e32 v67, v69, v75
	s_andn2_b64 exec, exec, s[10:11]
	s_cbranch_execnz .LBB78_89
; %bb.90:
	s_or_b64 exec, exec, s[10:11]
.LBB78_91:
	s_or_b64 exec, exec, s[0:1]
	v_and_b32_e32 v33, 7, v0
	v_cmp_ne_u32_e32 vcc, 0, v33
	s_and_saveexec_b64 s[8:9], vcc
	s_cbranch_execz .LBB78_95
; %bb.92:
	v_lshl_add_u32 v66, v64, 2, 64
	v_mov_b32_e32 v17, 0
	s_mov_b64 s[10:11], 0
.LBB78_93:                              ; =>This Inner Loop Header: Depth=1
	v_cmp_eq_u32_e32 vcc, 1, v64
	v_cndmask_b32_e32 v68, v18, v19, vcc
	v_add_u32_e32 v33, -1, v33
	v_cmp_eq_u32_e32 vcc, 2, v64
	v_cndmask_b32_e32 v68, v68, v20, vcc
	v_cmp_eq_u32_e32 vcc, 0, v33
	v_cmp_eq_u32_e64 s[0:1], 3, v64
	v_cndmask_b32_e64 v68, v68, v21, s[0:1]
	s_or_b64 s[10:11], vcc, s[10:11]
	v_cmp_eq_u32_e32 vcc, 4, v64
	v_cndmask_b32_e32 v68, v68, v22, vcc
	v_cmp_eq_u32_e32 vcc, 5, v64
	v_cndmask_b32_e32 v68, v68, v23, vcc
	;; [unrolled: 2-line block ×6, first 2 shown]
	v_cmp_eq_u32_e32 vcc, 10, v64
	ds_read_b32 v69, v66
	v_cndmask_b32_e32 v68, v68, v28, vcc
	v_cmp_eq_u32_e32 vcc, 11, v64
	v_cndmask_b32_e32 v68, v68, v29, vcc
	v_cmp_eq_u32_e32 vcc, 12, v64
	v_cndmask_b32_e32 v68, v68, v30, vcc
	v_cmp_eq_u32_e32 vcc, 13, v64
	v_cndmask_b32_e32 v68, v68, v31, vcc
	v_cmp_eq_u32_e32 vcc, 14, v64
	v_add_co_u32_e64 v64, s[0:1], 1, v64
	v_cndmask_b32_e32 v68, v68, v32, vcc
	v_add_u32_e32 v66, 4, v66
	v_addc_co_u32_e64 v17, s[0:1], 0, v17, s[0:1]
	s_waitcnt lgkmcnt(0)
	v_fmac_f32_e32 v67, v68, v69
	s_andn2_b64 exec, exec, s[10:11]
	s_cbranch_execnz .LBB78_93
; %bb.94:
	s_or_b64 exec, exec, s[10:11]
.LBB78_95:
	s_or_b64 exec, exec, s[8:9]
.LBB78_96:
	s_or_b64 exec, exec, s[6:7]
	v_mov_b32_e32 v17, 0
	ds_read_b32 v17, v17 offset:28
	s_waitcnt lgkmcnt(0)
	v_mul_f32_e32 v25, v67, v17
.LBB78_97:
	s_or_b64 exec, exec, s[4:5]
	v_cmp_lt_u32_e64 s[0:1], 6, v0
	ds_write_b32 v65, v24
	s_waitcnt lgkmcnt(0)
	; wave barrier
	s_waitcnt lgkmcnt(0)
	s_and_saveexec_b64 s[4:5], s[0:1]
	s_cbranch_execz .LBB78_113
; %bb.98:
	s_andn2_b64 vcc, exec, s[30:31]
	s_cbranch_vccnz .LBB78_100
; %bb.99:
	v_cmp_eq_u32_e32 vcc, 1, v0
	v_cndmask_b32_e32 v17, v18, v19, vcc
	v_cmp_eq_u32_e32 vcc, 2, v0
	v_cndmask_b32_e32 v17, v17, v20, vcc
	;; [unrolled: 2-line block ×10, first 2 shown]
	v_cmp_eq_u32_e32 vcc, 11, v0
	ds_read_b32 v64, v65
	v_cndmask_b32_e32 v17, v17, v29, vcc
	v_cmp_eq_u32_e32 vcc, 12, v0
	v_cndmask_b32_e32 v17, v17, v30, vcc
	v_cmp_eq_u32_e32 vcc, 13, v0
	;; [unrolled: 2-line block ×3, first 2 shown]
	v_cndmask_b32_e32 v17, v17, v32, vcc
	s_waitcnt lgkmcnt(0)
	v_mul_f32_e32 v67, v17, v64
	s_cbranch_execz .LBB78_101
	s_branch .LBB78_102
.LBB78_100:
                                        ; implicit-def: $vgpr67
.LBB78_101:
	ds_read_b32 v67, v65
.LBB78_102:
	s_and_saveexec_b64 s[6:7], s[2:3]
	s_cbranch_execz .LBB78_112
; %bb.103:
	v_add_u32_e32 v64, -8, v0
	v_add_u32_e32 v17, -7, v0
	v_cmp_lt_u32_e32 vcc, 6, v64
	v_mov_b32_e32 v64, 7
	s_and_saveexec_b64 s[2:3], vcc
	s_cbranch_execz .LBB78_107
; %bb.104:
	v_and_b32_e32 v64, -8, v17
	v_sub_u32_e32 v66, 0, v64
	s_mov_b64 s[8:9], 14
	s_movk_i32 s12, 0x5c
	s_mov_b64 s[10:11], 0
.LBB78_105:                             ; =>This Inner Loop Header: Depth=1
	s_add_i32 s13, s8, -7
	v_mov_b32_e32 v64, s12
	s_add_i32 s14, s8, -6
	s_set_gpr_idx_on s13, gpr_idx(SRC0)
	v_mov_b32_e32 v74, v18
	s_set_gpr_idx_off
	ds_read2_b32 v[68:69], v64 offset1:1
	s_add_i32 s15, s8, -5
	s_set_gpr_idx_on s14, gpr_idx(SRC0)
	v_mov_b32_e32 v75, v18
	s_set_gpr_idx_off
	s_add_i32 s16, s8, -4
	s_set_gpr_idx_on s15, gpr_idx(SRC0)
	v_mov_b32_e32 v76, v18
	s_set_gpr_idx_off
	ds_read2_b32 v[70:71], v64 offset0:2 offset1:3
	s_add_i32 s17, s8, -3
	s_set_gpr_idx_on s16, gpr_idx(SRC0)
	v_mov_b32_e32 v77, v18
	s_set_gpr_idx_off
	s_add_i32 s18, s8, -2
	s_set_gpr_idx_on s17, gpr_idx(SRC0)
	v_mov_b32_e32 v78, v18
	s_set_gpr_idx_off
	ds_read2_b32 v[72:73], v64 offset0:4 offset1:5
	s_add_i32 s19, s8, -1
	s_waitcnt lgkmcnt(2)
	v_fmac_f32_e32 v67, v74, v68
	s_set_gpr_idx_on s18, gpr_idx(SRC0)
	v_mov_b32_e32 v74, v18
	s_set_gpr_idx_off
	v_fmac_f32_e32 v67, v75, v69
	s_set_gpr_idx_on s19, gpr_idx(SRC0)
	v_mov_b32_e32 v75, v18
	s_set_gpr_idx_off
	ds_read2_b32 v[68:69], v64 offset0:6 offset1:7
	s_waitcnt lgkmcnt(2)
	v_fmac_f32_e32 v67, v76, v70
	s_set_gpr_idx_on s8, gpr_idx(SRC0)
	v_mov_b32_e32 v70, v18
	s_set_gpr_idx_off
	v_fmac_f32_e32 v67, v77, v71
	s_add_u32 s8, s8, 8
	s_waitcnt lgkmcnt(1)
	v_fmac_f32_e32 v67, v78, v72
	v_add_u32_e32 v64, s8, v66
	v_fmac_f32_e32 v67, v74, v73
	s_addc_u32 s9, s9, 0
	s_add_i32 s12, s12, 32
	s_add_i32 s13, s8, -7
	v_cmp_eq_u32_e32 vcc, 14, v64
	s_waitcnt lgkmcnt(0)
	v_fmac_f32_e32 v67, v75, v68
	v_mov_b32_e32 v64, s13
	s_or_b64 s[10:11], vcc, s[10:11]
	v_fmac_f32_e32 v67, v70, v69
	s_andn2_b64 exec, exec, s[10:11]
	s_cbranch_execnz .LBB78_105
; %bb.106:
	s_or_b64 exec, exec, s[10:11]
.LBB78_107:
	s_or_b64 exec, exec, s[2:3]
	v_and_b32_e32 v33, 7, v17
	v_cmp_ne_u32_e32 vcc, 0, v33
	s_and_saveexec_b64 s[8:9], vcc
	s_cbranch_execz .LBB78_111
; %bb.108:
	v_lshl_add_u32 v66, v64, 2, 64
	v_mov_b32_e32 v17, 0
	s_mov_b64 s[10:11], 0
.LBB78_109:                             ; =>This Inner Loop Header: Depth=1
	v_cmp_eq_u32_e32 vcc, 1, v64
	v_cndmask_b32_e32 v68, v18, v19, vcc
	v_add_u32_e32 v33, -1, v33
	v_cmp_eq_u32_e32 vcc, 2, v64
	v_cndmask_b32_e32 v68, v68, v20, vcc
	v_cmp_eq_u32_e32 vcc, 0, v33
	v_cmp_eq_u32_e64 s[2:3], 3, v64
	v_cndmask_b32_e64 v68, v68, v21, s[2:3]
	s_or_b64 s[10:11], vcc, s[10:11]
	v_cmp_eq_u32_e32 vcc, 4, v64
	v_cndmask_b32_e32 v68, v68, v22, vcc
	v_cmp_eq_u32_e32 vcc, 5, v64
	v_cndmask_b32_e32 v68, v68, v23, vcc
	;; [unrolled: 2-line block ×6, first 2 shown]
	v_cmp_eq_u32_e32 vcc, 10, v64
	ds_read_b32 v69, v66
	v_cndmask_b32_e32 v68, v68, v28, vcc
	v_cmp_eq_u32_e32 vcc, 11, v64
	v_cndmask_b32_e32 v68, v68, v29, vcc
	v_cmp_eq_u32_e32 vcc, 12, v64
	;; [unrolled: 2-line block ×4, first 2 shown]
	v_add_co_u32_e64 v64, s[2:3], 1, v64
	v_cndmask_b32_e32 v68, v68, v32, vcc
	v_add_u32_e32 v66, 4, v66
	v_addc_co_u32_e64 v17, s[2:3], 0, v17, s[2:3]
	s_waitcnt lgkmcnt(0)
	v_fmac_f32_e32 v67, v68, v69
	s_andn2_b64 exec, exec, s[10:11]
	s_cbranch_execnz .LBB78_109
; %bb.110:
	s_or_b64 exec, exec, s[10:11]
.LBB78_111:
	s_or_b64 exec, exec, s[8:9]
.LBB78_112:
	s_or_b64 exec, exec, s[6:7]
	v_mov_b32_e32 v17, 0
	ds_read_b32 v17, v17 offset:24
	s_waitcnt lgkmcnt(0)
	v_mul_f32_e32 v24, v67, v17
.LBB78_113:
	s_or_b64 exec, exec, s[4:5]
	v_cmp_lt_u32_e64 s[2:3], 5, v0
	ds_write_b32 v65, v23
	s_waitcnt lgkmcnt(0)
	; wave barrier
	s_waitcnt lgkmcnt(0)
	s_and_saveexec_b64 s[4:5], s[2:3]
	s_cbranch_execz .LBB78_129
; %bb.114:
	s_andn2_b64 vcc, exec, s[30:31]
	s_cbranch_vccnz .LBB78_116
; %bb.115:
	v_cmp_eq_u32_e32 vcc, 1, v0
	v_cndmask_b32_e32 v17, v18, v19, vcc
	v_cmp_eq_u32_e32 vcc, 2, v0
	v_cndmask_b32_e32 v17, v17, v20, vcc
	;; [unrolled: 2-line block ×10, first 2 shown]
	v_cmp_eq_u32_e32 vcc, 11, v0
	ds_read_b32 v64, v65
	v_cndmask_b32_e32 v17, v17, v29, vcc
	v_cmp_eq_u32_e32 vcc, 12, v0
	v_cndmask_b32_e32 v17, v17, v30, vcc
	v_cmp_eq_u32_e32 vcc, 13, v0
	;; [unrolled: 2-line block ×3, first 2 shown]
	v_cndmask_b32_e32 v17, v17, v32, vcc
	s_waitcnt lgkmcnt(0)
	v_mul_f32_e32 v67, v17, v64
	s_cbranch_execz .LBB78_117
	s_branch .LBB78_118
.LBB78_116:
                                        ; implicit-def: $vgpr67
.LBB78_117:
	ds_read_b32 v67, v65
.LBB78_118:
	s_and_saveexec_b64 s[6:7], s[0:1]
	s_cbranch_execz .LBB78_128
; %bb.119:
	v_add_u32_e32 v64, -7, v0
	v_add_u32_e32 v17, -6, v0
	v_cmp_lt_u32_e32 vcc, 6, v64
	v_mov_b32_e32 v64, 6
	s_and_saveexec_b64 s[0:1], vcc
	s_cbranch_execz .LBB78_123
; %bb.120:
	v_and_b32_e32 v64, -8, v17
	v_sub_u32_e32 v66, 0, v64
	s_mov_b64 s[8:9], 13
	s_movk_i32 s12, 0x58
	s_mov_b64 s[10:11], 0
.LBB78_121:                             ; =>This Inner Loop Header: Depth=1
	s_add_i32 s13, s8, -7
	v_mov_b32_e32 v64, s12
	s_add_i32 s14, s8, -6
	s_set_gpr_idx_on s13, gpr_idx(SRC0)
	v_mov_b32_e32 v76, v18
	s_set_gpr_idx_off
	ds_read2_b64 v[68:71], v64 offset1:1
	s_add_i32 s15, s8, -5
	s_set_gpr_idx_on s14, gpr_idx(SRC0)
	v_mov_b32_e32 v77, v18
	s_set_gpr_idx_off
	s_add_i32 s16, s8, -4
	s_set_gpr_idx_on s15, gpr_idx(SRC0)
	v_mov_b32_e32 v78, v18
	s_set_gpr_idx_off
	;; [unrolled: 4-line block ×4, first 2 shown]
	ds_read2_b64 v[72:75], v64 offset0:2 offset1:3
	s_add_i32 s19, s8, -1
	s_waitcnt lgkmcnt(1)
	v_fmac_f32_e32 v67, v76, v68
	s_set_gpr_idx_on s18, gpr_idx(SRC0)
	v_mov_b32_e32 v68, v18
	s_set_gpr_idx_off
	v_fmac_f32_e32 v67, v77, v69
	s_set_gpr_idx_on s19, gpr_idx(SRC0)
	v_mov_b32_e32 v69, v18
	s_set_gpr_idx_off
	;; [unrolled: 4-line block ×3, first 2 shown]
	v_fmac_f32_e32 v67, v79, v71
	s_add_u32 s8, s8, 8
	s_waitcnt lgkmcnt(0)
	v_fmac_f32_e32 v67, v80, v72
	v_add_u32_e32 v64, s8, v66
	v_fmac_f32_e32 v67, v68, v73
	s_addc_u32 s9, s9, 0
	s_add_i32 s12, s12, 32
	s_add_i32 s13, s8, -7
	v_cmp_eq_u32_e32 vcc, 13, v64
	v_fmac_f32_e32 v67, v69, v74
	v_mov_b32_e32 v64, s13
	s_or_b64 s[10:11], vcc, s[10:11]
	v_fmac_f32_e32 v67, v70, v75
	s_andn2_b64 exec, exec, s[10:11]
	s_cbranch_execnz .LBB78_121
; %bb.122:
	s_or_b64 exec, exec, s[10:11]
.LBB78_123:
	s_or_b64 exec, exec, s[0:1]
	v_and_b32_e32 v33, 7, v17
	v_cmp_ne_u32_e32 vcc, 0, v33
	s_and_saveexec_b64 s[8:9], vcc
	s_cbranch_execz .LBB78_127
; %bb.124:
	v_lshl_add_u32 v66, v64, 2, 64
	v_mov_b32_e32 v17, 0
	s_mov_b64 s[10:11], 0
.LBB78_125:                             ; =>This Inner Loop Header: Depth=1
	v_cmp_eq_u32_e32 vcc, 1, v64
	v_cndmask_b32_e32 v68, v18, v19, vcc
	v_add_u32_e32 v33, -1, v33
	v_cmp_eq_u32_e32 vcc, 2, v64
	v_cndmask_b32_e32 v68, v68, v20, vcc
	v_cmp_eq_u32_e32 vcc, 0, v33
	v_cmp_eq_u32_e64 s[0:1], 3, v64
	v_cndmask_b32_e64 v68, v68, v21, s[0:1]
	s_or_b64 s[10:11], vcc, s[10:11]
	v_cmp_eq_u32_e32 vcc, 4, v64
	v_cndmask_b32_e32 v68, v68, v22, vcc
	v_cmp_eq_u32_e32 vcc, 5, v64
	v_cndmask_b32_e32 v68, v68, v23, vcc
	;; [unrolled: 2-line block ×6, first 2 shown]
	v_cmp_eq_u32_e32 vcc, 10, v64
	ds_read_b32 v69, v66
	v_cndmask_b32_e32 v68, v68, v28, vcc
	v_cmp_eq_u32_e32 vcc, 11, v64
	v_cndmask_b32_e32 v68, v68, v29, vcc
	v_cmp_eq_u32_e32 vcc, 12, v64
	;; [unrolled: 2-line block ×4, first 2 shown]
	v_add_co_u32_e64 v64, s[0:1], 1, v64
	v_cndmask_b32_e32 v68, v68, v32, vcc
	v_add_u32_e32 v66, 4, v66
	v_addc_co_u32_e64 v17, s[0:1], 0, v17, s[0:1]
	s_waitcnt lgkmcnt(0)
	v_fmac_f32_e32 v67, v68, v69
	s_andn2_b64 exec, exec, s[10:11]
	s_cbranch_execnz .LBB78_125
; %bb.126:
	s_or_b64 exec, exec, s[10:11]
.LBB78_127:
	s_or_b64 exec, exec, s[8:9]
.LBB78_128:
	s_or_b64 exec, exec, s[6:7]
	v_mov_b32_e32 v17, 0
	ds_read_b32 v17, v17 offset:20
	s_waitcnt lgkmcnt(0)
	v_mul_f32_e32 v23, v67, v17
.LBB78_129:
	s_or_b64 exec, exec, s[4:5]
	v_cmp_lt_u32_e64 s[0:1], 4, v0
	ds_write_b32 v65, v22
	s_waitcnt lgkmcnt(0)
	; wave barrier
	s_waitcnt lgkmcnt(0)
	s_and_saveexec_b64 s[4:5], s[0:1]
	s_cbranch_execz .LBB78_145
; %bb.130:
	s_andn2_b64 vcc, exec, s[30:31]
	s_cbranch_vccnz .LBB78_132
; %bb.131:
	v_cmp_eq_u32_e32 vcc, 1, v0
	v_cndmask_b32_e32 v17, v18, v19, vcc
	v_cmp_eq_u32_e32 vcc, 2, v0
	v_cndmask_b32_e32 v17, v17, v20, vcc
	;; [unrolled: 2-line block ×10, first 2 shown]
	v_cmp_eq_u32_e32 vcc, 11, v0
	ds_read_b32 v64, v65
	v_cndmask_b32_e32 v17, v17, v29, vcc
	v_cmp_eq_u32_e32 vcc, 12, v0
	v_cndmask_b32_e32 v17, v17, v30, vcc
	v_cmp_eq_u32_e32 vcc, 13, v0
	;; [unrolled: 2-line block ×3, first 2 shown]
	v_cndmask_b32_e32 v17, v17, v32, vcc
	s_waitcnt lgkmcnt(0)
	v_mul_f32_e32 v67, v17, v64
	s_cbranch_execz .LBB78_133
	s_branch .LBB78_134
.LBB78_132:
                                        ; implicit-def: $vgpr67
.LBB78_133:
	ds_read_b32 v67, v65
.LBB78_134:
	s_and_saveexec_b64 s[6:7], s[2:3]
	s_cbranch_execz .LBB78_144
; %bb.135:
	v_add_u32_e32 v64, -6, v0
	v_add_u32_e32 v17, -5, v0
	v_cmp_lt_u32_e32 vcc, 6, v64
	v_mov_b32_e32 v64, 5
	s_and_saveexec_b64 s[2:3], vcc
	s_cbranch_execz .LBB78_139
; %bb.136:
	v_and_b32_e32 v64, -8, v17
	v_sub_u32_e32 v66, 0, v64
	s_mov_b64 s[8:9], 12
	s_movk_i32 s12, 0x54
	s_mov_b64 s[10:11], 0
.LBB78_137:                             ; =>This Inner Loop Header: Depth=1
	s_add_i32 s13, s8, -7
	v_mov_b32_e32 v64, s12
	s_add_i32 s14, s8, -6
	s_set_gpr_idx_on s13, gpr_idx(SRC0)
	v_mov_b32_e32 v74, v18
	s_set_gpr_idx_off
	ds_read2_b32 v[68:69], v64 offset1:1
	s_add_i32 s15, s8, -5
	s_set_gpr_idx_on s14, gpr_idx(SRC0)
	v_mov_b32_e32 v75, v18
	s_set_gpr_idx_off
	s_add_i32 s16, s8, -4
	s_set_gpr_idx_on s15, gpr_idx(SRC0)
	v_mov_b32_e32 v76, v18
	s_set_gpr_idx_off
	ds_read2_b32 v[70:71], v64 offset0:2 offset1:3
	s_add_i32 s17, s8, -3
	s_set_gpr_idx_on s16, gpr_idx(SRC0)
	v_mov_b32_e32 v77, v18
	s_set_gpr_idx_off
	s_add_i32 s18, s8, -2
	s_set_gpr_idx_on s17, gpr_idx(SRC0)
	v_mov_b32_e32 v78, v18
	s_set_gpr_idx_off
	ds_read2_b32 v[72:73], v64 offset0:4 offset1:5
	s_add_i32 s19, s8, -1
	s_waitcnt lgkmcnt(2)
	v_fmac_f32_e32 v67, v74, v68
	s_set_gpr_idx_on s18, gpr_idx(SRC0)
	v_mov_b32_e32 v74, v18
	s_set_gpr_idx_off
	v_fmac_f32_e32 v67, v75, v69
	s_set_gpr_idx_on s19, gpr_idx(SRC0)
	v_mov_b32_e32 v75, v18
	s_set_gpr_idx_off
	ds_read2_b32 v[68:69], v64 offset0:6 offset1:7
	s_waitcnt lgkmcnt(2)
	v_fmac_f32_e32 v67, v76, v70
	s_set_gpr_idx_on s8, gpr_idx(SRC0)
	v_mov_b32_e32 v70, v18
	s_set_gpr_idx_off
	v_fmac_f32_e32 v67, v77, v71
	s_add_u32 s8, s8, 8
	s_waitcnt lgkmcnt(1)
	v_fmac_f32_e32 v67, v78, v72
	v_add_u32_e32 v64, s8, v66
	v_fmac_f32_e32 v67, v74, v73
	s_addc_u32 s9, s9, 0
	s_add_i32 s12, s12, 32
	s_add_i32 s13, s8, -7
	v_cmp_eq_u32_e32 vcc, 12, v64
	s_waitcnt lgkmcnt(0)
	v_fmac_f32_e32 v67, v75, v68
	v_mov_b32_e32 v64, s13
	s_or_b64 s[10:11], vcc, s[10:11]
	v_fmac_f32_e32 v67, v70, v69
	s_andn2_b64 exec, exec, s[10:11]
	s_cbranch_execnz .LBB78_137
; %bb.138:
	s_or_b64 exec, exec, s[10:11]
.LBB78_139:
	s_or_b64 exec, exec, s[2:3]
	v_and_b32_e32 v33, 7, v17
	v_cmp_ne_u32_e32 vcc, 0, v33
	s_and_saveexec_b64 s[8:9], vcc
	s_cbranch_execz .LBB78_143
; %bb.140:
	v_lshl_add_u32 v66, v64, 2, 64
	v_mov_b32_e32 v17, 0
	s_mov_b64 s[10:11], 0
.LBB78_141:                             ; =>This Inner Loop Header: Depth=1
	v_cmp_eq_u32_e32 vcc, 1, v64
	v_cndmask_b32_e32 v68, v18, v19, vcc
	v_add_u32_e32 v33, -1, v33
	v_cmp_eq_u32_e32 vcc, 2, v64
	v_cndmask_b32_e32 v68, v68, v20, vcc
	v_cmp_eq_u32_e32 vcc, 0, v33
	v_cmp_eq_u32_e64 s[2:3], 3, v64
	v_cndmask_b32_e64 v68, v68, v21, s[2:3]
	s_or_b64 s[10:11], vcc, s[10:11]
	v_cmp_eq_u32_e32 vcc, 4, v64
	v_cndmask_b32_e32 v68, v68, v22, vcc
	v_cmp_eq_u32_e32 vcc, 5, v64
	v_cndmask_b32_e32 v68, v68, v23, vcc
	;; [unrolled: 2-line block ×6, first 2 shown]
	v_cmp_eq_u32_e32 vcc, 10, v64
	ds_read_b32 v69, v66
	v_cndmask_b32_e32 v68, v68, v28, vcc
	v_cmp_eq_u32_e32 vcc, 11, v64
	v_cndmask_b32_e32 v68, v68, v29, vcc
	v_cmp_eq_u32_e32 vcc, 12, v64
	;; [unrolled: 2-line block ×4, first 2 shown]
	v_add_co_u32_e64 v64, s[2:3], 1, v64
	v_cndmask_b32_e32 v68, v68, v32, vcc
	v_add_u32_e32 v66, 4, v66
	v_addc_co_u32_e64 v17, s[2:3], 0, v17, s[2:3]
	s_waitcnt lgkmcnt(0)
	v_fmac_f32_e32 v67, v68, v69
	s_andn2_b64 exec, exec, s[10:11]
	s_cbranch_execnz .LBB78_141
; %bb.142:
	s_or_b64 exec, exec, s[10:11]
.LBB78_143:
	s_or_b64 exec, exec, s[8:9]
.LBB78_144:
	s_or_b64 exec, exec, s[6:7]
	v_mov_b32_e32 v17, 0
	ds_read_b32 v17, v17 offset:16
	s_waitcnt lgkmcnt(0)
	v_mul_f32_e32 v22, v67, v17
.LBB78_145:
	s_or_b64 exec, exec, s[4:5]
	v_cmp_lt_u32_e64 s[2:3], 3, v0
	ds_write_b32 v65, v21
	s_waitcnt lgkmcnt(0)
	; wave barrier
	s_waitcnt lgkmcnt(0)
	s_and_saveexec_b64 s[4:5], s[2:3]
	s_cbranch_execz .LBB78_161
; %bb.146:
	s_andn2_b64 vcc, exec, s[30:31]
	s_cbranch_vccnz .LBB78_148
; %bb.147:
	v_cmp_eq_u32_e32 vcc, 1, v0
	v_cndmask_b32_e32 v17, v18, v19, vcc
	v_cmp_eq_u32_e32 vcc, 2, v0
	v_cndmask_b32_e32 v17, v17, v20, vcc
	;; [unrolled: 2-line block ×10, first 2 shown]
	v_cmp_eq_u32_e32 vcc, 11, v0
	ds_read_b32 v64, v65
	v_cndmask_b32_e32 v17, v17, v29, vcc
	v_cmp_eq_u32_e32 vcc, 12, v0
	v_cndmask_b32_e32 v17, v17, v30, vcc
	v_cmp_eq_u32_e32 vcc, 13, v0
	;; [unrolled: 2-line block ×3, first 2 shown]
	v_cndmask_b32_e32 v17, v17, v32, vcc
	s_waitcnt lgkmcnt(0)
	v_mul_f32_e32 v67, v17, v64
	s_cbranch_execz .LBB78_149
	s_branch .LBB78_150
.LBB78_148:
                                        ; implicit-def: $vgpr67
.LBB78_149:
	ds_read_b32 v67, v65
.LBB78_150:
	s_and_saveexec_b64 s[6:7], s[0:1]
	s_cbranch_execz .LBB78_160
; %bb.151:
	v_add_u32_e32 v64, -5, v0
	v_add_u32_e32 v17, -4, v0
	v_cmp_lt_u32_e32 vcc, 6, v64
	v_mov_b32_e32 v64, 4
	s_and_saveexec_b64 s[0:1], vcc
	s_cbranch_execz .LBB78_155
; %bb.152:
	v_and_b32_e32 v64, -8, v17
	v_sub_u32_e32 v66, 0, v64
	s_mov_b64 s[8:9], 5
	s_movk_i32 s12, 0x50
	s_mov_b64 s[10:11], 0
.LBB78_153:                             ; =>This Inner Loop Header: Depth=1
	s_add_i32 s13, s8, -1
	v_mov_b32_e32 v64, s12
	s_set_gpr_idx_on s13, gpr_idx(SRC0)
	v_mov_b32_e32 v76, v18
	s_set_gpr_idx_off
	s_add_i32 s14, s8, 1
	ds_read_b128 v[68:71], v64
	ds_read_b128 v[72:75], v64 offset:16
	s_set_gpr_idx_on s8, gpr_idx(SRC0)
	v_mov_b32_e32 v77, v18
	s_set_gpr_idx_off
	s_add_i32 s15, s8, 2
	s_set_gpr_idx_on s14, gpr_idx(SRC0)
	v_mov_b32_e32 v78, v18
	s_set_gpr_idx_off
	s_add_i32 s16, s8, 3
	s_set_gpr_idx_on s15, gpr_idx(SRC0)
	v_mov_b32_e32 v79, v18
	s_set_gpr_idx_off
	s_add_i32 s17, s8, 4
	s_set_gpr_idx_on s16, gpr_idx(SRC0)
	v_mov_b32_e32 v80, v18
	s_set_gpr_idx_off
	s_add_i32 s18, s8, 5
	s_waitcnt lgkmcnt(1)
	v_fmac_f32_e32 v67, v76, v68
	s_set_gpr_idx_on s17, gpr_idx(SRC0)
	v_mov_b32_e32 v68, v18
	s_set_gpr_idx_off
	s_add_i32 s19, s8, 6
	v_fmac_f32_e32 v67, v77, v69
	s_set_gpr_idx_on s18, gpr_idx(SRC0)
	v_mov_b32_e32 v69, v18
	s_set_gpr_idx_off
	v_fmac_f32_e32 v67, v78, v70
	s_set_gpr_idx_on s19, gpr_idx(SRC0)
	v_mov_b32_e32 v70, v18
	s_set_gpr_idx_off
	v_fmac_f32_e32 v67, v79, v71
	s_add_u32 s8, s8, 8
	s_waitcnt lgkmcnt(0)
	v_fmac_f32_e32 v67, v80, v72
	v_add_u32_e32 v64, s8, v66
	v_fmac_f32_e32 v67, v68, v73
	s_addc_u32 s9, s9, 0
	s_add_i32 s12, s12, 32
	s_add_i32 s13, s8, -1
	v_cmp_eq_u32_e32 vcc, 5, v64
	v_fmac_f32_e32 v67, v69, v74
	v_mov_b32_e32 v64, s13
	s_or_b64 s[10:11], vcc, s[10:11]
	v_fmac_f32_e32 v67, v70, v75
	s_andn2_b64 exec, exec, s[10:11]
	s_cbranch_execnz .LBB78_153
; %bb.154:
	s_or_b64 exec, exec, s[10:11]
.LBB78_155:
	s_or_b64 exec, exec, s[0:1]
	v_and_b32_e32 v33, 7, v17
	v_cmp_ne_u32_e32 vcc, 0, v33
	s_and_saveexec_b64 s[8:9], vcc
	s_cbranch_execz .LBB78_159
; %bb.156:
	v_lshl_add_u32 v66, v64, 2, 64
	v_mov_b32_e32 v17, 0
	s_mov_b64 s[10:11], 0
.LBB78_157:                             ; =>This Inner Loop Header: Depth=1
	v_cmp_eq_u32_e32 vcc, 1, v64
	v_cndmask_b32_e32 v68, v18, v19, vcc
	v_add_u32_e32 v33, -1, v33
	v_cmp_eq_u32_e32 vcc, 2, v64
	v_cndmask_b32_e32 v68, v68, v20, vcc
	v_cmp_eq_u32_e32 vcc, 0, v33
	v_cmp_eq_u32_e64 s[0:1], 3, v64
	v_cndmask_b32_e64 v68, v68, v21, s[0:1]
	s_or_b64 s[10:11], vcc, s[10:11]
	v_cmp_eq_u32_e32 vcc, 4, v64
	v_cndmask_b32_e32 v68, v68, v22, vcc
	v_cmp_eq_u32_e32 vcc, 5, v64
	v_cndmask_b32_e32 v68, v68, v23, vcc
	;; [unrolled: 2-line block ×6, first 2 shown]
	v_cmp_eq_u32_e32 vcc, 10, v64
	ds_read_b32 v69, v66
	v_cndmask_b32_e32 v68, v68, v28, vcc
	v_cmp_eq_u32_e32 vcc, 11, v64
	v_cndmask_b32_e32 v68, v68, v29, vcc
	v_cmp_eq_u32_e32 vcc, 12, v64
	;; [unrolled: 2-line block ×4, first 2 shown]
	v_add_co_u32_e64 v64, s[0:1], 1, v64
	v_cndmask_b32_e32 v68, v68, v32, vcc
	v_add_u32_e32 v66, 4, v66
	v_addc_co_u32_e64 v17, s[0:1], 0, v17, s[0:1]
	s_waitcnt lgkmcnt(0)
	v_fmac_f32_e32 v67, v68, v69
	s_andn2_b64 exec, exec, s[10:11]
	s_cbranch_execnz .LBB78_157
; %bb.158:
	s_or_b64 exec, exec, s[10:11]
.LBB78_159:
	s_or_b64 exec, exec, s[8:9]
.LBB78_160:
	s_or_b64 exec, exec, s[6:7]
	v_mov_b32_e32 v17, 0
	ds_read_b32 v17, v17 offset:12
	s_waitcnt lgkmcnt(0)
	v_mul_f32_e32 v21, v67, v17
.LBB78_161:
	s_or_b64 exec, exec, s[4:5]
	v_cmp_lt_u32_e64 s[0:1], 2, v0
	ds_write_b32 v65, v20
	s_waitcnt lgkmcnt(0)
	; wave barrier
	s_waitcnt lgkmcnt(0)
	s_and_saveexec_b64 s[4:5], s[0:1]
	s_cbranch_execz .LBB78_177
; %bb.162:
	s_andn2_b64 vcc, exec, s[30:31]
	s_cbranch_vccnz .LBB78_164
; %bb.163:
	v_cmp_eq_u32_e32 vcc, 1, v0
	v_cndmask_b32_e32 v17, v18, v19, vcc
	v_cmp_eq_u32_e32 vcc, 2, v0
	v_cndmask_b32_e32 v17, v17, v20, vcc
	;; [unrolled: 2-line block ×10, first 2 shown]
	v_cmp_eq_u32_e32 vcc, 11, v0
	ds_read_b32 v64, v65
	v_cndmask_b32_e32 v17, v17, v29, vcc
	v_cmp_eq_u32_e32 vcc, 12, v0
	v_cndmask_b32_e32 v17, v17, v30, vcc
	v_cmp_eq_u32_e32 vcc, 13, v0
	;; [unrolled: 2-line block ×3, first 2 shown]
	v_cndmask_b32_e32 v17, v17, v32, vcc
	s_waitcnt lgkmcnt(0)
	v_mul_f32_e32 v67, v17, v64
	s_cbranch_execz .LBB78_165
	s_branch .LBB78_166
.LBB78_164:
                                        ; implicit-def: $vgpr67
.LBB78_165:
	ds_read_b32 v67, v65
.LBB78_166:
	s_and_saveexec_b64 s[6:7], s[2:3]
	s_cbranch_execz .LBB78_176
; %bb.167:
	v_add_u32_e32 v64, -4, v0
	v_add_u32_e32 v17, -3, v0
	v_cmp_lt_u32_e32 vcc, 6, v64
	v_mov_b32_e32 v64, 3
	s_and_saveexec_b64 s[2:3], vcc
	s_cbranch_execz .LBB78_171
; %bb.168:
	v_and_b32_e32 v64, -8, v17
	v_sub_u32_e32 v66, 0, v64
	s_mov_b64 s[8:9], 10
	s_movk_i32 s12, 0x4c
	s_mov_b64 s[10:11], 0
.LBB78_169:                             ; =>This Inner Loop Header: Depth=1
	s_add_i32 s13, s8, -7
	v_mov_b32_e32 v64, s12
	s_add_i32 s14, s8, -6
	s_set_gpr_idx_on s13, gpr_idx(SRC0)
	v_mov_b32_e32 v74, v18
	s_set_gpr_idx_off
	ds_read2_b32 v[68:69], v64 offset1:1
	s_add_i32 s15, s8, -5
	s_set_gpr_idx_on s14, gpr_idx(SRC0)
	v_mov_b32_e32 v75, v18
	s_set_gpr_idx_off
	s_add_i32 s16, s8, -4
	s_set_gpr_idx_on s15, gpr_idx(SRC0)
	v_mov_b32_e32 v76, v18
	s_set_gpr_idx_off
	ds_read2_b32 v[70:71], v64 offset0:2 offset1:3
	s_add_i32 s17, s8, -3
	s_set_gpr_idx_on s16, gpr_idx(SRC0)
	v_mov_b32_e32 v77, v18
	s_set_gpr_idx_off
	s_add_i32 s18, s8, -2
	s_set_gpr_idx_on s17, gpr_idx(SRC0)
	v_mov_b32_e32 v78, v18
	s_set_gpr_idx_off
	ds_read2_b32 v[72:73], v64 offset0:4 offset1:5
	s_add_i32 s19, s8, -1
	s_waitcnt lgkmcnt(2)
	v_fmac_f32_e32 v67, v74, v68
	s_set_gpr_idx_on s18, gpr_idx(SRC0)
	v_mov_b32_e32 v74, v18
	s_set_gpr_idx_off
	v_fmac_f32_e32 v67, v75, v69
	s_set_gpr_idx_on s19, gpr_idx(SRC0)
	v_mov_b32_e32 v75, v18
	s_set_gpr_idx_off
	ds_read2_b32 v[68:69], v64 offset0:6 offset1:7
	s_waitcnt lgkmcnt(2)
	v_fmac_f32_e32 v67, v76, v70
	s_set_gpr_idx_on s8, gpr_idx(SRC0)
	v_mov_b32_e32 v70, v18
	s_set_gpr_idx_off
	v_fmac_f32_e32 v67, v77, v71
	s_add_u32 s8, s8, 8
	s_waitcnt lgkmcnt(1)
	v_fmac_f32_e32 v67, v78, v72
	v_add_u32_e32 v64, s8, v66
	v_fmac_f32_e32 v67, v74, v73
	s_addc_u32 s9, s9, 0
	s_add_i32 s12, s12, 32
	s_add_i32 s13, s8, -7
	v_cmp_eq_u32_e32 vcc, 10, v64
	s_waitcnt lgkmcnt(0)
	v_fmac_f32_e32 v67, v75, v68
	v_mov_b32_e32 v64, s13
	s_or_b64 s[10:11], vcc, s[10:11]
	v_fmac_f32_e32 v67, v70, v69
	s_andn2_b64 exec, exec, s[10:11]
	s_cbranch_execnz .LBB78_169
; %bb.170:
	s_or_b64 exec, exec, s[10:11]
.LBB78_171:
	s_or_b64 exec, exec, s[2:3]
	v_and_b32_e32 v33, 7, v17
	v_cmp_ne_u32_e32 vcc, 0, v33
	s_and_saveexec_b64 s[8:9], vcc
	s_cbranch_execz .LBB78_175
; %bb.172:
	v_lshl_add_u32 v66, v64, 2, 64
	v_mov_b32_e32 v17, 0
	s_mov_b64 s[10:11], 0
.LBB78_173:                             ; =>This Inner Loop Header: Depth=1
	v_cmp_eq_u32_e32 vcc, 1, v64
	v_cndmask_b32_e32 v68, v18, v19, vcc
	v_add_u32_e32 v33, -1, v33
	v_cmp_eq_u32_e32 vcc, 2, v64
	v_cndmask_b32_e32 v68, v68, v20, vcc
	v_cmp_eq_u32_e32 vcc, 0, v33
	v_cmp_eq_u32_e64 s[2:3], 3, v64
	v_cndmask_b32_e64 v68, v68, v21, s[2:3]
	s_or_b64 s[10:11], vcc, s[10:11]
	v_cmp_eq_u32_e32 vcc, 4, v64
	v_cndmask_b32_e32 v68, v68, v22, vcc
	v_cmp_eq_u32_e32 vcc, 5, v64
	v_cndmask_b32_e32 v68, v68, v23, vcc
	;; [unrolled: 2-line block ×6, first 2 shown]
	v_cmp_eq_u32_e32 vcc, 10, v64
	ds_read_b32 v69, v66
	v_cndmask_b32_e32 v68, v68, v28, vcc
	v_cmp_eq_u32_e32 vcc, 11, v64
	v_cndmask_b32_e32 v68, v68, v29, vcc
	v_cmp_eq_u32_e32 vcc, 12, v64
	;; [unrolled: 2-line block ×4, first 2 shown]
	v_add_co_u32_e64 v64, s[2:3], 1, v64
	v_cndmask_b32_e32 v68, v68, v32, vcc
	v_add_u32_e32 v66, 4, v66
	v_addc_co_u32_e64 v17, s[2:3], 0, v17, s[2:3]
	s_waitcnt lgkmcnt(0)
	v_fmac_f32_e32 v67, v68, v69
	s_andn2_b64 exec, exec, s[10:11]
	s_cbranch_execnz .LBB78_173
; %bb.174:
	s_or_b64 exec, exec, s[10:11]
.LBB78_175:
	s_or_b64 exec, exec, s[8:9]
.LBB78_176:
	s_or_b64 exec, exec, s[6:7]
	v_mov_b32_e32 v17, 0
	ds_read_b32 v17, v17 offset:8
	s_waitcnt lgkmcnt(0)
	v_mul_f32_e32 v20, v67, v17
.LBB78_177:
	s_or_b64 exec, exec, s[4:5]
	v_cmp_lt_u32_e64 s[2:3], 1, v0
	ds_write_b32 v65, v19
	s_waitcnt lgkmcnt(0)
	; wave barrier
	s_waitcnt lgkmcnt(0)
	s_and_saveexec_b64 s[4:5], s[2:3]
	s_cbranch_execz .LBB78_193
; %bb.178:
	s_andn2_b64 vcc, exec, s[30:31]
	s_cbranch_vccnz .LBB78_180
; %bb.179:
	v_cmp_eq_u32_e32 vcc, 1, v0
	v_cndmask_b32_e32 v17, v18, v19, vcc
	v_cmp_eq_u32_e32 vcc, 2, v0
	v_cndmask_b32_e32 v17, v17, v20, vcc
	;; [unrolled: 2-line block ×10, first 2 shown]
	v_cmp_eq_u32_e32 vcc, 11, v0
	ds_read_b32 v64, v65
	v_cndmask_b32_e32 v17, v17, v29, vcc
	v_cmp_eq_u32_e32 vcc, 12, v0
	v_cndmask_b32_e32 v17, v17, v30, vcc
	v_cmp_eq_u32_e32 vcc, 13, v0
	;; [unrolled: 2-line block ×3, first 2 shown]
	v_cndmask_b32_e32 v17, v17, v32, vcc
	s_waitcnt lgkmcnt(0)
	v_mul_f32_e32 v67, v17, v64
	s_cbranch_execz .LBB78_181
	s_branch .LBB78_182
.LBB78_180:
                                        ; implicit-def: $vgpr67
.LBB78_181:
	ds_read_b32 v67, v65
.LBB78_182:
	s_and_saveexec_b64 s[6:7], s[0:1]
	s_cbranch_execz .LBB78_192
; %bb.183:
	v_add_u32_e32 v64, -3, v0
	v_add_u32_e32 v17, -2, v0
	v_cmp_lt_u32_e32 vcc, 6, v64
	v_mov_b32_e32 v64, 2
	s_and_saveexec_b64 s[0:1], vcc
	s_cbranch_execz .LBB78_187
; %bb.184:
	v_and_b32_e32 v64, -8, v17
	v_sub_u32_e32 v66, 0, v64
	s_mov_b64 s[8:9], 9
	s_movk_i32 s12, 0x48
	s_mov_b64 s[10:11], 0
.LBB78_185:                             ; =>This Inner Loop Header: Depth=1
	s_add_i32 s13, s8, -7
	v_mov_b32_e32 v64, s12
	s_add_i32 s14, s8, -6
	s_set_gpr_idx_on s13, gpr_idx(SRC0)
	v_mov_b32_e32 v76, v18
	s_set_gpr_idx_off
	ds_read2_b64 v[68:71], v64 offset1:1
	s_add_i32 s15, s8, -5
	s_set_gpr_idx_on s14, gpr_idx(SRC0)
	v_mov_b32_e32 v77, v18
	s_set_gpr_idx_off
	s_add_i32 s16, s8, -4
	s_set_gpr_idx_on s15, gpr_idx(SRC0)
	v_mov_b32_e32 v78, v18
	s_set_gpr_idx_off
	;; [unrolled: 4-line block ×4, first 2 shown]
	ds_read2_b64 v[72:75], v64 offset0:2 offset1:3
	s_add_i32 s19, s8, -1
	s_waitcnt lgkmcnt(1)
	v_fmac_f32_e32 v67, v76, v68
	s_set_gpr_idx_on s18, gpr_idx(SRC0)
	v_mov_b32_e32 v68, v18
	s_set_gpr_idx_off
	v_fmac_f32_e32 v67, v77, v69
	s_set_gpr_idx_on s19, gpr_idx(SRC0)
	v_mov_b32_e32 v69, v18
	s_set_gpr_idx_off
	;; [unrolled: 4-line block ×3, first 2 shown]
	v_fmac_f32_e32 v67, v79, v71
	s_add_u32 s8, s8, 8
	s_waitcnt lgkmcnt(0)
	v_fmac_f32_e32 v67, v80, v72
	v_add_u32_e32 v64, s8, v66
	v_fmac_f32_e32 v67, v68, v73
	s_addc_u32 s9, s9, 0
	s_add_i32 s12, s12, 32
	s_add_i32 s13, s8, -7
	v_cmp_eq_u32_e32 vcc, 9, v64
	v_fmac_f32_e32 v67, v69, v74
	v_mov_b32_e32 v64, s13
	s_or_b64 s[10:11], vcc, s[10:11]
	v_fmac_f32_e32 v67, v70, v75
	s_andn2_b64 exec, exec, s[10:11]
	s_cbranch_execnz .LBB78_185
; %bb.186:
	s_or_b64 exec, exec, s[10:11]
.LBB78_187:
	s_or_b64 exec, exec, s[0:1]
	v_and_b32_e32 v33, 7, v17
	v_cmp_ne_u32_e32 vcc, 0, v33
	s_and_saveexec_b64 s[8:9], vcc
	s_cbranch_execz .LBB78_191
; %bb.188:
	v_lshl_add_u32 v66, v64, 2, 64
	v_mov_b32_e32 v17, 0
	s_mov_b64 s[10:11], 0
.LBB78_189:                             ; =>This Inner Loop Header: Depth=1
	v_cmp_eq_u32_e32 vcc, 1, v64
	v_cndmask_b32_e32 v68, v18, v19, vcc
	v_add_u32_e32 v33, -1, v33
	v_cmp_eq_u32_e32 vcc, 2, v64
	v_cndmask_b32_e32 v68, v68, v20, vcc
	v_cmp_eq_u32_e32 vcc, 0, v33
	v_cmp_eq_u32_e64 s[0:1], 3, v64
	v_cndmask_b32_e64 v68, v68, v21, s[0:1]
	s_or_b64 s[10:11], vcc, s[10:11]
	v_cmp_eq_u32_e32 vcc, 4, v64
	v_cndmask_b32_e32 v68, v68, v22, vcc
	v_cmp_eq_u32_e32 vcc, 5, v64
	v_cndmask_b32_e32 v68, v68, v23, vcc
	;; [unrolled: 2-line block ×6, first 2 shown]
	v_cmp_eq_u32_e32 vcc, 10, v64
	ds_read_b32 v69, v66
	v_cndmask_b32_e32 v68, v68, v28, vcc
	v_cmp_eq_u32_e32 vcc, 11, v64
	v_cndmask_b32_e32 v68, v68, v29, vcc
	v_cmp_eq_u32_e32 vcc, 12, v64
	;; [unrolled: 2-line block ×4, first 2 shown]
	v_add_co_u32_e64 v64, s[0:1], 1, v64
	v_cndmask_b32_e32 v68, v68, v32, vcc
	v_add_u32_e32 v66, 4, v66
	v_addc_co_u32_e64 v17, s[0:1], 0, v17, s[0:1]
	s_waitcnt lgkmcnt(0)
	v_fmac_f32_e32 v67, v68, v69
	s_andn2_b64 exec, exec, s[10:11]
	s_cbranch_execnz .LBB78_189
; %bb.190:
	s_or_b64 exec, exec, s[10:11]
.LBB78_191:
	s_or_b64 exec, exec, s[8:9]
.LBB78_192:
	s_or_b64 exec, exec, s[6:7]
	v_mov_b32_e32 v17, 0
	ds_read_b32 v17, v17 offset:4
	s_waitcnt lgkmcnt(0)
	v_mul_f32_e32 v19, v67, v17
.LBB78_193:
	s_or_b64 exec, exec, s[4:5]
	v_cmp_ne_u32_e32 vcc, 0, v0
	ds_write_b32 v65, v18
	s_waitcnt lgkmcnt(0)
	; wave barrier
	s_waitcnt lgkmcnt(0)
	s_and_saveexec_b64 s[4:5], vcc
	s_cbranch_execz .LBB78_209
; %bb.194:
	s_andn2_b64 vcc, exec, s[30:31]
	s_cbranch_vccnz .LBB78_196
; %bb.195:
	v_cmp_eq_u32_e32 vcc, 1, v0
	v_cndmask_b32_e32 v17, v18, v19, vcc
	v_cmp_eq_u32_e32 vcc, 2, v0
	v_cndmask_b32_e32 v17, v17, v20, vcc
	;; [unrolled: 2-line block ×10, first 2 shown]
	v_cmp_eq_u32_e32 vcc, 11, v0
	ds_read_b32 v64, v65
	v_cndmask_b32_e32 v17, v17, v29, vcc
	v_cmp_eq_u32_e32 vcc, 12, v0
	v_cndmask_b32_e32 v17, v17, v30, vcc
	v_cmp_eq_u32_e32 vcc, 13, v0
	;; [unrolled: 2-line block ×3, first 2 shown]
	v_cndmask_b32_e32 v17, v17, v32, vcc
	s_waitcnt lgkmcnt(0)
	v_mul_f32_e32 v67, v17, v64
	s_cbranch_execz .LBB78_197
	s_branch .LBB78_198
.LBB78_196:
                                        ; implicit-def: $vgpr67
.LBB78_197:
	ds_read_b32 v67, v65
.LBB78_198:
	s_and_saveexec_b64 s[6:7], s[2:3]
	s_cbranch_execz .LBB78_208
; %bb.199:
	v_add_u32_e32 v64, -2, v0
	v_add_u32_e32 v17, -1, v0
	v_cmp_lt_u32_e32 vcc, 6, v64
	v_mov_b32_e32 v64, 1
	s_and_saveexec_b64 s[0:1], vcc
	s_cbranch_execz .LBB78_203
; %bb.200:
	v_and_b32_e32 v64, -8, v17
	v_sub_u32_e32 v66, 0, v64
	s_mov_b64 s[2:3], 8
	s_movk_i32 s10, 0x44
	s_mov_b64 s[8:9], 0
.LBB78_201:                             ; =>This Inner Loop Header: Depth=1
	s_add_i32 s11, s2, -7
	v_mov_b32_e32 v64, s10
	s_add_i32 s12, s2, -6
	s_set_gpr_idx_on s11, gpr_idx(SRC0)
	v_mov_b32_e32 v74, v18
	s_set_gpr_idx_off
	ds_read2_b32 v[68:69], v64 offset1:1
	s_add_i32 s13, s2, -5
	s_set_gpr_idx_on s12, gpr_idx(SRC0)
	v_mov_b32_e32 v75, v18
	s_set_gpr_idx_off
	s_add_i32 s14, s2, -4
	s_set_gpr_idx_on s13, gpr_idx(SRC0)
	v_mov_b32_e32 v76, v18
	s_set_gpr_idx_off
	ds_read2_b32 v[70:71], v64 offset0:2 offset1:3
	s_add_i32 s15, s2, -3
	s_set_gpr_idx_on s14, gpr_idx(SRC0)
	v_mov_b32_e32 v77, v18
	s_set_gpr_idx_off
	s_add_i32 s16, s2, -2
	s_set_gpr_idx_on s15, gpr_idx(SRC0)
	v_mov_b32_e32 v78, v18
	s_set_gpr_idx_off
	ds_read2_b32 v[72:73], v64 offset0:4 offset1:5
	s_add_i32 s17, s2, -1
	s_waitcnt lgkmcnt(2)
	v_fmac_f32_e32 v67, v74, v68
	s_set_gpr_idx_on s16, gpr_idx(SRC0)
	v_mov_b32_e32 v74, v18
	s_set_gpr_idx_off
	v_fmac_f32_e32 v67, v75, v69
	s_set_gpr_idx_on s17, gpr_idx(SRC0)
	v_mov_b32_e32 v75, v18
	s_set_gpr_idx_off
	ds_read2_b32 v[68:69], v64 offset0:6 offset1:7
	s_waitcnt lgkmcnt(2)
	v_fmac_f32_e32 v67, v76, v70
	s_set_gpr_idx_on s2, gpr_idx(SRC0)
	v_mov_b32_e32 v70, v18
	s_set_gpr_idx_off
	v_fmac_f32_e32 v67, v77, v71
	s_add_u32 s2, s2, 8
	s_waitcnt lgkmcnt(1)
	v_fmac_f32_e32 v67, v78, v72
	v_add_u32_e32 v64, s2, v66
	v_fmac_f32_e32 v67, v74, v73
	s_addc_u32 s3, s3, 0
	s_add_i32 s10, s10, 32
	s_add_i32 s11, s2, -7
	v_cmp_eq_u32_e32 vcc, 8, v64
	s_waitcnt lgkmcnt(0)
	v_fmac_f32_e32 v67, v75, v68
	v_mov_b32_e32 v64, s11
	s_or_b64 s[8:9], vcc, s[8:9]
	v_fmac_f32_e32 v67, v70, v69
	s_andn2_b64 exec, exec, s[8:9]
	s_cbranch_execnz .LBB78_201
; %bb.202:
	s_or_b64 exec, exec, s[8:9]
.LBB78_203:
	s_or_b64 exec, exec, s[0:1]
	v_and_b32_e32 v33, 7, v17
	v_cmp_ne_u32_e32 vcc, 0, v33
	s_and_saveexec_b64 s[2:3], vcc
	s_cbranch_execz .LBB78_207
; %bb.204:
	v_lshl_add_u32 v66, v64, 2, 64
	v_mov_b32_e32 v17, 0
	s_mov_b64 s[8:9], 0
.LBB78_205:                             ; =>This Inner Loop Header: Depth=1
	v_cmp_eq_u32_e32 vcc, 1, v64
	v_cndmask_b32_e32 v68, v18, v19, vcc
	v_add_u32_e32 v33, -1, v33
	v_cmp_eq_u32_e32 vcc, 2, v64
	v_cndmask_b32_e32 v68, v68, v20, vcc
	v_cmp_eq_u32_e32 vcc, 0, v33
	v_cmp_eq_u32_e64 s[0:1], 3, v64
	v_cndmask_b32_e64 v68, v68, v21, s[0:1]
	s_or_b64 s[8:9], vcc, s[8:9]
	v_cmp_eq_u32_e32 vcc, 4, v64
	v_cndmask_b32_e32 v68, v68, v22, vcc
	v_cmp_eq_u32_e32 vcc, 5, v64
	v_cndmask_b32_e32 v68, v68, v23, vcc
	;; [unrolled: 2-line block ×6, first 2 shown]
	v_cmp_eq_u32_e32 vcc, 10, v64
	ds_read_b32 v69, v66
	v_cndmask_b32_e32 v68, v68, v28, vcc
	v_cmp_eq_u32_e32 vcc, 11, v64
	v_cndmask_b32_e32 v68, v68, v29, vcc
	v_cmp_eq_u32_e32 vcc, 12, v64
	v_cndmask_b32_e32 v68, v68, v30, vcc
	v_cmp_eq_u32_e32 vcc, 13, v64
	v_cndmask_b32_e32 v68, v68, v31, vcc
	v_cmp_eq_u32_e32 vcc, 14, v64
	v_add_co_u32_e64 v64, s[0:1], 1, v64
	v_cndmask_b32_e32 v68, v68, v32, vcc
	v_add_u32_e32 v66, 4, v66
	v_addc_co_u32_e64 v17, s[0:1], 0, v17, s[0:1]
	s_waitcnt lgkmcnt(0)
	v_fmac_f32_e32 v67, v68, v69
	s_andn2_b64 exec, exec, s[8:9]
	s_cbranch_execnz .LBB78_205
; %bb.206:
	s_or_b64 exec, exec, s[8:9]
.LBB78_207:
	s_or_b64 exec, exec, s[2:3]
.LBB78_208:
	s_or_b64 exec, exec, s[6:7]
	v_mov_b32_e32 v17, 0
	ds_read_b32 v17, v17
	s_waitcnt lgkmcnt(0)
	v_mul_f32_e32 v18, v67, v17
.LBB78_209:
	s_or_b64 exec, exec, s[4:5]
	s_branch .LBB78_355
.LBB78_210:
	v_cmp_eq_u32_e64 s[2:3], 0, v0
	s_waitcnt vmcnt(14)
	ds_write_b32 v65, v3
	s_waitcnt lgkmcnt(0)
	; wave barrier
	s_waitcnt lgkmcnt(0)
	s_and_saveexec_b64 s[0:1], s[2:3]
	s_cbranch_execz .LBB78_216
; %bb.211:
	s_and_b64 vcc, exec, s[30:31]
	s_cbranch_vccz .LBB78_213
; %bb.212:
	v_cmp_eq_u32_e32 vcc, 1, v0
	s_waitcnt vmcnt(1)
	v_cndmask_b32_e32 v3, v2, v3, vcc
	v_cmp_eq_u32_e32 vcc, 2, v0
	v_cndmask_b32_e32 v3, v3, v4, vcc
	v_cmp_eq_u32_e32 vcc, 3, v0
	;; [unrolled: 2-line block ×10, first 2 shown]
	ds_read_b32 v17, v65
	v_cndmask_b32_e32 v3, v3, v13, vcc
	v_cmp_eq_u32_e32 vcc, 12, v0
	v_cndmask_b32_e32 v3, v3, v14, vcc
	v_cmp_eq_u32_e32 vcc, 13, v0
	;; [unrolled: 2-line block ×3, first 2 shown]
	s_waitcnt vmcnt(0)
	v_cndmask_b32_e32 v3, v3, v16, vcc
	s_waitcnt lgkmcnt(0)
	v_mul_f32_e32 v3, v3, v17
	s_cbranch_execz .LBB78_214
	s_branch .LBB78_215
.LBB78_213:
                                        ; implicit-def: $vgpr3
.LBB78_214:
	ds_read_b32 v3, v65
.LBB78_215:
	v_mov_b32_e32 v17, 0
	ds_read_b32 v17, v17 offset:4
	s_waitcnt lgkmcnt(0)
	v_mul_f32_e32 v3, v3, v17
.LBB78_216:
	s_or_b64 exec, exec, s[0:1]
	v_cndmask_b32_e64 v18, 0, 1, s[30:31]
	v_add_u32_e32 v17, 1, v0
	v_cmp_gt_u32_e32 vcc, 2, v0
	v_cmp_ne_u32_e64 s[0:1], 1, v18
	s_waitcnt vmcnt(13)
	ds_write_b32 v65, v4
	s_waitcnt lgkmcnt(0)
	; wave barrier
	s_waitcnt lgkmcnt(0)
	s_and_saveexec_b64 s[4:5], vcc
	s_cbranch_execz .LBB78_224
; %bb.217:
	s_and_b64 vcc, exec, s[0:1]
	s_cbranch_vccnz .LBB78_219
; %bb.218:
	v_cmp_eq_u32_e32 vcc, 1, v0
	s_waitcnt vmcnt(1)
	v_cndmask_b32_e32 v18, v2, v3, vcc
	v_cmp_eq_u32_e32 vcc, 2, v0
	v_cndmask_b32_e32 v18, v18, v4, vcc
	v_cmp_eq_u32_e32 vcc, 3, v0
	;; [unrolled: 2-line block ×10, first 2 shown]
	ds_read_b32 v19, v65
	v_cndmask_b32_e32 v18, v18, v13, vcc
	v_cmp_eq_u32_e32 vcc, 12, v0
	v_cndmask_b32_e32 v18, v18, v14, vcc
	v_cmp_eq_u32_e32 vcc, 13, v0
	;; [unrolled: 2-line block ×3, first 2 shown]
	s_waitcnt vmcnt(0)
	v_cndmask_b32_e32 v18, v18, v16, vcc
	s_waitcnt lgkmcnt(0)
	v_mul_f32_e32 v18, v18, v19
	s_cbranch_execz .LBB78_220
	s_branch .LBB78_221
.LBB78_219:
                                        ; implicit-def: $vgpr18
.LBB78_220:
	ds_read_b32 v18, v65
.LBB78_221:
	s_and_saveexec_b64 s[6:7], s[2:3]
	s_cbranch_execz .LBB78_223
; %bb.222:
	v_cmp_eq_u32_e32 vcc, 1, v17
	s_waitcnt vmcnt(1)
	v_cndmask_b32_e32 v19, v2, v3, vcc
	v_cmp_eq_u32_e32 vcc, 2, v17
	v_cndmask_b32_e32 v4, v19, v4, vcc
	v_cmp_eq_u32_e32 vcc, 3, v17
	;; [unrolled: 2-line block ×10, first 2 shown]
	ds_read_b32 v19, v65 offset:4
	v_cndmask_b32_e32 v4, v4, v13, vcc
	v_cmp_eq_u32_e32 vcc, 12, v17
	v_cndmask_b32_e32 v4, v4, v14, vcc
	v_cmp_eq_u32_e32 vcc, 13, v17
	;; [unrolled: 2-line block ×3, first 2 shown]
	s_waitcnt vmcnt(0)
	v_cndmask_b32_e32 v4, v4, v16, vcc
	s_waitcnt lgkmcnt(0)
	v_fmac_f32_e32 v18, v4, v19
.LBB78_223:
	s_or_b64 exec, exec, s[6:7]
	v_mov_b32_e32 v4, 0
	ds_read_b32 v4, v4 offset:8
	s_waitcnt lgkmcnt(0)
	v_mul_f32_e32 v4, v18, v4
.LBB78_224:
	s_or_b64 exec, exec, s[4:5]
	v_cmp_gt_u32_e64 s[4:5], 3, v0
	s_waitcnt vmcnt(12)
	ds_write_b32 v65, v5
	s_waitcnt lgkmcnt(0)
	; wave barrier
	s_waitcnt lgkmcnt(0)
	s_and_saveexec_b64 s[6:7], s[4:5]
	s_cbranch_execz .LBB78_232
; %bb.225:
	s_and_b64 vcc, exec, s[0:1]
	s_cbranch_vccnz .LBB78_227
; %bb.226:
	v_cmp_eq_u32_e32 vcc, 1, v0
	s_waitcnt vmcnt(1)
	v_cndmask_b32_e32 v18, v2, v3, vcc
	v_cmp_eq_u32_e32 vcc, 2, v0
	v_cndmask_b32_e32 v18, v18, v4, vcc
	v_cmp_eq_u32_e32 vcc, 3, v0
	;; [unrolled: 2-line block ×10, first 2 shown]
	ds_read_b32 v19, v65
	v_cndmask_b32_e32 v18, v18, v13, vcc
	v_cmp_eq_u32_e32 vcc, 12, v0
	v_cndmask_b32_e32 v18, v18, v14, vcc
	v_cmp_eq_u32_e32 vcc, 13, v0
	;; [unrolled: 2-line block ×3, first 2 shown]
	s_waitcnt vmcnt(0)
	v_cndmask_b32_e32 v18, v18, v16, vcc
	s_waitcnt lgkmcnt(0)
	v_mul_f32_e32 v18, v18, v19
	s_cbranch_execz .LBB78_228
	s_branch .LBB78_229
.LBB78_227:
                                        ; implicit-def: $vgpr18
.LBB78_228:
	ds_read_b32 v18, v65
.LBB78_229:
	v_cmp_ne_u32_e32 vcc, 2, v0
	s_and_saveexec_b64 s[8:9], vcc
	s_cbranch_execz .LBB78_231
; %bb.230:
	v_cmp_eq_u32_e32 vcc, 1, v17
	s_waitcnt vmcnt(1)
	v_cndmask_b32_e32 v19, v2, v3, vcc
	v_cmp_eq_u32_e32 vcc, 2, v17
	v_cndmask_b32_e32 v19, v19, v4, vcc
	v_cmp_eq_u32_e32 vcc, 3, v17
	v_cndmask_b32_e32 v5, v19, v5, vcc
	v_cmp_eq_u32_e32 vcc, 4, v17
	v_cndmask_b32_e32 v5, v5, v6, vcc
	v_cmp_eq_u32_e32 vcc, 5, v17
	v_cndmask_b32_e32 v5, v5, v7, vcc
	v_cmp_eq_u32_e32 vcc, 6, v17
	v_cndmask_b32_e32 v5, v5, v8, vcc
	v_cmp_eq_u32_e32 vcc, 7, v17
	v_cndmask_b32_e32 v5, v5, v9, vcc
	v_cmp_eq_u32_e32 vcc, 8, v17
	v_cndmask_b32_e32 v5, v5, v10, vcc
	v_cmp_eq_u32_e32 vcc, 9, v17
	v_cndmask_b32_e32 v5, v5, v11, vcc
	v_cmp_eq_u32_e32 vcc, 10, v17
	v_cndmask_b32_e32 v5, v5, v12, vcc
	v_cmp_eq_u32_e32 vcc, 11, v17
	v_mov_b32_e32 v19, 0
	v_cndmask_b32_e32 v5, v5, v13, vcc
	v_cmp_eq_u32_e32 vcc, 12, v17
	ds_read_b32 v20, v65 offset:4
	ds_read_b32 v19, v19 offset:72
	v_cndmask_b32_e32 v5, v5, v14, vcc
	v_cmp_eq_u32_e32 vcc, 13, v17
	v_cndmask_b32_e32 v5, v5, v15, vcc
	v_cmp_eq_u32_e32 vcc, 14, v17
	s_waitcnt vmcnt(0)
	v_cndmask_b32_e32 v5, v5, v16, vcc
	s_waitcnt lgkmcnt(1)
	v_fmac_f32_e32 v18, v5, v20
	s_waitcnt lgkmcnt(0)
	v_fma_f32 v5, v4, v19, v18
	v_cndmask_b32_e64 v18, v18, v5, s[2:3]
.LBB78_231:
	s_or_b64 exec, exec, s[8:9]
	v_mov_b32_e32 v5, 0
	ds_read_b32 v5, v5 offset:12
	s_waitcnt lgkmcnt(0)
	v_mul_f32_e32 v5, v18, v5
.LBB78_232:
	s_or_b64 exec, exec, s[6:7]
	v_cmp_gt_u32_e32 vcc, 4, v0
	s_waitcnt vmcnt(11)
	ds_write_b32 v65, v6
	s_waitcnt lgkmcnt(0)
	; wave barrier
	s_waitcnt lgkmcnt(0)
	s_and_saveexec_b64 s[8:9], vcc
	s_cbranch_execz .LBB78_242
; %bb.233:
	s_and_b64 vcc, exec, s[0:1]
	s_cbranch_vccnz .LBB78_235
; %bb.234:
	v_cmp_eq_u32_e32 vcc, 1, v0
	s_waitcnt vmcnt(1)
	v_cndmask_b32_e32 v18, v2, v3, vcc
	v_cmp_eq_u32_e32 vcc, 2, v0
	v_cndmask_b32_e32 v18, v18, v4, vcc
	v_cmp_eq_u32_e32 vcc, 3, v0
	;; [unrolled: 2-line block ×10, first 2 shown]
	ds_read_b32 v19, v65
	v_cndmask_b32_e32 v18, v18, v13, vcc
	v_cmp_eq_u32_e32 vcc, 12, v0
	v_cndmask_b32_e32 v18, v18, v14, vcc
	v_cmp_eq_u32_e32 vcc, 13, v0
	;; [unrolled: 2-line block ×3, first 2 shown]
	s_waitcnt vmcnt(0)
	v_cndmask_b32_e32 v18, v18, v16, vcc
	s_waitcnt lgkmcnt(0)
	v_mul_f32_e32 v20, v18, v19
	s_cbranch_execz .LBB78_236
	s_branch .LBB78_237
.LBB78_235:
                                        ; implicit-def: $vgpr20
.LBB78_236:
	ds_read_b32 v20, v65
.LBB78_237:
	v_cmp_ne_u32_e32 vcc, 3, v0
	s_and_saveexec_b64 s[10:11], vcc
	s_cbranch_execz .LBB78_241
; %bb.238:
	v_mov_b32_e32 v18, 0x44
	v_lshl_add_u32 v21, v0, 2, v18
	s_mov_b64 s[12:13], 0
	v_pk_mov_b32 v[18:19], v[0:1], v[0:1] op_sel:[0,1]
.LBB78_239:                             ; =>This Inner Loop Header: Depth=1
	v_add_co_u32_e32 v18, vcc, 1, v18
	v_addc_co_u32_e32 v19, vcc, 0, v19, vcc
	v_cmp_eq_u32_e32 vcc, 1, v18
	s_waitcnt vmcnt(1)
	v_cndmask_b32_e32 v23, v2, v3, vcc
	v_cmp_lt_u32_e32 vcc, 2, v18
	v_cmp_eq_u32_e64 s[6:7], 2, v18
	v_cndmask_b32_e64 v23, v23, v4, s[6:7]
	s_or_b64 s[12:13], vcc, s[12:13]
	v_cmp_eq_u32_e32 vcc, 3, v18
	v_cndmask_b32_e32 v23, v23, v5, vcc
	v_cmp_eq_u32_e32 vcc, 4, v18
	v_cndmask_b32_e32 v23, v23, v6, vcc
	;; [unrolled: 2-line block ×7, first 2 shown]
	v_cmp_eq_u32_e32 vcc, 10, v18
	ds_read_b32 v22, v21
	v_cndmask_b32_e32 v23, v23, v12, vcc
	v_cmp_eq_u32_e32 vcc, 11, v18
	v_cndmask_b32_e32 v23, v23, v13, vcc
	v_cmp_eq_u32_e32 vcc, 12, v18
	;; [unrolled: 2-line block ×4, first 2 shown]
	s_waitcnt vmcnt(0)
	v_cndmask_b32_e32 v23, v23, v16, vcc
	v_add_u32_e32 v21, 4, v21
	s_waitcnt lgkmcnt(0)
	v_fmac_f32_e32 v20, v23, v22
	s_andn2_b64 exec, exec, s[12:13]
	s_cbranch_execnz .LBB78_239
; %bb.240:
	s_or_b64 exec, exec, s[12:13]
.LBB78_241:
	s_or_b64 exec, exec, s[10:11]
	v_mov_b32_e32 v6, 0
	ds_read_b32 v6, v6 offset:16
	s_waitcnt lgkmcnt(0)
	v_mul_f32_e32 v6, v20, v6
.LBB78_242:
	s_or_b64 exec, exec, s[8:9]
	v_cmp_gt_u32_e64 s[6:7], 5, v0
	s_waitcnt vmcnt(10)
	ds_write_b32 v65, v7
	s_waitcnt lgkmcnt(0)
	; wave barrier
	s_waitcnt lgkmcnt(0)
	s_and_saveexec_b64 s[10:11], s[6:7]
	s_cbranch_execz .LBB78_252
; %bb.243:
	s_and_b64 vcc, exec, s[0:1]
	s_cbranch_vccnz .LBB78_245
; %bb.244:
	v_cmp_eq_u32_e32 vcc, 1, v0
	s_waitcnt vmcnt(1)
	v_cndmask_b32_e32 v18, v2, v3, vcc
	v_cmp_eq_u32_e32 vcc, 2, v0
	v_cndmask_b32_e32 v18, v18, v4, vcc
	v_cmp_eq_u32_e32 vcc, 3, v0
	;; [unrolled: 2-line block ×10, first 2 shown]
	ds_read_b32 v19, v65
	v_cndmask_b32_e32 v18, v18, v13, vcc
	v_cmp_eq_u32_e32 vcc, 12, v0
	v_cndmask_b32_e32 v18, v18, v14, vcc
	v_cmp_eq_u32_e32 vcc, 13, v0
	;; [unrolled: 2-line block ×3, first 2 shown]
	s_waitcnt vmcnt(0)
	v_cndmask_b32_e32 v18, v18, v16, vcc
	s_waitcnt lgkmcnt(0)
	v_mul_f32_e32 v20, v18, v19
	s_cbranch_execz .LBB78_246
	s_branch .LBB78_247
.LBB78_245:
                                        ; implicit-def: $vgpr20
.LBB78_246:
	ds_read_b32 v20, v65
.LBB78_247:
	v_cmp_ne_u32_e32 vcc, 4, v0
	s_and_saveexec_b64 s[12:13], vcc
	s_cbranch_execz .LBB78_251
; %bb.248:
	v_mov_b32_e32 v18, 0x44
	v_lshl_add_u32 v21, v0, 2, v18
	s_mov_b64 s[14:15], 0
	v_pk_mov_b32 v[18:19], v[0:1], v[0:1] op_sel:[0,1]
.LBB78_249:                             ; =>This Inner Loop Header: Depth=1
	v_add_co_u32_e32 v18, vcc, 1, v18
	v_addc_co_u32_e32 v19, vcc, 0, v19, vcc
	v_cmp_eq_u32_e32 vcc, 1, v18
	s_waitcnt vmcnt(1)
	v_cndmask_b32_e32 v23, v2, v3, vcc
	v_cmp_lt_u32_e32 vcc, 3, v18
	v_cmp_eq_u32_e64 s[8:9], 2, v18
	v_cndmask_b32_e64 v23, v23, v4, s[8:9]
	s_or_b64 s[14:15], vcc, s[14:15]
	v_cmp_eq_u32_e32 vcc, 3, v18
	v_cndmask_b32_e32 v23, v23, v5, vcc
	v_cmp_eq_u32_e32 vcc, 4, v18
	v_cndmask_b32_e32 v23, v23, v6, vcc
	;; [unrolled: 2-line block ×7, first 2 shown]
	v_cmp_eq_u32_e32 vcc, 10, v18
	ds_read_b32 v22, v21
	v_cndmask_b32_e32 v23, v23, v12, vcc
	v_cmp_eq_u32_e32 vcc, 11, v18
	v_cndmask_b32_e32 v23, v23, v13, vcc
	v_cmp_eq_u32_e32 vcc, 12, v18
	;; [unrolled: 2-line block ×4, first 2 shown]
	s_waitcnt vmcnt(0)
	v_cndmask_b32_e32 v23, v23, v16, vcc
	v_add_u32_e32 v21, 4, v21
	s_waitcnt lgkmcnt(0)
	v_fmac_f32_e32 v20, v23, v22
	s_andn2_b64 exec, exec, s[14:15]
	s_cbranch_execnz .LBB78_249
; %bb.250:
	s_or_b64 exec, exec, s[14:15]
.LBB78_251:
	s_or_b64 exec, exec, s[12:13]
	v_mov_b32_e32 v7, 0
	ds_read_b32 v7, v7 offset:20
	s_waitcnt lgkmcnt(0)
	v_mul_f32_e32 v7, v20, v7
.LBB78_252:
	s_or_b64 exec, exec, s[10:11]
	v_cmp_gt_u32_e32 vcc, 6, v0
	s_waitcnt vmcnt(9)
	ds_write_b32 v65, v8
	s_waitcnt lgkmcnt(0)
	; wave barrier
	s_waitcnt lgkmcnt(0)
	s_and_saveexec_b64 s[10:11], vcc
	s_cbranch_execz .LBB78_262
; %bb.253:
	s_and_b64 vcc, exec, s[0:1]
	s_cbranch_vccnz .LBB78_255
; %bb.254:
	v_cmp_eq_u32_e32 vcc, 1, v0
	s_waitcnt vmcnt(1)
	v_cndmask_b32_e32 v18, v2, v3, vcc
	v_cmp_eq_u32_e32 vcc, 2, v0
	v_cndmask_b32_e32 v18, v18, v4, vcc
	v_cmp_eq_u32_e32 vcc, 3, v0
	;; [unrolled: 2-line block ×10, first 2 shown]
	ds_read_b32 v19, v65
	v_cndmask_b32_e32 v18, v18, v13, vcc
	v_cmp_eq_u32_e32 vcc, 12, v0
	v_cndmask_b32_e32 v18, v18, v14, vcc
	v_cmp_eq_u32_e32 vcc, 13, v0
	v_cndmask_b32_e32 v18, v18, v15, vcc
	v_cmp_eq_u32_e32 vcc, 14, v0
	s_waitcnt vmcnt(0)
	v_cndmask_b32_e32 v18, v18, v16, vcc
	s_waitcnt lgkmcnt(0)
	v_mul_f32_e32 v20, v18, v19
	s_cbranch_execz .LBB78_256
	s_branch .LBB78_257
.LBB78_255:
                                        ; implicit-def: $vgpr20
.LBB78_256:
	ds_read_b32 v20, v65
.LBB78_257:
	v_cmp_ne_u32_e32 vcc, 5, v0
	s_and_saveexec_b64 s[12:13], vcc
	s_cbranch_execz .LBB78_261
; %bb.258:
	v_mov_b32_e32 v18, 0x44
	v_lshl_add_u32 v21, v0, 2, v18
	s_mov_b64 s[14:15], 0
	v_pk_mov_b32 v[18:19], v[0:1], v[0:1] op_sel:[0,1]
.LBB78_259:                             ; =>This Inner Loop Header: Depth=1
	v_add_co_u32_e32 v18, vcc, 1, v18
	v_addc_co_u32_e32 v19, vcc, 0, v19, vcc
	v_cmp_eq_u32_e32 vcc, 1, v18
	s_waitcnt vmcnt(1)
	v_cndmask_b32_e32 v23, v2, v3, vcc
	v_cmp_lt_u32_e32 vcc, 4, v18
	v_cmp_eq_u32_e64 s[8:9], 2, v18
	v_cndmask_b32_e64 v23, v23, v4, s[8:9]
	s_or_b64 s[14:15], vcc, s[14:15]
	v_cmp_eq_u32_e32 vcc, 3, v18
	v_cndmask_b32_e32 v23, v23, v5, vcc
	v_cmp_eq_u32_e32 vcc, 4, v18
	v_cndmask_b32_e32 v23, v23, v6, vcc
	;; [unrolled: 2-line block ×7, first 2 shown]
	v_cmp_eq_u32_e32 vcc, 10, v18
	ds_read_b32 v22, v21
	v_cndmask_b32_e32 v23, v23, v12, vcc
	v_cmp_eq_u32_e32 vcc, 11, v18
	v_cndmask_b32_e32 v23, v23, v13, vcc
	v_cmp_eq_u32_e32 vcc, 12, v18
	;; [unrolled: 2-line block ×4, first 2 shown]
	s_waitcnt vmcnt(0)
	v_cndmask_b32_e32 v23, v23, v16, vcc
	v_add_u32_e32 v21, 4, v21
	s_waitcnt lgkmcnt(0)
	v_fmac_f32_e32 v20, v23, v22
	s_andn2_b64 exec, exec, s[14:15]
	s_cbranch_execnz .LBB78_259
; %bb.260:
	s_or_b64 exec, exec, s[14:15]
.LBB78_261:
	s_or_b64 exec, exec, s[12:13]
	v_mov_b32_e32 v8, 0
	ds_read_b32 v8, v8 offset:24
	s_waitcnt lgkmcnt(0)
	v_mul_f32_e32 v8, v20, v8
.LBB78_262:
	s_or_b64 exec, exec, s[10:11]
	v_cmp_gt_u32_e64 s[8:9], 7, v0
	s_waitcnt vmcnt(8)
	ds_write_b32 v65, v9
	s_waitcnt lgkmcnt(0)
	; wave barrier
	s_waitcnt lgkmcnt(0)
	s_and_saveexec_b64 s[12:13], s[8:9]
	s_cbranch_execz .LBB78_272
; %bb.263:
	s_and_b64 vcc, exec, s[0:1]
	s_cbranch_vccnz .LBB78_265
; %bb.264:
	v_cmp_eq_u32_e32 vcc, 1, v0
	s_waitcnt vmcnt(1)
	v_cndmask_b32_e32 v18, v2, v3, vcc
	v_cmp_eq_u32_e32 vcc, 2, v0
	v_cndmask_b32_e32 v18, v18, v4, vcc
	v_cmp_eq_u32_e32 vcc, 3, v0
	;; [unrolled: 2-line block ×10, first 2 shown]
	ds_read_b32 v19, v65
	v_cndmask_b32_e32 v18, v18, v13, vcc
	v_cmp_eq_u32_e32 vcc, 12, v0
	v_cndmask_b32_e32 v18, v18, v14, vcc
	v_cmp_eq_u32_e32 vcc, 13, v0
	v_cndmask_b32_e32 v18, v18, v15, vcc
	v_cmp_eq_u32_e32 vcc, 14, v0
	s_waitcnt vmcnt(0)
	v_cndmask_b32_e32 v18, v18, v16, vcc
	s_waitcnt lgkmcnt(0)
	v_mul_f32_e32 v20, v18, v19
	s_cbranch_execz .LBB78_266
	s_branch .LBB78_267
.LBB78_265:
                                        ; implicit-def: $vgpr20
.LBB78_266:
	ds_read_b32 v20, v65
.LBB78_267:
	v_cmp_ne_u32_e32 vcc, 6, v0
	s_and_saveexec_b64 s[14:15], vcc
	s_cbranch_execz .LBB78_271
; %bb.268:
	v_mov_b32_e32 v18, 0x44
	v_lshl_add_u32 v21, v0, 2, v18
	s_mov_b64 s[16:17], 0
	v_pk_mov_b32 v[18:19], v[0:1], v[0:1] op_sel:[0,1]
.LBB78_269:                             ; =>This Inner Loop Header: Depth=1
	v_add_co_u32_e32 v18, vcc, 1, v18
	v_addc_co_u32_e32 v19, vcc, 0, v19, vcc
	v_cmp_eq_u32_e32 vcc, 1, v18
	s_waitcnt vmcnt(1)
	v_cndmask_b32_e32 v23, v2, v3, vcc
	v_cmp_lt_u32_e32 vcc, 5, v18
	v_cmp_eq_u32_e64 s[10:11], 2, v18
	v_cndmask_b32_e64 v23, v23, v4, s[10:11]
	s_or_b64 s[16:17], vcc, s[16:17]
	v_cmp_eq_u32_e32 vcc, 3, v18
	v_cndmask_b32_e32 v23, v23, v5, vcc
	v_cmp_eq_u32_e32 vcc, 4, v18
	v_cndmask_b32_e32 v23, v23, v6, vcc
	;; [unrolled: 2-line block ×7, first 2 shown]
	v_cmp_eq_u32_e32 vcc, 10, v18
	ds_read_b32 v22, v21
	v_cndmask_b32_e32 v23, v23, v12, vcc
	v_cmp_eq_u32_e32 vcc, 11, v18
	v_cndmask_b32_e32 v23, v23, v13, vcc
	v_cmp_eq_u32_e32 vcc, 12, v18
	;; [unrolled: 2-line block ×4, first 2 shown]
	s_waitcnt vmcnt(0)
	v_cndmask_b32_e32 v23, v23, v16, vcc
	v_add_u32_e32 v21, 4, v21
	s_waitcnt lgkmcnt(0)
	v_fmac_f32_e32 v20, v23, v22
	s_andn2_b64 exec, exec, s[16:17]
	s_cbranch_execnz .LBB78_269
; %bb.270:
	s_or_b64 exec, exec, s[16:17]
.LBB78_271:
	s_or_b64 exec, exec, s[14:15]
	v_mov_b32_e32 v9, 0
	ds_read_b32 v9, v9 offset:28
	s_waitcnt lgkmcnt(0)
	v_mul_f32_e32 v9, v20, v9
.LBB78_272:
	s_or_b64 exec, exec, s[12:13]
	v_cmp_gt_u32_e32 vcc, 8, v0
	s_waitcnt vmcnt(7)
	ds_write_b32 v65, v10
	s_waitcnt lgkmcnt(0)
	; wave barrier
	s_waitcnt lgkmcnt(0)
	s_and_saveexec_b64 s[12:13], vcc
	s_cbranch_execz .LBB78_282
; %bb.273:
	s_and_b64 vcc, exec, s[0:1]
	s_cbranch_vccnz .LBB78_275
; %bb.274:
	v_cmp_eq_u32_e32 vcc, 1, v0
	s_waitcnt vmcnt(1)
	v_cndmask_b32_e32 v18, v2, v3, vcc
	v_cmp_eq_u32_e32 vcc, 2, v0
	v_cndmask_b32_e32 v18, v18, v4, vcc
	v_cmp_eq_u32_e32 vcc, 3, v0
	;; [unrolled: 2-line block ×10, first 2 shown]
	ds_read_b32 v19, v65
	v_cndmask_b32_e32 v18, v18, v13, vcc
	v_cmp_eq_u32_e32 vcc, 12, v0
	v_cndmask_b32_e32 v18, v18, v14, vcc
	v_cmp_eq_u32_e32 vcc, 13, v0
	;; [unrolled: 2-line block ×3, first 2 shown]
	s_waitcnt vmcnt(0)
	v_cndmask_b32_e32 v18, v18, v16, vcc
	s_waitcnt lgkmcnt(0)
	v_mul_f32_e32 v20, v18, v19
	s_cbranch_execz .LBB78_276
	s_branch .LBB78_277
.LBB78_275:
                                        ; implicit-def: $vgpr20
.LBB78_276:
	ds_read_b32 v20, v65
.LBB78_277:
	v_cmp_ne_u32_e32 vcc, 7, v0
	s_and_saveexec_b64 s[14:15], vcc
	s_cbranch_execz .LBB78_281
; %bb.278:
	v_mov_b32_e32 v18, 0x44
	v_lshl_add_u32 v21, v0, 2, v18
	s_mov_b64 s[16:17], 0
	v_pk_mov_b32 v[18:19], v[0:1], v[0:1] op_sel:[0,1]
.LBB78_279:                             ; =>This Inner Loop Header: Depth=1
	v_add_co_u32_e32 v18, vcc, 1, v18
	v_addc_co_u32_e32 v19, vcc, 0, v19, vcc
	v_cmp_eq_u32_e32 vcc, 1, v18
	s_waitcnt vmcnt(1)
	v_cndmask_b32_e32 v23, v2, v3, vcc
	v_cmp_lt_u32_e32 vcc, 6, v18
	v_cmp_eq_u32_e64 s[10:11], 2, v18
	v_cndmask_b32_e64 v23, v23, v4, s[10:11]
	s_or_b64 s[16:17], vcc, s[16:17]
	v_cmp_eq_u32_e32 vcc, 3, v18
	v_cndmask_b32_e32 v23, v23, v5, vcc
	v_cmp_eq_u32_e32 vcc, 4, v18
	v_cndmask_b32_e32 v23, v23, v6, vcc
	;; [unrolled: 2-line block ×7, first 2 shown]
	v_cmp_eq_u32_e32 vcc, 10, v18
	ds_read_b32 v22, v21
	v_cndmask_b32_e32 v23, v23, v12, vcc
	v_cmp_eq_u32_e32 vcc, 11, v18
	v_cndmask_b32_e32 v23, v23, v13, vcc
	v_cmp_eq_u32_e32 vcc, 12, v18
	;; [unrolled: 2-line block ×4, first 2 shown]
	s_waitcnt vmcnt(0)
	v_cndmask_b32_e32 v23, v23, v16, vcc
	v_add_u32_e32 v21, 4, v21
	s_waitcnt lgkmcnt(0)
	v_fmac_f32_e32 v20, v23, v22
	s_andn2_b64 exec, exec, s[16:17]
	s_cbranch_execnz .LBB78_279
; %bb.280:
	s_or_b64 exec, exec, s[16:17]
.LBB78_281:
	s_or_b64 exec, exec, s[14:15]
	v_mov_b32_e32 v10, 0
	ds_read_b32 v10, v10 offset:32
	s_waitcnt lgkmcnt(0)
	v_mul_f32_e32 v10, v20, v10
.LBB78_282:
	s_or_b64 exec, exec, s[12:13]
	v_cmp_gt_u32_e32 vcc, 9, v0
	s_waitcnt vmcnt(6)
	ds_write_b32 v65, v11
	s_waitcnt lgkmcnt(0)
	; wave barrier
	s_waitcnt lgkmcnt(0)
	s_and_saveexec_b64 s[10:11], vcc
	s_cbranch_execz .LBB78_304
; %bb.283:
	s_and_b64 vcc, exec, s[0:1]
	s_cbranch_vccnz .LBB78_285
; %bb.284:
	v_cmp_eq_u32_e32 vcc, 1, v0
	s_waitcnt vmcnt(1)
	v_cndmask_b32_e32 v18, v2, v3, vcc
	v_cmp_eq_u32_e32 vcc, 2, v0
	v_cndmask_b32_e32 v18, v18, v4, vcc
	v_cmp_eq_u32_e32 vcc, 3, v0
	;; [unrolled: 2-line block ×10, first 2 shown]
	ds_read_b32 v19, v65
	v_cndmask_b32_e32 v18, v18, v13, vcc
	v_cmp_eq_u32_e32 vcc, 12, v0
	v_cndmask_b32_e32 v18, v18, v14, vcc
	v_cmp_eq_u32_e32 vcc, 13, v0
	v_cndmask_b32_e32 v18, v18, v15, vcc
	v_cmp_eq_u32_e32 vcc, 14, v0
	s_waitcnt vmcnt(0)
	v_cndmask_b32_e32 v18, v18, v16, vcc
	s_waitcnt lgkmcnt(0)
	v_mul_f32_e32 v18, v18, v19
	s_cbranch_execz .LBB78_286
	s_branch .LBB78_287
.LBB78_285:
                                        ; implicit-def: $vgpr18
.LBB78_286:
	ds_read_b32 v18, v65
.LBB78_287:
	v_cmp_ne_u32_e32 vcc, 8, v0
	s_and_saveexec_b64 s[12:13], vcc
	s_cbranch_execz .LBB78_303
; %bb.288:
	v_cmp_eq_u32_e32 vcc, 1, v17
	s_waitcnt vmcnt(1)
	v_cndmask_b32_e32 v19, v2, v3, vcc
	v_cmp_eq_u32_e32 vcc, 2, v17
	v_cndmask_b32_e32 v19, v19, v4, vcc
	v_cmp_eq_u32_e32 vcc, 3, v17
	v_cndmask_b32_e32 v19, v19, v5, vcc
	v_cmp_eq_u32_e32 vcc, 4, v17
	v_cndmask_b32_e32 v19, v19, v6, vcc
	v_cmp_eq_u32_e32 vcc, 5, v17
	v_cndmask_b32_e32 v19, v19, v7, vcc
	v_cmp_eq_u32_e32 vcc, 6, v17
	v_cndmask_b32_e32 v19, v19, v8, vcc
	v_cmp_eq_u32_e32 vcc, 7, v17
	v_cndmask_b32_e32 v19, v19, v9, vcc
	v_cmp_eq_u32_e32 vcc, 8, v17
	v_cndmask_b32_e32 v19, v19, v10, vcc
	v_cmp_eq_u32_e32 vcc, 9, v17
	v_cndmask_b32_e32 v19, v19, v11, vcc
	v_cmp_eq_u32_e32 vcc, 10, v17
	v_cndmask_b32_e32 v19, v19, v12, vcc
	v_cmp_eq_u32_e32 vcc, 11, v17
	ds_read_b32 v20, v65 offset:4
	v_cndmask_b32_e32 v19, v19, v13, vcc
	v_cmp_eq_u32_e32 vcc, 12, v17
	v_cndmask_b32_e32 v19, v19, v14, vcc
	v_cmp_eq_u32_e32 vcc, 13, v17
	v_cndmask_b32_e32 v19, v19, v15, vcc
	v_cmp_eq_u32_e32 vcc, 14, v17
	s_waitcnt vmcnt(0)
	v_cndmask_b32_e32 v17, v19, v16, vcc
	s_waitcnt lgkmcnt(0)
	v_fmac_f32_e32 v18, v17, v20
	s_and_saveexec_b64 s[14:15], s[8:9]
	s_cbranch_execz .LBB78_302
; %bb.289:
	v_add_u32_e32 v17, 2, v0
	v_cmp_eq_u32_e32 vcc, 1, v17
	v_cndmask_b32_e32 v19, v2, v3, vcc
	v_cmp_eq_u32_e32 vcc, 2, v17
	v_cndmask_b32_e32 v19, v19, v4, vcc
	;; [unrolled: 2-line block ×10, first 2 shown]
	v_cmp_eq_u32_e32 vcc, 11, v17
	ds_read_b32 v20, v65 offset:8
	v_cndmask_b32_e32 v19, v19, v13, vcc
	v_cmp_eq_u32_e32 vcc, 12, v17
	v_cndmask_b32_e32 v19, v19, v14, vcc
	v_cmp_eq_u32_e32 vcc, 13, v17
	;; [unrolled: 2-line block ×3, first 2 shown]
	v_cndmask_b32_e32 v17, v19, v16, vcc
	s_waitcnt lgkmcnt(0)
	v_fmac_f32_e32 v18, v17, v20
	v_cmp_ne_u32_e32 vcc, 6, v0
	s_and_saveexec_b64 s[8:9], vcc
	s_cbranch_execz .LBB78_301
; %bb.290:
	v_add_u32_e32 v17, 3, v0
	v_cmp_eq_u32_e32 vcc, 1, v17
	v_cndmask_b32_e32 v19, v2, v3, vcc
	v_cmp_eq_u32_e32 vcc, 2, v17
	v_cndmask_b32_e32 v19, v19, v4, vcc
	;; [unrolled: 2-line block ×10, first 2 shown]
	v_cmp_eq_u32_e32 vcc, 11, v17
	ds_read_b32 v20, v65 offset:12
	v_cndmask_b32_e32 v19, v19, v13, vcc
	v_cmp_eq_u32_e32 vcc, 12, v17
	v_cndmask_b32_e32 v19, v19, v14, vcc
	v_cmp_eq_u32_e32 vcc, 13, v17
	;; [unrolled: 2-line block ×3, first 2 shown]
	v_cndmask_b32_e32 v17, v19, v16, vcc
	s_waitcnt lgkmcnt(0)
	v_fmac_f32_e32 v18, v17, v20
	s_and_saveexec_b64 s[16:17], s[6:7]
	s_cbranch_execz .LBB78_300
; %bb.291:
	v_add_u32_e32 v17, 4, v0
	v_cmp_eq_u32_e32 vcc, 1, v17
	v_cndmask_b32_e32 v19, v2, v3, vcc
	v_cmp_eq_u32_e32 vcc, 2, v17
	v_cndmask_b32_e32 v19, v19, v4, vcc
	;; [unrolled: 2-line block ×10, first 2 shown]
	v_cmp_eq_u32_e32 vcc, 11, v17
	ds_read_b32 v20, v65 offset:16
	v_cndmask_b32_e32 v19, v19, v13, vcc
	v_cmp_eq_u32_e32 vcc, 12, v17
	v_cndmask_b32_e32 v19, v19, v14, vcc
	v_cmp_eq_u32_e32 vcc, 13, v17
	;; [unrolled: 2-line block ×3, first 2 shown]
	v_cndmask_b32_e32 v17, v19, v16, vcc
	s_waitcnt lgkmcnt(0)
	v_fmac_f32_e32 v18, v17, v20
	v_cmp_ne_u32_e32 vcc, 4, v0
	s_and_saveexec_b64 s[6:7], vcc
	s_cbranch_execz .LBB78_299
; %bb.292:
	v_add_u32_e32 v17, 5, v0
	v_cmp_eq_u32_e32 vcc, 1, v17
	v_cndmask_b32_e32 v19, v2, v3, vcc
	v_cmp_eq_u32_e32 vcc, 2, v17
	v_cndmask_b32_e32 v19, v19, v4, vcc
	v_cmp_eq_u32_e32 vcc, 3, v17
	v_cndmask_b32_e32 v19, v19, v5, vcc
	v_cmp_eq_u32_e32 vcc, 4, v17
	v_cndmask_b32_e32 v19, v19, v6, vcc
	v_cmp_eq_u32_e32 vcc, 5, v17
	v_cndmask_b32_e32 v19, v19, v7, vcc
	v_cmp_eq_u32_e32 vcc, 6, v17
	v_cndmask_b32_e32 v19, v19, v8, vcc
	v_cmp_eq_u32_e32 vcc, 7, v17
	v_cndmask_b32_e32 v19, v19, v9, vcc
	v_cmp_eq_u32_e32 vcc, 8, v17
	v_cndmask_b32_e32 v19, v19, v10, vcc
	v_cmp_eq_u32_e32 vcc, 9, v17
	v_cndmask_b32_e32 v19, v19, v11, vcc
	v_cmp_eq_u32_e32 vcc, 10, v17
	v_cndmask_b32_e32 v19, v19, v12, vcc
	v_cmp_eq_u32_e32 vcc, 11, v17
	ds_read_b32 v20, v65 offset:20
	v_cndmask_b32_e32 v19, v19, v13, vcc
	v_cmp_eq_u32_e32 vcc, 12, v17
	v_cndmask_b32_e32 v19, v19, v14, vcc
	v_cmp_eq_u32_e32 vcc, 13, v17
	;; [unrolled: 2-line block ×3, first 2 shown]
	v_cndmask_b32_e32 v17, v19, v16, vcc
	s_waitcnt lgkmcnt(0)
	v_fmac_f32_e32 v18, v17, v20
	s_and_saveexec_b64 s[18:19], s[4:5]
	s_cbranch_execz .LBB78_298
; %bb.293:
	v_add_u32_e32 v17, 6, v0
	v_cmp_eq_u32_e32 vcc, 1, v17
	v_cndmask_b32_e32 v19, v2, v3, vcc
	v_cmp_eq_u32_e32 vcc, 2, v17
	v_cndmask_b32_e32 v19, v19, v4, vcc
	;; [unrolled: 2-line block ×10, first 2 shown]
	v_cmp_eq_u32_e32 vcc, 11, v17
	ds_read_b32 v20, v65 offset:24
	v_cndmask_b32_e32 v19, v19, v13, vcc
	v_cmp_eq_u32_e32 vcc, 12, v17
	v_cndmask_b32_e32 v19, v19, v14, vcc
	v_cmp_eq_u32_e32 vcc, 13, v17
	v_cndmask_b32_e32 v19, v19, v15, vcc
	v_cmp_eq_u32_e32 vcc, 14, v17
	v_cndmask_b32_e32 v17, v19, v16, vcc
	s_waitcnt lgkmcnt(0)
	v_fmac_f32_e32 v18, v17, v20
	v_cmp_ne_u32_e32 vcc, 2, v0
	s_and_saveexec_b64 s[4:5], vcc
	s_cbranch_execz .LBB78_297
; %bb.294:
	v_add_u32_e32 v17, 7, v0
	v_cmp_eq_u32_e32 vcc, 1, v17
	v_cndmask_b32_e32 v19, v2, v3, vcc
	v_cmp_eq_u32_e32 vcc, 2, v17
	v_cndmask_b32_e32 v19, v19, v4, vcc
	;; [unrolled: 2-line block ×10, first 2 shown]
	v_cmp_eq_u32_e32 vcc, 11, v17
	ds_read_b32 v19, v65 offset:28
	v_cndmask_b32_e32 v11, v11, v13, vcc
	v_cmp_eq_u32_e32 vcc, 12, v17
	v_cndmask_b32_e32 v11, v11, v14, vcc
	v_cmp_eq_u32_e32 vcc, 13, v17
	;; [unrolled: 2-line block ×3, first 2 shown]
	v_cndmask_b32_e32 v11, v11, v16, vcc
	s_waitcnt lgkmcnt(0)
	v_fmac_f32_e32 v18, v11, v19
	s_and_saveexec_b64 s[20:21], s[2:3]
	s_cbranch_execz .LBB78_296
; %bb.295:
	ds_read_b32 v11, v65 offset:32
	s_waitcnt lgkmcnt(0)
	v_fmac_f32_e32 v18, v10, v11
.LBB78_296:
	s_or_b64 exec, exec, s[20:21]
.LBB78_297:
	s_or_b64 exec, exec, s[4:5]
.LBB78_298:
	s_or_b64 exec, exec, s[18:19]
.LBB78_299:
	s_or_b64 exec, exec, s[6:7]
.LBB78_300:
	s_or_b64 exec, exec, s[16:17]
.LBB78_301:
	s_or_b64 exec, exec, s[8:9]
.LBB78_302:
	s_or_b64 exec, exec, s[14:15]
.LBB78_303:
	s_or_b64 exec, exec, s[12:13]
	v_mov_b32_e32 v11, 0
	ds_read_b32 v11, v11 offset:36
	s_waitcnt lgkmcnt(0)
	v_mul_f32_e32 v11, v18, v11
.LBB78_304:
	s_or_b64 exec, exec, s[10:11]
	v_cmp_gt_u32_e32 vcc, 10, v0
	s_waitcnt vmcnt(5)
	ds_write_b32 v65, v12
	s_waitcnt lgkmcnt(0)
	; wave barrier
	s_waitcnt lgkmcnt(0)
	s_and_saveexec_b64 s[4:5], vcc
	s_cbranch_execz .LBB78_314
; %bb.305:
	s_and_b64 vcc, exec, s[0:1]
	s_cbranch_vccnz .LBB78_307
; %bb.306:
	v_cmp_eq_u32_e32 vcc, 1, v0
	s_waitcnt vmcnt(1)
	v_cndmask_b32_e32 v17, v2, v3, vcc
	v_cmp_eq_u32_e32 vcc, 2, v0
	v_cndmask_b32_e32 v17, v17, v4, vcc
	v_cmp_eq_u32_e32 vcc, 3, v0
	;; [unrolled: 2-line block ×10, first 2 shown]
	ds_read_b32 v18, v65
	v_cndmask_b32_e32 v17, v17, v13, vcc
	v_cmp_eq_u32_e32 vcc, 12, v0
	v_cndmask_b32_e32 v17, v17, v14, vcc
	v_cmp_eq_u32_e32 vcc, 13, v0
	;; [unrolled: 2-line block ×3, first 2 shown]
	s_waitcnt vmcnt(0)
	v_cndmask_b32_e32 v17, v17, v16, vcc
	s_waitcnt lgkmcnt(0)
	v_mul_f32_e32 v17, v17, v18
	s_cbranch_execz .LBB78_308
	s_branch .LBB78_309
.LBB78_307:
                                        ; implicit-def: $vgpr17
.LBB78_308:
	ds_read_b32 v17, v65
.LBB78_309:
	v_cmp_ne_u32_e32 vcc, 9, v0
	s_and_saveexec_b64 s[6:7], vcc
	s_cbranch_execz .LBB78_313
; %bb.310:
	v_mov_b32_e32 v18, 0x44
	v_lshl_add_u32 v20, v0, 2, v18
	s_mov_b64 s[8:9], 0
	v_pk_mov_b32 v[18:19], v[0:1], v[0:1] op_sel:[0,1]
.LBB78_311:                             ; =>This Inner Loop Header: Depth=1
	v_add_co_u32_e32 v18, vcc, 1, v18
	v_addc_co_u32_e32 v19, vcc, 0, v19, vcc
	v_cmp_eq_u32_e32 vcc, 1, v18
	s_waitcnt vmcnt(1)
	v_cndmask_b32_e32 v22, v2, v3, vcc
	v_cmp_lt_u32_e32 vcc, 8, v18
	v_cmp_eq_u32_e64 s[2:3], 2, v18
	v_cndmask_b32_e64 v22, v22, v4, s[2:3]
	s_or_b64 s[8:9], vcc, s[8:9]
	v_cmp_eq_u32_e32 vcc, 3, v18
	v_cndmask_b32_e32 v22, v22, v5, vcc
	v_cmp_eq_u32_e32 vcc, 4, v18
	v_cndmask_b32_e32 v22, v22, v6, vcc
	;; [unrolled: 2-line block ×7, first 2 shown]
	v_cmp_eq_u32_e32 vcc, 10, v18
	ds_read_b32 v21, v20
	v_cndmask_b32_e32 v22, v22, v12, vcc
	v_cmp_eq_u32_e32 vcc, 11, v18
	v_cndmask_b32_e32 v22, v22, v13, vcc
	v_cmp_eq_u32_e32 vcc, 12, v18
	;; [unrolled: 2-line block ×4, first 2 shown]
	s_waitcnt vmcnt(0)
	v_cndmask_b32_e32 v22, v22, v16, vcc
	v_add_u32_e32 v20, 4, v20
	s_waitcnt lgkmcnt(0)
	v_fmac_f32_e32 v17, v22, v21
	s_andn2_b64 exec, exec, s[8:9]
	s_cbranch_execnz .LBB78_311
; %bb.312:
	s_or_b64 exec, exec, s[8:9]
.LBB78_313:
	s_or_b64 exec, exec, s[6:7]
	v_mov_b32_e32 v12, 0
	ds_read_b32 v12, v12 offset:40
	s_waitcnt lgkmcnt(0)
	v_mul_f32_e32 v12, v17, v12
.LBB78_314:
	s_or_b64 exec, exec, s[4:5]
	v_cmp_gt_u32_e32 vcc, 11, v0
	s_waitcnt vmcnt(4)
	ds_write_b32 v65, v13
	s_waitcnt lgkmcnt(0)
	; wave barrier
	s_waitcnt lgkmcnt(0)
	s_and_saveexec_b64 s[4:5], vcc
	s_cbranch_execz .LBB78_324
; %bb.315:
	s_and_b64 vcc, exec, s[0:1]
	s_cbranch_vccnz .LBB78_317
; %bb.316:
	v_cmp_eq_u32_e32 vcc, 1, v0
	s_waitcnt vmcnt(1)
	v_cndmask_b32_e32 v17, v2, v3, vcc
	v_cmp_eq_u32_e32 vcc, 2, v0
	v_cndmask_b32_e32 v17, v17, v4, vcc
	v_cmp_eq_u32_e32 vcc, 3, v0
	;; [unrolled: 2-line block ×10, first 2 shown]
	ds_read_b32 v18, v65
	v_cndmask_b32_e32 v17, v17, v13, vcc
	v_cmp_eq_u32_e32 vcc, 12, v0
	v_cndmask_b32_e32 v17, v17, v14, vcc
	v_cmp_eq_u32_e32 vcc, 13, v0
	;; [unrolled: 2-line block ×3, first 2 shown]
	s_waitcnt vmcnt(0)
	v_cndmask_b32_e32 v17, v17, v16, vcc
	s_waitcnt lgkmcnt(0)
	v_mul_f32_e32 v17, v17, v18
	s_cbranch_execz .LBB78_318
	s_branch .LBB78_319
.LBB78_317:
                                        ; implicit-def: $vgpr17
.LBB78_318:
	ds_read_b32 v17, v65
.LBB78_319:
	v_cmp_ne_u32_e32 vcc, 10, v0
	s_and_saveexec_b64 s[6:7], vcc
	s_cbranch_execz .LBB78_323
; %bb.320:
	v_mov_b32_e32 v18, 0x44
	v_lshl_add_u32 v20, v0, 2, v18
	s_mov_b64 s[8:9], 0
	v_pk_mov_b32 v[18:19], v[0:1], v[0:1] op_sel:[0,1]
.LBB78_321:                             ; =>This Inner Loop Header: Depth=1
	v_add_co_u32_e32 v18, vcc, 1, v18
	v_addc_co_u32_e32 v19, vcc, 0, v19, vcc
	v_cmp_eq_u32_e32 vcc, 1, v18
	s_waitcnt vmcnt(1)
	v_cndmask_b32_e32 v22, v2, v3, vcc
	v_cmp_lt_u32_e32 vcc, 9, v18
	v_cmp_eq_u32_e64 s[2:3], 2, v18
	v_cndmask_b32_e64 v22, v22, v4, s[2:3]
	s_or_b64 s[8:9], vcc, s[8:9]
	v_cmp_eq_u32_e32 vcc, 3, v18
	v_cndmask_b32_e32 v22, v22, v5, vcc
	v_cmp_eq_u32_e32 vcc, 4, v18
	v_cndmask_b32_e32 v22, v22, v6, vcc
	;; [unrolled: 2-line block ×7, first 2 shown]
	v_cmp_eq_u32_e32 vcc, 10, v18
	ds_read_b32 v21, v20
	v_cndmask_b32_e32 v22, v22, v12, vcc
	v_cmp_eq_u32_e32 vcc, 11, v18
	v_cndmask_b32_e32 v22, v22, v13, vcc
	v_cmp_eq_u32_e32 vcc, 12, v18
	;; [unrolled: 2-line block ×4, first 2 shown]
	s_waitcnt vmcnt(0)
	v_cndmask_b32_e32 v22, v22, v16, vcc
	v_add_u32_e32 v20, 4, v20
	s_waitcnt lgkmcnt(0)
	v_fmac_f32_e32 v17, v22, v21
	s_andn2_b64 exec, exec, s[8:9]
	s_cbranch_execnz .LBB78_321
; %bb.322:
	s_or_b64 exec, exec, s[8:9]
.LBB78_323:
	s_or_b64 exec, exec, s[6:7]
	v_mov_b32_e32 v13, 0
	ds_read_b32 v13, v13 offset:44
	s_waitcnt lgkmcnt(0)
	v_mul_f32_e32 v13, v17, v13
.LBB78_324:
	s_or_b64 exec, exec, s[4:5]
	v_cmp_gt_u32_e32 vcc, 12, v0
	s_waitcnt vmcnt(3)
	ds_write_b32 v65, v14
	s_waitcnt lgkmcnt(0)
	; wave barrier
	s_waitcnt lgkmcnt(0)
	s_and_saveexec_b64 s[4:5], vcc
	s_cbranch_execz .LBB78_334
; %bb.325:
	s_and_b64 vcc, exec, s[0:1]
	s_cbranch_vccnz .LBB78_327
; %bb.326:
	v_cmp_eq_u32_e32 vcc, 1, v0
	s_waitcnt vmcnt(1)
	v_cndmask_b32_e32 v17, v2, v3, vcc
	v_cmp_eq_u32_e32 vcc, 2, v0
	v_cndmask_b32_e32 v17, v17, v4, vcc
	v_cmp_eq_u32_e32 vcc, 3, v0
	;; [unrolled: 2-line block ×10, first 2 shown]
	ds_read_b32 v18, v65
	v_cndmask_b32_e32 v17, v17, v13, vcc
	v_cmp_eq_u32_e32 vcc, 12, v0
	v_cndmask_b32_e32 v17, v17, v14, vcc
	v_cmp_eq_u32_e32 vcc, 13, v0
	;; [unrolled: 2-line block ×3, first 2 shown]
	s_waitcnt vmcnt(0)
	v_cndmask_b32_e32 v17, v17, v16, vcc
	s_waitcnt lgkmcnt(0)
	v_mul_f32_e32 v17, v17, v18
	s_cbranch_execz .LBB78_328
	s_branch .LBB78_329
.LBB78_327:
                                        ; implicit-def: $vgpr17
.LBB78_328:
	ds_read_b32 v17, v65
.LBB78_329:
	v_cmp_ne_u32_e32 vcc, 11, v0
	s_and_saveexec_b64 s[6:7], vcc
	s_cbranch_execz .LBB78_333
; %bb.330:
	v_mov_b32_e32 v18, 0x44
	v_lshl_add_u32 v20, v0, 2, v18
	s_mov_b64 s[8:9], 0
	v_pk_mov_b32 v[18:19], v[0:1], v[0:1] op_sel:[0,1]
.LBB78_331:                             ; =>This Inner Loop Header: Depth=1
	v_add_co_u32_e32 v18, vcc, 1, v18
	v_addc_co_u32_e32 v19, vcc, 0, v19, vcc
	v_cmp_eq_u32_e32 vcc, 1, v18
	s_waitcnt vmcnt(1)
	v_cndmask_b32_e32 v22, v2, v3, vcc
	v_cmp_lt_u32_e32 vcc, 10, v18
	v_cmp_eq_u32_e64 s[2:3], 2, v18
	v_cndmask_b32_e64 v22, v22, v4, s[2:3]
	s_or_b64 s[8:9], vcc, s[8:9]
	v_cmp_eq_u32_e32 vcc, 3, v18
	v_cndmask_b32_e32 v22, v22, v5, vcc
	v_cmp_eq_u32_e32 vcc, 4, v18
	v_cndmask_b32_e32 v22, v22, v6, vcc
	v_cmp_eq_u32_e32 vcc, 5, v18
	v_cndmask_b32_e32 v22, v22, v7, vcc
	v_cmp_eq_u32_e32 vcc, 6, v18
	v_cndmask_b32_e32 v22, v22, v8, vcc
	v_cmp_eq_u32_e32 vcc, 7, v18
	v_cndmask_b32_e32 v22, v22, v9, vcc
	v_cmp_eq_u32_e32 vcc, 8, v18
	v_cndmask_b32_e32 v22, v22, v10, vcc
	v_cmp_eq_u32_e32 vcc, 9, v18
	v_cndmask_b32_e32 v22, v22, v11, vcc
	v_cmp_eq_u32_e32 vcc, 10, v18
	ds_read_b32 v21, v20
	v_cndmask_b32_e32 v22, v22, v12, vcc
	v_cmp_eq_u32_e32 vcc, 11, v18
	v_cndmask_b32_e32 v22, v22, v13, vcc
	v_cmp_eq_u32_e32 vcc, 12, v18
	;; [unrolled: 2-line block ×4, first 2 shown]
	s_waitcnt vmcnt(0)
	v_cndmask_b32_e32 v22, v22, v16, vcc
	v_add_u32_e32 v20, 4, v20
	s_waitcnt lgkmcnt(0)
	v_fmac_f32_e32 v17, v22, v21
	s_andn2_b64 exec, exec, s[8:9]
	s_cbranch_execnz .LBB78_331
; %bb.332:
	s_or_b64 exec, exec, s[8:9]
.LBB78_333:
	s_or_b64 exec, exec, s[6:7]
	v_mov_b32_e32 v14, 0
	ds_read_b32 v14, v14 offset:48
	s_waitcnt lgkmcnt(0)
	v_mul_f32_e32 v14, v17, v14
.LBB78_334:
	s_or_b64 exec, exec, s[4:5]
	v_cmp_gt_u32_e64 s[2:3], 13, v0
	s_waitcnt vmcnt(2)
	ds_write_b32 v65, v15
	s_waitcnt lgkmcnt(0)
	; wave barrier
	s_waitcnt lgkmcnt(0)
	s_and_saveexec_b64 s[6:7], s[2:3]
	s_cbranch_execz .LBB78_344
; %bb.335:
	s_and_b64 vcc, exec, s[0:1]
	s_cbranch_vccnz .LBB78_337
; %bb.336:
	v_cmp_eq_u32_e32 vcc, 1, v0
	s_waitcnt vmcnt(1)
	v_cndmask_b32_e32 v17, v2, v3, vcc
	v_cmp_eq_u32_e32 vcc, 2, v0
	v_cndmask_b32_e32 v17, v17, v4, vcc
	v_cmp_eq_u32_e32 vcc, 3, v0
	;; [unrolled: 2-line block ×10, first 2 shown]
	ds_read_b32 v18, v65
	v_cndmask_b32_e32 v17, v17, v13, vcc
	v_cmp_eq_u32_e32 vcc, 12, v0
	v_cndmask_b32_e32 v17, v17, v14, vcc
	v_cmp_eq_u32_e32 vcc, 13, v0
	;; [unrolled: 2-line block ×3, first 2 shown]
	s_waitcnt vmcnt(0)
	v_cndmask_b32_e32 v17, v17, v16, vcc
	s_waitcnt lgkmcnt(0)
	v_mul_f32_e32 v17, v17, v18
	s_cbranch_execz .LBB78_338
	s_branch .LBB78_339
.LBB78_337:
                                        ; implicit-def: $vgpr17
.LBB78_338:
	ds_read_b32 v17, v65
.LBB78_339:
	v_cmp_ne_u32_e32 vcc, 12, v0
	s_and_saveexec_b64 s[8:9], vcc
	s_cbranch_execz .LBB78_343
; %bb.340:
	v_mov_b32_e32 v18, 0x44
	v_lshl_add_u32 v20, v0, 2, v18
	s_mov_b64 s[10:11], 0
	v_pk_mov_b32 v[18:19], v[0:1], v[0:1] op_sel:[0,1]
.LBB78_341:                             ; =>This Inner Loop Header: Depth=1
	v_add_co_u32_e32 v18, vcc, 1, v18
	v_addc_co_u32_e32 v19, vcc, 0, v19, vcc
	v_cmp_eq_u32_e32 vcc, 1, v18
	s_waitcnt vmcnt(1)
	v_cndmask_b32_e32 v22, v2, v3, vcc
	v_cmp_lt_u32_e32 vcc, 11, v18
	v_cmp_eq_u32_e64 s[4:5], 2, v18
	v_cndmask_b32_e64 v22, v22, v4, s[4:5]
	s_or_b64 s[10:11], vcc, s[10:11]
	v_cmp_eq_u32_e32 vcc, 3, v18
	v_cndmask_b32_e32 v22, v22, v5, vcc
	v_cmp_eq_u32_e32 vcc, 4, v18
	v_cndmask_b32_e32 v22, v22, v6, vcc
	;; [unrolled: 2-line block ×7, first 2 shown]
	v_cmp_eq_u32_e32 vcc, 10, v18
	ds_read_b32 v21, v20
	v_cndmask_b32_e32 v22, v22, v12, vcc
	v_cmp_eq_u32_e32 vcc, 11, v18
	v_cndmask_b32_e32 v22, v22, v13, vcc
	v_cmp_eq_u32_e32 vcc, 12, v18
	;; [unrolled: 2-line block ×4, first 2 shown]
	s_waitcnt vmcnt(0)
	v_cndmask_b32_e32 v22, v22, v16, vcc
	v_add_u32_e32 v20, 4, v20
	s_waitcnt lgkmcnt(0)
	v_fmac_f32_e32 v17, v22, v21
	s_andn2_b64 exec, exec, s[10:11]
	s_cbranch_execnz .LBB78_341
; %bb.342:
	s_or_b64 exec, exec, s[10:11]
.LBB78_343:
	s_or_b64 exec, exec, s[8:9]
	v_mov_b32_e32 v15, 0
	ds_read_b32 v15, v15 offset:52
	s_waitcnt lgkmcnt(0)
	v_mul_f32_e32 v15, v17, v15
.LBB78_344:
	s_or_b64 exec, exec, s[6:7]
	v_cmp_ne_u32_e32 vcc, 14, v0
	s_waitcnt vmcnt(0)
	ds_write_b32 v65, v16
	s_waitcnt lgkmcnt(0)
	; wave barrier
	s_waitcnt lgkmcnt(0)
	s_and_saveexec_b64 s[4:5], vcc
	s_cbranch_execz .LBB78_354
; %bb.345:
	s_and_b64 vcc, exec, s[0:1]
	s_cbranch_vccnz .LBB78_347
; %bb.346:
	v_cmp_eq_u32_e32 vcc, 1, v0
	v_cndmask_b32_e32 v17, v2, v3, vcc
	v_cmp_eq_u32_e32 vcc, 2, v0
	v_cndmask_b32_e32 v17, v17, v4, vcc
	;; [unrolled: 2-line block ×10, first 2 shown]
	v_cmp_eq_u32_e32 vcc, 11, v0
	ds_read_b32 v18, v65
	v_cndmask_b32_e32 v17, v17, v13, vcc
	v_cmp_eq_u32_e32 vcc, 12, v0
	v_cndmask_b32_e32 v17, v17, v14, vcc
	v_cmp_eq_u32_e32 vcc, 13, v0
	;; [unrolled: 2-line block ×3, first 2 shown]
	v_cndmask_b32_e32 v17, v17, v16, vcc
	s_waitcnt lgkmcnt(0)
	v_mul_f32_e32 v17, v17, v18
	s_cbranch_execz .LBB78_348
	s_branch .LBB78_349
.LBB78_347:
                                        ; implicit-def: $vgpr17
.LBB78_348:
	ds_read_b32 v17, v65
.LBB78_349:
	s_and_saveexec_b64 s[6:7], s[2:3]
	s_cbranch_execz .LBB78_353
; %bb.350:
	v_mov_b32_e32 v18, 0x44
	v_lshl_add_u32 v18, v0, 2, v18
	s_mov_b64 s[2:3], 0
.LBB78_351:                             ; =>This Inner Loop Header: Depth=1
	v_add_co_u32_e32 v0, vcc, 1, v0
	v_addc_co_u32_e32 v1, vcc, 0, v1, vcc
	v_cmp_eq_u32_e32 vcc, 1, v0
	v_cndmask_b32_e32 v20, v2, v3, vcc
	v_cmp_lt_u32_e32 vcc, 12, v0
	v_cmp_eq_u32_e64 s[0:1], 2, v0
	v_cndmask_b32_e64 v20, v20, v4, s[0:1]
	s_or_b64 s[2:3], vcc, s[2:3]
	v_cmp_eq_u32_e32 vcc, 3, v0
	v_cndmask_b32_e32 v20, v20, v5, vcc
	v_cmp_eq_u32_e32 vcc, 4, v0
	v_cndmask_b32_e32 v20, v20, v6, vcc
	;; [unrolled: 2-line block ×7, first 2 shown]
	v_cmp_eq_u32_e32 vcc, 10, v0
	ds_read_b32 v19, v18
	v_cndmask_b32_e32 v20, v20, v12, vcc
	v_cmp_eq_u32_e32 vcc, 11, v0
	v_cndmask_b32_e32 v20, v20, v13, vcc
	v_cmp_eq_u32_e32 vcc, 12, v0
	v_cndmask_b32_e32 v20, v20, v14, vcc
	v_cmp_eq_u32_e32 vcc, 13, v0
	v_cndmask_b32_e32 v20, v20, v15, vcc
	v_cmp_eq_u32_e32 vcc, 14, v0
	v_cndmask_b32_e32 v20, v20, v16, vcc
	v_add_u32_e32 v18, 4, v18
	s_waitcnt lgkmcnt(0)
	v_fmac_f32_e32 v17, v20, v19
	s_andn2_b64 exec, exec, s[2:3]
	s_cbranch_execnz .LBB78_351
; %bb.352:
	s_or_b64 exec, exec, s[2:3]
.LBB78_353:
	s_or_b64 exec, exec, s[6:7]
	v_mov_b32_e32 v0, 0
	ds_read_b32 v0, v0 offset:56
	s_waitcnt lgkmcnt(0)
	v_mul_f32_e32 v16, v17, v0
.LBB78_354:
	s_or_b64 exec, exec, s[4:5]
	v_pk_mov_b32 v[32:33], v[16:17], v[16:17] op_sel:[0,1]
	v_pk_mov_b32 v[30:31], v[14:15], v[14:15] op_sel:[0,1]
	;; [unrolled: 1-line block ×8, first 2 shown]
.LBB78_355:
	global_store_dword v[34:35], v18, off
	global_store_dword v[36:37], v19, off
	;; [unrolled: 1-line block ×15, first 2 shown]
.LBB78_356:
	s_endpgm
	.section	.rodata,"a",@progbits
	.p2align	6, 0x0
	.amdhsa_kernel _ZN9rocsolver6v33100L18trti2_kernel_smallILi15EfPKPfEEv13rocblas_fill_17rocblas_diagonal_T1_iil
		.amdhsa_group_segment_fixed_size 124
		.amdhsa_private_segment_fixed_size 0
		.amdhsa_kernarg_size 32
		.amdhsa_user_sgpr_count 6
		.amdhsa_user_sgpr_private_segment_buffer 1
		.amdhsa_user_sgpr_dispatch_ptr 0
		.amdhsa_user_sgpr_queue_ptr 0
		.amdhsa_user_sgpr_kernarg_segment_ptr 1
		.amdhsa_user_sgpr_dispatch_id 0
		.amdhsa_user_sgpr_flat_scratch_init 0
		.amdhsa_user_sgpr_kernarg_preload_length 0
		.amdhsa_user_sgpr_kernarg_preload_offset 0
		.amdhsa_user_sgpr_private_segment_size 0
		.amdhsa_uses_dynamic_stack 0
		.amdhsa_system_sgpr_private_segment_wavefront_offset 0
		.amdhsa_system_sgpr_workgroup_id_x 1
		.amdhsa_system_sgpr_workgroup_id_y 0
		.amdhsa_system_sgpr_workgroup_id_z 0
		.amdhsa_system_sgpr_workgroup_info 0
		.amdhsa_system_vgpr_workitem_id 0
		.amdhsa_next_free_vgpr 81
		.amdhsa_next_free_sgpr 40
		.amdhsa_accum_offset 84
		.amdhsa_reserve_vcc 1
		.amdhsa_reserve_flat_scratch 0
		.amdhsa_float_round_mode_32 0
		.amdhsa_float_round_mode_16_64 0
		.amdhsa_float_denorm_mode_32 3
		.amdhsa_float_denorm_mode_16_64 3
		.amdhsa_dx10_clamp 1
		.amdhsa_ieee_mode 1
		.amdhsa_fp16_overflow 0
		.amdhsa_tg_split 0
		.amdhsa_exception_fp_ieee_invalid_op 0
		.amdhsa_exception_fp_denorm_src 0
		.amdhsa_exception_fp_ieee_div_zero 0
		.amdhsa_exception_fp_ieee_overflow 0
		.amdhsa_exception_fp_ieee_underflow 0
		.amdhsa_exception_fp_ieee_inexact 0
		.amdhsa_exception_int_div_zero 0
	.end_amdhsa_kernel
	.section	.text._ZN9rocsolver6v33100L18trti2_kernel_smallILi15EfPKPfEEv13rocblas_fill_17rocblas_diagonal_T1_iil,"axG",@progbits,_ZN9rocsolver6v33100L18trti2_kernel_smallILi15EfPKPfEEv13rocblas_fill_17rocblas_diagonal_T1_iil,comdat
.Lfunc_end78:
	.size	_ZN9rocsolver6v33100L18trti2_kernel_smallILi15EfPKPfEEv13rocblas_fill_17rocblas_diagonal_T1_iil, .Lfunc_end78-_ZN9rocsolver6v33100L18trti2_kernel_smallILi15EfPKPfEEv13rocblas_fill_17rocblas_diagonal_T1_iil
                                        ; -- End function
	.section	.AMDGPU.csdata,"",@progbits
; Kernel info:
; codeLenInByte = 17104
; NumSgprs: 44
; NumVgprs: 81
; NumAgprs: 0
; TotalNumVgprs: 81
; ScratchSize: 0
; MemoryBound: 0
; FloatMode: 240
; IeeeMode: 1
; LDSByteSize: 124 bytes/workgroup (compile time only)
; SGPRBlocks: 5
; VGPRBlocks: 10
; NumSGPRsForWavesPerEU: 44
; NumVGPRsForWavesPerEU: 81
; AccumOffset: 84
; Occupancy: 5
; WaveLimiterHint : 1
; COMPUTE_PGM_RSRC2:SCRATCH_EN: 0
; COMPUTE_PGM_RSRC2:USER_SGPR: 6
; COMPUTE_PGM_RSRC2:TRAP_HANDLER: 0
; COMPUTE_PGM_RSRC2:TGID_X_EN: 1
; COMPUTE_PGM_RSRC2:TGID_Y_EN: 0
; COMPUTE_PGM_RSRC2:TGID_Z_EN: 0
; COMPUTE_PGM_RSRC2:TIDIG_COMP_CNT: 0
; COMPUTE_PGM_RSRC3_GFX90A:ACCUM_OFFSET: 20
; COMPUTE_PGM_RSRC3_GFX90A:TG_SPLIT: 0
	.section	.text._ZN9rocsolver6v33100L18trti2_kernel_smallILi16EfPKPfEEv13rocblas_fill_17rocblas_diagonal_T1_iil,"axG",@progbits,_ZN9rocsolver6v33100L18trti2_kernel_smallILi16EfPKPfEEv13rocblas_fill_17rocblas_diagonal_T1_iil,comdat
	.globl	_ZN9rocsolver6v33100L18trti2_kernel_smallILi16EfPKPfEEv13rocblas_fill_17rocblas_diagonal_T1_iil ; -- Begin function _ZN9rocsolver6v33100L18trti2_kernel_smallILi16EfPKPfEEv13rocblas_fill_17rocblas_diagonal_T1_iil
	.p2align	8
	.type	_ZN9rocsolver6v33100L18trti2_kernel_smallILi16EfPKPfEEv13rocblas_fill_17rocblas_diagonal_T1_iil,@function
_ZN9rocsolver6v33100L18trti2_kernel_smallILi16EfPKPfEEv13rocblas_fill_17rocblas_diagonal_T1_iil: ; @_ZN9rocsolver6v33100L18trti2_kernel_smallILi16EfPKPfEEv13rocblas_fill_17rocblas_diagonal_T1_iil
; %bb.0:
	v_cmp_gt_u32_e32 vcc, 16, v0
	s_and_saveexec_b64 s[0:1], vcc
	s_cbranch_execz .LBB79_382
; %bb.1:
	s_load_dwordx2 s[0:1], s[4:5], 0x10
	s_load_dwordx4 s[36:39], s[4:5], 0x0
	s_ashr_i32 s7, s6, 31
	s_lshl_b64 s[2:3], s[6:7], 3
	v_lshlrev_b32_e32 v18, 2, v0
	s_waitcnt lgkmcnt(0)
	s_ashr_i32 s5, s0, 31
	s_add_u32 s2, s38, s2
	s_addc_u32 s3, s39, s3
	s_load_dwordx2 s[2:3], s[2:3], 0x0
	s_mov_b32 s4, s0
	s_lshl_b64 s[4:5], s[4:5], 2
	v_mov_b32_e32 v19, -1.0
	s_waitcnt lgkmcnt(0)
	s_add_u32 s2, s2, s4
	s_addc_u32 s3, s3, s5
	v_mov_b32_e32 v1, s3
	v_add_co_u32_e32 v34, vcc, s2, v18
	s_ashr_i32 s5, s1, 31
	s_mov_b32 s4, s1
	s_add_i32 s0, s1, s1
	v_addc_co_u32_e32 v35, vcc, 0, v1, vcc
	s_lshl_b64 s[4:5], s[4:5], 2
	v_add_u32_e32 v2, s0, v0
	v_mov_b32_e32 v1, s5
	v_add_co_u32_e32 v36, vcc, s4, v34
	v_ashrrev_i32_e32 v3, 31, v2
	v_addc_co_u32_e32 v37, vcc, v35, v1, vcc
	v_lshlrev_b64 v[4:5], 2, v[2:3]
	v_add_u32_e32 v2, s1, v2
	v_mov_b32_e32 v1, s3
	v_add_co_u32_e32 v38, vcc, s2, v4
	v_ashrrev_i32_e32 v3, 31, v2
	v_addc_co_u32_e32 v39, vcc, v1, v5, vcc
	v_lshlrev_b64 v[4:5], 2, v[2:3]
	v_add_u32_e32 v2, s1, v2
	v_add_co_u32_e32 v40, vcc, s2, v4
	v_ashrrev_i32_e32 v3, 31, v2
	v_addc_co_u32_e32 v41, vcc, v1, v5, vcc
	v_lshlrev_b64 v[4:5], 2, v[2:3]
	v_add_u32_e32 v2, s1, v2
	;; [unrolled: 5-line block ×11, first 2 shown]
	v_add_co_u32_e32 v60, vcc, s2, v14
	v_ashrrev_i32_e32 v21, 31, v20
	global_load_dword v3, v[36:37], off
	global_load_dword v4, v[38:39], off
	;; [unrolled: 1-line block ×8, first 2 shown]
	v_addc_co_u32_e32 v61, vcc, v1, v15, vcc
	v_lshlrev_b64 v[12:13], 2, v[20:21]
	v_add_co_u32_e32 v62, vcc, s2, v12
	v_addc_co_u32_e32 v63, vcc, v1, v13, vcc
	global_load_dword v11, v[52:53], off
	global_load_dword v12, v[54:55], off
	global_load_dword v13, v[56:57], off
	global_load_dword v14, v[58:59], off
	global_load_dword v15, v[60:61], off
	global_load_dword v16, v[62:63], off
	v_add_u32_e32 v20, s1, v20
	v_ashrrev_i32_e32 v21, 31, v20
	v_lshlrev_b64 v[20:21], 2, v[20:21]
	v_add_co_u32_e32 v64, vcc, s2, v20
	v_addc_co_u32_e32 v65, vcc, v1, v21, vcc
	global_load_dword v2, v18, s[2:3]
	global_load_dword v17, v[64:65], off
	s_cmpk_lg_i32 s37, 0x84
	v_mov_b32_e32 v1, 0
	s_cselect_b64 s[34:35], -1, 0
	s_cmpk_eq_i32 s37, 0x84
	v_cmp_eq_u32_e64 s[0:1], 0, v0
	s_cbranch_scc1 .LBB79_3
; %bb.2:
	v_cmp_eq_u32_e64 s[2:3], 1, v0
	s_waitcnt vmcnt(1)
	v_cndmask_b32_e64 v19, v2, v3, s[2:3]
	v_cmp_eq_u32_e64 s[4:5], 2, v0
	v_cndmask_b32_e64 v19, v19, v4, s[4:5]
	v_cmp_eq_u32_e64 s[6:7], 3, v0
	;; [unrolled: 2-line block ×14, first 2 shown]
	s_waitcnt vmcnt(0)
	v_cndmask_b32_e64 v19, v19, v17, s[30:31]
	v_div_scale_f32 v20, s[38:39], v19, v19, 1.0
	v_rcp_f32_e32 v21, v20
	v_fma_f32 v22, -v20, v21, 1.0
	v_fmac_f32_e32 v21, v22, v21
	v_div_scale_f32 v22, vcc, 1.0, v19, 1.0
	v_mul_f32_e32 v23, v22, v21
	v_fma_f32 v24, -v20, v23, v22
	v_fmac_f32_e32 v23, v24, v21
	v_fma_f32 v20, -v20, v23, v22
	v_div_fmas_f32 v20, v20, v21, v23
	v_div_fixup_f32 v19, v20, v19, 1.0
	v_cndmask_b32_e64 v17, v17, v19, s[30:31]
	v_cndmask_b32_e64 v16, v16, v19, s[28:29]
	;; [unrolled: 1-line block ×16, first 2 shown]
	v_xor_b32_e32 v19, 0x80000000, v19
.LBB79_3:
	s_cmpk_eq_i32 s36, 0x79
	v_add_u32_e32 v69, 64, v18
	ds_write_b32 v18, v19
	s_cbranch_scc1 .LBB79_7
; %bb.4:
	s_waitcnt vmcnt(0)
	v_pk_mov_b32 v[32:33], v[16:17], v[16:17] op_sel:[0,1]
	v_cmp_eq_u32_e64 s[0:1], 15, v0
	v_pk_mov_b32 v[30:31], v[14:15], v[14:15] op_sel:[0,1]
	v_pk_mov_b32 v[28:29], v[12:13], v[12:13] op_sel:[0,1]
	;; [unrolled: 1-line block ×7, first 2 shown]
	ds_write_b32 v69, v16
	s_waitcnt lgkmcnt(0)
	; wave barrier
	s_waitcnt lgkmcnt(0)
	s_and_saveexec_b64 s[2:3], s[0:1]
	s_cbranch_execz .LBB79_11
; %bb.5:
	s_and_b64 vcc, exec, s[34:35]
	s_cbranch_vccz .LBB79_8
; %bb.6:
	v_cmp_eq_u32_e32 vcc, 1, v0
	v_cndmask_b32_e32 v18, v2, v3, vcc
	v_cmp_eq_u32_e32 vcc, 2, v0
	v_cndmask_b32_e32 v18, v18, v4, vcc
	;; [unrolled: 2-line block ×11, first 2 shown]
	v_cmp_eq_u32_e32 vcc, 12, v0
	ds_read_b32 v19, v69
	v_cndmask_b32_e32 v18, v18, v14, vcc
	v_cmp_eq_u32_e32 vcc, 13, v0
	v_cndmask_b32_e32 v18, v18, v15, vcc
	v_cmp_eq_u32_e32 vcc, 14, v0
	;; [unrolled: 2-line block ×3, first 2 shown]
	v_cndmask_b32_e32 v18, v18, v17, vcc
	s_waitcnt lgkmcnt(0)
	v_mul_f32_e32 v18, v18, v19
	s_cbranch_execz .LBB79_9
	s_branch .LBB79_10
.LBB79_7:
                                        ; implicit-def: $vgpr18_vgpr19_vgpr20_vgpr21_vgpr22_vgpr23_vgpr24_vgpr25_vgpr26_vgpr27_vgpr28_vgpr29_vgpr30_vgpr31_vgpr32_vgpr33
	s_cbranch_execnz .LBB79_226
	s_branch .LBB79_381
.LBB79_8:
                                        ; implicit-def: $vgpr18
.LBB79_9:
	ds_read_b32 v18, v69
.LBB79_10:
	v_mov_b32_e32 v19, 0
	ds_read_b32 v19, v19 offset:56
	s_waitcnt lgkmcnt(0)
	v_mul_f32_e32 v66, v18, v19
	v_pk_mov_b32 v[32:33], v[16:17], v[16:17] op_sel:[0,1]
	v_pk_mov_b32 v[30:31], v[14:15], v[14:15] op_sel:[0,1]
	;; [unrolled: 1-line block ×8, first 2 shown]
	v_mov_b32_e32 v32, v66
.LBB79_11:
	s_or_b64 exec, exec, s[2:3]
	v_cmp_lt_u32_e64 s[2:3], 13, v0
	ds_write_b32 v69, v31
	s_waitcnt lgkmcnt(0)
	; wave barrier
	s_waitcnt lgkmcnt(0)
	s_and_saveexec_b64 s[4:5], s[2:3]
	s_cbranch_execz .LBB79_17
; %bb.12:
	s_andn2_b64 vcc, exec, s[34:35]
	s_cbranch_vccnz .LBB79_14
; %bb.13:
	v_cmp_eq_u32_e32 vcc, 1, v0
	v_cndmask_b32_e32 v66, v18, v19, vcc
	v_cmp_eq_u32_e32 vcc, 2, v0
	v_cndmask_b32_e32 v66, v66, v20, vcc
	;; [unrolled: 2-line block ×13, first 2 shown]
	ds_read_b32 v66, v69
	v_cmp_eq_u32_e32 vcc, 14, v0
	v_cndmask_b32_e32 v31, v31, v32, vcc
	v_cmp_eq_u32_e32 vcc, 15, v0
	v_cndmask_b32_e32 v31, v31, v33, vcc
	s_waitcnt lgkmcnt(0)
	v_mul_f32_e32 v31, v31, v66
	s_cbranch_execz .LBB79_15
	s_branch .LBB79_16
.LBB79_14:
                                        ; implicit-def: $vgpr31
.LBB79_15:
	ds_read_b32 v31, v69
.LBB79_16:
	v_mov_b32_e32 v66, 0
	ds_read2_b32 v[66:67], v66 offset0:13 offset1:30
	s_waitcnt lgkmcnt(0)
	v_fma_f32 v67, v32, v67, v31
	v_cndmask_b32_e64 v31, v31, v67, s[0:1]
	v_mul_f32_e32 v31, v31, v66
.LBB79_17:
	s_or_b64 exec, exec, s[4:5]
	v_cmp_lt_u32_e64 s[0:1], 12, v0
	ds_write_b32 v69, v30
	s_waitcnt lgkmcnt(0)
	; wave barrier
	s_waitcnt lgkmcnt(0)
	s_and_saveexec_b64 s[4:5], s[0:1]
	s_cbranch_execz .LBB79_33
; %bb.18:
	s_andn2_b64 vcc, exec, s[34:35]
	s_cbranch_vccnz .LBB79_20
; %bb.19:
	v_cmp_eq_u32_e32 vcc, 1, v0
	v_cndmask_b32_e32 v66, v18, v19, vcc
	v_cmp_eq_u32_e32 vcc, 2, v0
	v_cndmask_b32_e32 v66, v66, v20, vcc
	;; [unrolled: 2-line block ×11, first 2 shown]
	v_cmp_eq_u32_e32 vcc, 12, v0
	ds_read_b32 v67, v69
	v_cndmask_b32_e32 v66, v66, v30, vcc
	v_cmp_eq_u32_e32 vcc, 13, v0
	v_cndmask_b32_e32 v66, v66, v31, vcc
	v_cmp_eq_u32_e32 vcc, 14, v0
	;; [unrolled: 2-line block ×3, first 2 shown]
	v_cndmask_b32_e32 v66, v66, v33, vcc
	s_waitcnt lgkmcnt(0)
	v_mul_f32_e32 v70, v66, v67
	s_cbranch_execz .LBB79_21
	s_branch .LBB79_22
.LBB79_20:
                                        ; implicit-def: $vgpr70
.LBB79_21:
	ds_read_b32 v70, v69
.LBB79_22:
	s_and_saveexec_b64 s[6:7], s[2:3]
	s_cbranch_execz .LBB79_32
; %bb.23:
	v_add_u32_e32 v66, -14, v0
	v_add_u32_e32 v67, -13, v0
	v_cmp_lt_u32_e32 vcc, 6, v66
	v_mov_b32_e32 v66, 13
	s_and_saveexec_b64 s[2:3], vcc
	s_cbranch_execz .LBB79_27
; %bb.24:
	v_and_b32_e32 v66, -8, v67
	v_sub_u32_e32 v68, 0, v66
	s_mov_b64 s[8:9], 20
	s_movk_i32 s12, 0x74
	s_mov_b64 s[10:11], 0
.LBB79_25:                              ; =>This Inner Loop Header: Depth=1
	s_add_i32 s13, s8, -7
	v_mov_b32_e32 v66, s12
	s_add_i32 s14, s8, -6
	s_set_gpr_idx_on s13, gpr_idx(SRC0)
	v_mov_b32_e32 v71, v18
	s_set_gpr_idx_off
	ds_read2_b32 v[72:73], v66 offset1:1
	s_add_i32 s15, s8, -5
	s_set_gpr_idx_on s14, gpr_idx(SRC0)
	v_mov_b32_e32 v78, v18
	s_set_gpr_idx_off
	s_add_i32 s16, s8, -4
	s_set_gpr_idx_on s15, gpr_idx(SRC0)
	v_mov_b32_e32 v79, v18
	s_set_gpr_idx_off
	ds_read2_b32 v[74:75], v66 offset0:2 offset1:3
	s_add_i32 s17, s8, -3
	s_set_gpr_idx_on s16, gpr_idx(SRC0)
	v_mov_b32_e32 v80, v18
	s_set_gpr_idx_off
	s_add_i32 s18, s8, -2
	s_set_gpr_idx_on s17, gpr_idx(SRC0)
	v_mov_b32_e32 v81, v18
	s_set_gpr_idx_off
	ds_read2_b32 v[76:77], v66 offset0:4 offset1:5
	s_add_i32 s19, s8, -1
	s_waitcnt lgkmcnt(2)
	v_fmac_f32_e32 v70, v71, v72
	s_set_gpr_idx_on s18, gpr_idx(SRC0)
	v_mov_b32_e32 v71, v18
	s_set_gpr_idx_off
	v_fmac_f32_e32 v70, v78, v73
	s_set_gpr_idx_on s19, gpr_idx(SRC0)
	v_mov_b32_e32 v78, v18
	s_set_gpr_idx_off
	ds_read2_b32 v[72:73], v66 offset0:6 offset1:7
	s_waitcnt lgkmcnt(2)
	v_fmac_f32_e32 v70, v79, v74
	s_set_gpr_idx_on s8, gpr_idx(SRC0)
	v_mov_b32_e32 v74, v18
	s_set_gpr_idx_off
	v_fmac_f32_e32 v70, v80, v75
	s_add_u32 s8, s8, 8
	s_waitcnt lgkmcnt(1)
	v_fmac_f32_e32 v70, v81, v76
	v_add_u32_e32 v66, s8, v68
	v_fmac_f32_e32 v70, v71, v77
	s_addc_u32 s9, s9, 0
	s_add_i32 s12, s12, 32
	s_add_i32 s13, s8, -7
	v_cmp_eq_u32_e32 vcc, 20, v66
	s_waitcnt lgkmcnt(0)
	v_fmac_f32_e32 v70, v78, v72
	v_mov_b32_e32 v66, s13
	s_or_b64 s[10:11], vcc, s[10:11]
	v_fmac_f32_e32 v70, v74, v73
	s_andn2_b64 exec, exec, s[10:11]
	s_cbranch_execnz .LBB79_25
; %bb.26:
	s_or_b64 exec, exec, s[10:11]
.LBB79_27:
	s_or_b64 exec, exec, s[2:3]
	v_and_b32_e32 v68, 7, v67
	v_cmp_ne_u32_e32 vcc, 0, v68
	s_and_saveexec_b64 s[8:9], vcc
	s_cbranch_execz .LBB79_31
; %bb.28:
	v_lshl_add_u32 v71, v66, 2, 64
	v_mov_b32_e32 v67, 0
	s_mov_b64 s[10:11], 0
.LBB79_29:                              ; =>This Inner Loop Header: Depth=1
	v_cmp_eq_u32_e32 vcc, 1, v66
	v_cndmask_b32_e32 v72, v18, v19, vcc
	v_add_u32_e32 v68, -1, v68
	v_cmp_eq_u32_e32 vcc, 2, v66
	v_cndmask_b32_e32 v72, v72, v20, vcc
	v_cmp_eq_u32_e32 vcc, 0, v68
	v_cmp_eq_u32_e64 s[2:3], 3, v66
	v_cndmask_b32_e64 v72, v72, v21, s[2:3]
	s_or_b64 s[10:11], vcc, s[10:11]
	v_cmp_eq_u32_e32 vcc, 4, v66
	v_cndmask_b32_e32 v72, v72, v22, vcc
	v_cmp_eq_u32_e32 vcc, 5, v66
	v_cndmask_b32_e32 v72, v72, v23, vcc
	;; [unrolled: 2-line block ×7, first 2 shown]
	v_cmp_eq_u32_e32 vcc, 11, v66
	ds_read_b32 v73, v71
	v_cndmask_b32_e32 v72, v72, v29, vcc
	v_cmp_eq_u32_e32 vcc, 12, v66
	v_cndmask_b32_e32 v72, v72, v30, vcc
	v_cmp_eq_u32_e32 vcc, 13, v66
	;; [unrolled: 2-line block ×4, first 2 shown]
	v_add_co_u32_e64 v66, s[2:3], 1, v66
	v_cndmask_b32_e32 v72, v72, v33, vcc
	v_add_u32_e32 v71, 4, v71
	v_addc_co_u32_e64 v67, s[2:3], 0, v67, s[2:3]
	s_waitcnt lgkmcnt(0)
	v_fmac_f32_e32 v70, v72, v73
	s_andn2_b64 exec, exec, s[10:11]
	s_cbranch_execnz .LBB79_29
; %bb.30:
	s_or_b64 exec, exec, s[10:11]
.LBB79_31:
	s_or_b64 exec, exec, s[8:9]
.LBB79_32:
	s_or_b64 exec, exec, s[6:7]
	v_mov_b32_e32 v30, 0
	ds_read_b32 v30, v30 offset:48
	s_waitcnt lgkmcnt(0)
	v_mul_f32_e32 v30, v70, v30
.LBB79_33:
	s_or_b64 exec, exec, s[4:5]
	v_cmp_lt_u32_e64 s[2:3], 11, v0
	ds_write_b32 v69, v29
	s_waitcnt lgkmcnt(0)
	; wave barrier
	s_waitcnt lgkmcnt(0)
	s_and_saveexec_b64 s[4:5], s[2:3]
	s_cbranch_execz .LBB79_49
; %bb.34:
	s_andn2_b64 vcc, exec, s[34:35]
	s_cbranch_vccnz .LBB79_36
; %bb.35:
	v_cmp_eq_u32_e32 vcc, 1, v0
	v_cndmask_b32_e32 v66, v18, v19, vcc
	v_cmp_eq_u32_e32 vcc, 2, v0
	v_cndmask_b32_e32 v66, v66, v20, vcc
	v_cmp_eq_u32_e32 vcc, 3, v0
	v_cndmask_b32_e32 v66, v66, v21, vcc
	v_cmp_eq_u32_e32 vcc, 4, v0
	v_cndmask_b32_e32 v66, v66, v22, vcc
	v_cmp_eq_u32_e32 vcc, 5, v0
	v_cndmask_b32_e32 v66, v66, v23, vcc
	v_cmp_eq_u32_e32 vcc, 6, v0
	v_cndmask_b32_e32 v66, v66, v24, vcc
	v_cmp_eq_u32_e32 vcc, 7, v0
	v_cndmask_b32_e32 v66, v66, v25, vcc
	v_cmp_eq_u32_e32 vcc, 8, v0
	v_cndmask_b32_e32 v66, v66, v26, vcc
	v_cmp_eq_u32_e32 vcc, 9, v0
	v_cndmask_b32_e32 v66, v66, v27, vcc
	v_cmp_eq_u32_e32 vcc, 10, v0
	v_cndmask_b32_e32 v66, v66, v28, vcc
	v_cmp_eq_u32_e32 vcc, 11, v0
	v_cndmask_b32_e32 v66, v66, v29, vcc
	v_cmp_eq_u32_e32 vcc, 12, v0
	ds_read_b32 v67, v69
	v_cndmask_b32_e32 v66, v66, v30, vcc
	v_cmp_eq_u32_e32 vcc, 13, v0
	v_cndmask_b32_e32 v66, v66, v31, vcc
	v_cmp_eq_u32_e32 vcc, 14, v0
	;; [unrolled: 2-line block ×3, first 2 shown]
	v_cndmask_b32_e32 v66, v66, v33, vcc
	s_waitcnt lgkmcnt(0)
	v_mul_f32_e32 v70, v66, v67
	s_cbranch_execz .LBB79_37
	s_branch .LBB79_38
.LBB79_36:
                                        ; implicit-def: $vgpr70
.LBB79_37:
	ds_read_b32 v70, v69
.LBB79_38:
	s_and_saveexec_b64 s[6:7], s[0:1]
	s_cbranch_execz .LBB79_48
; %bb.39:
	v_add_u32_e32 v66, -13, v0
	v_add_u32_e32 v67, -12, v0
	v_cmp_lt_u32_e32 vcc, 6, v66
	v_mov_b32_e32 v66, 12
	s_and_saveexec_b64 s[0:1], vcc
	s_cbranch_execz .LBB79_43
; %bb.40:
	v_and_b32_e32 v66, -8, v67
	v_sub_u32_e32 v68, 0, v66
	s_mov_b64 s[8:9], 19
	s_movk_i32 s12, 0x70
	s_mov_b64 s[10:11], 0
.LBB79_41:                              ; =>This Inner Loop Header: Depth=1
	s_add_i32 s13, s8, -7
	v_mov_b32_e32 v66, s12
	s_add_i32 s14, s8, -6
	s_set_gpr_idx_on s13, gpr_idx(SRC0)
	v_mov_b32_e32 v71, v18
	s_set_gpr_idx_off
	s_add_i32 s15, s8, -5
	ds_read_b128 v[72:75], v66
	ds_read_b128 v[76:79], v66 offset:16
	s_set_gpr_idx_on s14, gpr_idx(SRC0)
	v_mov_b32_e32 v66, v18
	s_set_gpr_idx_off
	s_add_i32 s16, s8, -4
	s_set_gpr_idx_on s15, gpr_idx(SRC0)
	v_mov_b32_e32 v80, v18
	s_set_gpr_idx_off
	s_add_i32 s17, s8, -3
	;; [unrolled: 4-line block ×4, first 2 shown]
	s_waitcnt lgkmcnt(1)
	v_fmac_f32_e32 v70, v71, v72
	s_set_gpr_idx_on s18, gpr_idx(SRC0)
	v_mov_b32_e32 v71, v18
	s_set_gpr_idx_off
	v_fmac_f32_e32 v70, v66, v73
	s_set_gpr_idx_on s19, gpr_idx(SRC0)
	v_mov_b32_e32 v72, v18
	s_set_gpr_idx_off
	;; [unrolled: 4-line block ×3, first 2 shown]
	v_fmac_f32_e32 v70, v81, v75
	s_add_u32 s8, s8, 8
	s_waitcnt lgkmcnt(0)
	v_fmac_f32_e32 v70, v82, v76
	v_add_u32_e32 v66, s8, v68
	v_fmac_f32_e32 v70, v71, v77
	s_addc_u32 s9, s9, 0
	s_add_i32 s12, s12, 32
	s_add_i32 s13, s8, -7
	v_cmp_eq_u32_e32 vcc, 19, v66
	v_fmac_f32_e32 v70, v72, v78
	v_mov_b32_e32 v66, s13
	s_or_b64 s[10:11], vcc, s[10:11]
	v_fmac_f32_e32 v70, v73, v79
	s_andn2_b64 exec, exec, s[10:11]
	s_cbranch_execnz .LBB79_41
; %bb.42:
	s_or_b64 exec, exec, s[10:11]
.LBB79_43:
	s_or_b64 exec, exec, s[0:1]
	v_and_b32_e32 v68, 7, v67
	v_cmp_ne_u32_e32 vcc, 0, v68
	s_and_saveexec_b64 s[8:9], vcc
	s_cbranch_execz .LBB79_47
; %bb.44:
	v_lshl_add_u32 v71, v66, 2, 64
	v_mov_b32_e32 v67, 0
	s_mov_b64 s[10:11], 0
.LBB79_45:                              ; =>This Inner Loop Header: Depth=1
	v_cmp_eq_u32_e32 vcc, 1, v66
	v_cndmask_b32_e32 v72, v18, v19, vcc
	v_add_u32_e32 v68, -1, v68
	v_cmp_eq_u32_e32 vcc, 2, v66
	v_cndmask_b32_e32 v72, v72, v20, vcc
	v_cmp_eq_u32_e32 vcc, 0, v68
	v_cmp_eq_u32_e64 s[0:1], 3, v66
	v_cndmask_b32_e64 v72, v72, v21, s[0:1]
	s_or_b64 s[10:11], vcc, s[10:11]
	v_cmp_eq_u32_e32 vcc, 4, v66
	v_cndmask_b32_e32 v72, v72, v22, vcc
	v_cmp_eq_u32_e32 vcc, 5, v66
	v_cndmask_b32_e32 v72, v72, v23, vcc
	;; [unrolled: 2-line block ×7, first 2 shown]
	v_cmp_eq_u32_e32 vcc, 11, v66
	ds_read_b32 v73, v71
	v_cndmask_b32_e32 v72, v72, v29, vcc
	v_cmp_eq_u32_e32 vcc, 12, v66
	v_cndmask_b32_e32 v72, v72, v30, vcc
	v_cmp_eq_u32_e32 vcc, 13, v66
	;; [unrolled: 2-line block ×4, first 2 shown]
	v_add_co_u32_e64 v66, s[0:1], 1, v66
	v_cndmask_b32_e32 v72, v72, v33, vcc
	v_add_u32_e32 v71, 4, v71
	v_addc_co_u32_e64 v67, s[0:1], 0, v67, s[0:1]
	s_waitcnt lgkmcnt(0)
	v_fmac_f32_e32 v70, v72, v73
	s_andn2_b64 exec, exec, s[10:11]
	s_cbranch_execnz .LBB79_45
; %bb.46:
	s_or_b64 exec, exec, s[10:11]
.LBB79_47:
	s_or_b64 exec, exec, s[8:9]
.LBB79_48:
	s_or_b64 exec, exec, s[6:7]
	v_mov_b32_e32 v29, 0
	ds_read_b32 v29, v29 offset:44
	s_waitcnt lgkmcnt(0)
	v_mul_f32_e32 v29, v70, v29
.LBB79_49:
	s_or_b64 exec, exec, s[4:5]
	v_cmp_lt_u32_e64 s[0:1], 10, v0
	ds_write_b32 v69, v28
	s_waitcnt lgkmcnt(0)
	; wave barrier
	s_waitcnt lgkmcnt(0)
	s_and_saveexec_b64 s[4:5], s[0:1]
	s_cbranch_execz .LBB79_65
; %bb.50:
	s_andn2_b64 vcc, exec, s[34:35]
	s_cbranch_vccnz .LBB79_52
; %bb.51:
	v_cmp_eq_u32_e32 vcc, 1, v0
	v_cndmask_b32_e32 v66, v18, v19, vcc
	v_cmp_eq_u32_e32 vcc, 2, v0
	v_cndmask_b32_e32 v66, v66, v20, vcc
	;; [unrolled: 2-line block ×11, first 2 shown]
	v_cmp_eq_u32_e32 vcc, 12, v0
	ds_read_b32 v67, v69
	v_cndmask_b32_e32 v66, v66, v30, vcc
	v_cmp_eq_u32_e32 vcc, 13, v0
	v_cndmask_b32_e32 v66, v66, v31, vcc
	v_cmp_eq_u32_e32 vcc, 14, v0
	;; [unrolled: 2-line block ×3, first 2 shown]
	v_cndmask_b32_e32 v66, v66, v33, vcc
	s_waitcnt lgkmcnt(0)
	v_mul_f32_e32 v70, v66, v67
	s_cbranch_execz .LBB79_53
	s_branch .LBB79_54
.LBB79_52:
                                        ; implicit-def: $vgpr70
.LBB79_53:
	ds_read_b32 v70, v69
.LBB79_54:
	s_and_saveexec_b64 s[6:7], s[2:3]
	s_cbranch_execz .LBB79_64
; %bb.55:
	v_add_u32_e32 v66, -12, v0
	v_add_u32_e32 v67, -11, v0
	v_cmp_lt_u32_e32 vcc, 6, v66
	v_mov_b32_e32 v66, 11
	s_and_saveexec_b64 s[2:3], vcc
	s_cbranch_execz .LBB79_59
; %bb.56:
	v_and_b32_e32 v66, -8, v67
	v_sub_u32_e32 v68, 0, v66
	s_mov_b64 s[8:9], 18
	s_movk_i32 s12, 0x6c
	s_mov_b64 s[10:11], 0
.LBB79_57:                              ; =>This Inner Loop Header: Depth=1
	s_add_i32 s13, s8, -7
	v_mov_b32_e32 v66, s12
	s_add_i32 s14, s8, -6
	s_set_gpr_idx_on s13, gpr_idx(SRC0)
	v_mov_b32_e32 v71, v18
	s_set_gpr_idx_off
	ds_read2_b32 v[72:73], v66 offset1:1
	s_add_i32 s15, s8, -5
	s_set_gpr_idx_on s14, gpr_idx(SRC0)
	v_mov_b32_e32 v78, v18
	s_set_gpr_idx_off
	s_add_i32 s16, s8, -4
	s_set_gpr_idx_on s15, gpr_idx(SRC0)
	v_mov_b32_e32 v79, v18
	s_set_gpr_idx_off
	ds_read2_b32 v[74:75], v66 offset0:2 offset1:3
	s_add_i32 s17, s8, -3
	s_set_gpr_idx_on s16, gpr_idx(SRC0)
	v_mov_b32_e32 v80, v18
	s_set_gpr_idx_off
	s_add_i32 s18, s8, -2
	s_set_gpr_idx_on s17, gpr_idx(SRC0)
	v_mov_b32_e32 v81, v18
	s_set_gpr_idx_off
	ds_read2_b32 v[76:77], v66 offset0:4 offset1:5
	s_add_i32 s19, s8, -1
	s_waitcnt lgkmcnt(2)
	v_fmac_f32_e32 v70, v71, v72
	s_set_gpr_idx_on s18, gpr_idx(SRC0)
	v_mov_b32_e32 v71, v18
	s_set_gpr_idx_off
	v_fmac_f32_e32 v70, v78, v73
	s_set_gpr_idx_on s19, gpr_idx(SRC0)
	v_mov_b32_e32 v78, v18
	s_set_gpr_idx_off
	ds_read2_b32 v[72:73], v66 offset0:6 offset1:7
	s_waitcnt lgkmcnt(2)
	v_fmac_f32_e32 v70, v79, v74
	s_set_gpr_idx_on s8, gpr_idx(SRC0)
	v_mov_b32_e32 v74, v18
	s_set_gpr_idx_off
	v_fmac_f32_e32 v70, v80, v75
	s_add_u32 s8, s8, 8
	s_waitcnt lgkmcnt(1)
	v_fmac_f32_e32 v70, v81, v76
	v_add_u32_e32 v66, s8, v68
	v_fmac_f32_e32 v70, v71, v77
	s_addc_u32 s9, s9, 0
	s_add_i32 s12, s12, 32
	s_add_i32 s13, s8, -7
	v_cmp_eq_u32_e32 vcc, 18, v66
	s_waitcnt lgkmcnt(0)
	v_fmac_f32_e32 v70, v78, v72
	v_mov_b32_e32 v66, s13
	s_or_b64 s[10:11], vcc, s[10:11]
	v_fmac_f32_e32 v70, v74, v73
	s_andn2_b64 exec, exec, s[10:11]
	s_cbranch_execnz .LBB79_57
; %bb.58:
	s_or_b64 exec, exec, s[10:11]
.LBB79_59:
	s_or_b64 exec, exec, s[2:3]
	v_and_b32_e32 v68, 7, v67
	v_cmp_ne_u32_e32 vcc, 0, v68
	s_and_saveexec_b64 s[8:9], vcc
	s_cbranch_execz .LBB79_63
; %bb.60:
	v_lshl_add_u32 v71, v66, 2, 64
	v_mov_b32_e32 v67, 0
	s_mov_b64 s[10:11], 0
.LBB79_61:                              ; =>This Inner Loop Header: Depth=1
	v_cmp_eq_u32_e32 vcc, 1, v66
	v_cndmask_b32_e32 v72, v18, v19, vcc
	v_add_u32_e32 v68, -1, v68
	v_cmp_eq_u32_e32 vcc, 2, v66
	v_cndmask_b32_e32 v72, v72, v20, vcc
	v_cmp_eq_u32_e32 vcc, 0, v68
	v_cmp_eq_u32_e64 s[2:3], 3, v66
	v_cndmask_b32_e64 v72, v72, v21, s[2:3]
	s_or_b64 s[10:11], vcc, s[10:11]
	v_cmp_eq_u32_e32 vcc, 4, v66
	v_cndmask_b32_e32 v72, v72, v22, vcc
	v_cmp_eq_u32_e32 vcc, 5, v66
	v_cndmask_b32_e32 v72, v72, v23, vcc
	;; [unrolled: 2-line block ×7, first 2 shown]
	v_cmp_eq_u32_e32 vcc, 11, v66
	ds_read_b32 v73, v71
	v_cndmask_b32_e32 v72, v72, v29, vcc
	v_cmp_eq_u32_e32 vcc, 12, v66
	v_cndmask_b32_e32 v72, v72, v30, vcc
	v_cmp_eq_u32_e32 vcc, 13, v66
	;; [unrolled: 2-line block ×4, first 2 shown]
	v_add_co_u32_e64 v66, s[2:3], 1, v66
	v_cndmask_b32_e32 v72, v72, v33, vcc
	v_add_u32_e32 v71, 4, v71
	v_addc_co_u32_e64 v67, s[2:3], 0, v67, s[2:3]
	s_waitcnt lgkmcnt(0)
	v_fmac_f32_e32 v70, v72, v73
	s_andn2_b64 exec, exec, s[10:11]
	s_cbranch_execnz .LBB79_61
; %bb.62:
	s_or_b64 exec, exec, s[10:11]
.LBB79_63:
	s_or_b64 exec, exec, s[8:9]
.LBB79_64:
	s_or_b64 exec, exec, s[6:7]
	v_mov_b32_e32 v28, 0
	ds_read_b32 v28, v28 offset:40
	s_waitcnt lgkmcnt(0)
	v_mul_f32_e32 v28, v70, v28
.LBB79_65:
	s_or_b64 exec, exec, s[4:5]
	v_cmp_lt_u32_e64 s[2:3], 9, v0
	ds_write_b32 v69, v27
	s_waitcnt lgkmcnt(0)
	; wave barrier
	s_waitcnt lgkmcnt(0)
	s_and_saveexec_b64 s[4:5], s[2:3]
	s_cbranch_execz .LBB79_81
; %bb.66:
	s_andn2_b64 vcc, exec, s[34:35]
	s_cbranch_vccnz .LBB79_68
; %bb.67:
	v_cmp_eq_u32_e32 vcc, 1, v0
	v_cndmask_b32_e32 v66, v18, v19, vcc
	v_cmp_eq_u32_e32 vcc, 2, v0
	v_cndmask_b32_e32 v66, v66, v20, vcc
	;; [unrolled: 2-line block ×11, first 2 shown]
	v_cmp_eq_u32_e32 vcc, 12, v0
	ds_read_b32 v67, v69
	v_cndmask_b32_e32 v66, v66, v30, vcc
	v_cmp_eq_u32_e32 vcc, 13, v0
	v_cndmask_b32_e32 v66, v66, v31, vcc
	v_cmp_eq_u32_e32 vcc, 14, v0
	v_cndmask_b32_e32 v66, v66, v32, vcc
	v_cmp_eq_u32_e32 vcc, 15, v0
	v_cndmask_b32_e32 v66, v66, v33, vcc
	s_waitcnt lgkmcnt(0)
	v_mul_f32_e32 v70, v66, v67
	s_cbranch_execz .LBB79_69
	s_branch .LBB79_70
.LBB79_68:
                                        ; implicit-def: $vgpr70
.LBB79_69:
	ds_read_b32 v70, v69
.LBB79_70:
	s_and_saveexec_b64 s[6:7], s[0:1]
	s_cbranch_execz .LBB79_80
; %bb.71:
	v_add_u32_e32 v66, -11, v0
	v_add_u32_e32 v67, -10, v0
	v_cmp_lt_u32_e32 vcc, 6, v66
	v_mov_b32_e32 v66, 10
	s_and_saveexec_b64 s[0:1], vcc
	s_cbranch_execz .LBB79_75
; %bb.72:
	v_and_b32_e32 v66, -8, v67
	v_sub_u32_e32 v68, 0, v66
	s_mov_b64 s[8:9], 17
	s_movk_i32 s12, 0x68
	s_mov_b64 s[10:11], 0
.LBB79_73:                              ; =>This Inner Loop Header: Depth=1
	s_add_i32 s13, s8, -7
	v_mov_b32_e32 v66, s12
	s_add_i32 s14, s8, -6
	s_set_gpr_idx_on s13, gpr_idx(SRC0)
	v_mov_b32_e32 v71, v18
	s_set_gpr_idx_off
	ds_read2_b64 v[72:75], v66 offset1:1
	s_add_i32 s15, s8, -5
	s_set_gpr_idx_on s14, gpr_idx(SRC0)
	v_mov_b32_e32 v80, v18
	s_set_gpr_idx_off
	s_add_i32 s16, s8, -4
	s_set_gpr_idx_on s15, gpr_idx(SRC0)
	v_mov_b32_e32 v81, v18
	s_set_gpr_idx_off
	;; [unrolled: 4-line block ×4, first 2 shown]
	ds_read2_b64 v[76:79], v66 offset0:2 offset1:3
	s_add_i32 s19, s8, -1
	s_waitcnt lgkmcnt(1)
	v_fmac_f32_e32 v70, v71, v72
	s_set_gpr_idx_on s18, gpr_idx(SRC0)
	v_mov_b32_e32 v71, v18
	s_set_gpr_idx_off
	v_fmac_f32_e32 v70, v80, v73
	s_set_gpr_idx_on s19, gpr_idx(SRC0)
	v_mov_b32_e32 v72, v18
	s_set_gpr_idx_off
	;; [unrolled: 4-line block ×3, first 2 shown]
	v_fmac_f32_e32 v70, v82, v75
	s_add_u32 s8, s8, 8
	s_waitcnt lgkmcnt(0)
	v_fmac_f32_e32 v70, v83, v76
	v_add_u32_e32 v66, s8, v68
	v_fmac_f32_e32 v70, v71, v77
	s_addc_u32 s9, s9, 0
	s_add_i32 s12, s12, 32
	s_add_i32 s13, s8, -7
	v_cmp_eq_u32_e32 vcc, 17, v66
	v_fmac_f32_e32 v70, v72, v78
	v_mov_b32_e32 v66, s13
	s_or_b64 s[10:11], vcc, s[10:11]
	v_fmac_f32_e32 v70, v73, v79
	s_andn2_b64 exec, exec, s[10:11]
	s_cbranch_execnz .LBB79_73
; %bb.74:
	s_or_b64 exec, exec, s[10:11]
.LBB79_75:
	s_or_b64 exec, exec, s[0:1]
	v_and_b32_e32 v68, 7, v67
	v_cmp_ne_u32_e32 vcc, 0, v68
	s_and_saveexec_b64 s[8:9], vcc
	s_cbranch_execz .LBB79_79
; %bb.76:
	v_lshl_add_u32 v71, v66, 2, 64
	v_mov_b32_e32 v67, 0
	s_mov_b64 s[10:11], 0
.LBB79_77:                              ; =>This Inner Loop Header: Depth=1
	v_cmp_eq_u32_e32 vcc, 1, v66
	v_cndmask_b32_e32 v72, v18, v19, vcc
	v_add_u32_e32 v68, -1, v68
	v_cmp_eq_u32_e32 vcc, 2, v66
	v_cndmask_b32_e32 v72, v72, v20, vcc
	v_cmp_eq_u32_e32 vcc, 0, v68
	v_cmp_eq_u32_e64 s[0:1], 3, v66
	v_cndmask_b32_e64 v72, v72, v21, s[0:1]
	s_or_b64 s[10:11], vcc, s[10:11]
	v_cmp_eq_u32_e32 vcc, 4, v66
	v_cndmask_b32_e32 v72, v72, v22, vcc
	v_cmp_eq_u32_e32 vcc, 5, v66
	v_cndmask_b32_e32 v72, v72, v23, vcc
	;; [unrolled: 2-line block ×7, first 2 shown]
	v_cmp_eq_u32_e32 vcc, 11, v66
	ds_read_b32 v73, v71
	v_cndmask_b32_e32 v72, v72, v29, vcc
	v_cmp_eq_u32_e32 vcc, 12, v66
	v_cndmask_b32_e32 v72, v72, v30, vcc
	v_cmp_eq_u32_e32 vcc, 13, v66
	;; [unrolled: 2-line block ×4, first 2 shown]
	v_add_co_u32_e64 v66, s[0:1], 1, v66
	v_cndmask_b32_e32 v72, v72, v33, vcc
	v_add_u32_e32 v71, 4, v71
	v_addc_co_u32_e64 v67, s[0:1], 0, v67, s[0:1]
	s_waitcnt lgkmcnt(0)
	v_fmac_f32_e32 v70, v72, v73
	s_andn2_b64 exec, exec, s[10:11]
	s_cbranch_execnz .LBB79_77
; %bb.78:
	s_or_b64 exec, exec, s[10:11]
.LBB79_79:
	s_or_b64 exec, exec, s[8:9]
.LBB79_80:
	s_or_b64 exec, exec, s[6:7]
	v_mov_b32_e32 v27, 0
	ds_read_b32 v27, v27 offset:36
	s_waitcnt lgkmcnt(0)
	v_mul_f32_e32 v27, v70, v27
.LBB79_81:
	s_or_b64 exec, exec, s[4:5]
	v_cmp_lt_u32_e64 s[0:1], 8, v0
	ds_write_b32 v69, v26
	s_waitcnt lgkmcnt(0)
	; wave barrier
	s_waitcnt lgkmcnt(0)
	s_and_saveexec_b64 s[4:5], s[0:1]
	s_cbranch_execz .LBB79_97
; %bb.82:
	s_andn2_b64 vcc, exec, s[34:35]
	s_cbranch_vccnz .LBB79_84
; %bb.83:
	v_cmp_eq_u32_e32 vcc, 1, v0
	v_cndmask_b32_e32 v66, v18, v19, vcc
	v_cmp_eq_u32_e32 vcc, 2, v0
	v_cndmask_b32_e32 v66, v66, v20, vcc
	;; [unrolled: 2-line block ×11, first 2 shown]
	v_cmp_eq_u32_e32 vcc, 12, v0
	ds_read_b32 v67, v69
	v_cndmask_b32_e32 v66, v66, v30, vcc
	v_cmp_eq_u32_e32 vcc, 13, v0
	v_cndmask_b32_e32 v66, v66, v31, vcc
	v_cmp_eq_u32_e32 vcc, 14, v0
	;; [unrolled: 2-line block ×3, first 2 shown]
	v_cndmask_b32_e32 v66, v66, v33, vcc
	s_waitcnt lgkmcnt(0)
	v_mul_f32_e32 v70, v66, v67
	s_cbranch_execz .LBB79_85
	s_branch .LBB79_86
.LBB79_84:
                                        ; implicit-def: $vgpr70
.LBB79_85:
	ds_read_b32 v70, v69
.LBB79_86:
	s_and_saveexec_b64 s[6:7], s[2:3]
	s_cbranch_execz .LBB79_96
; %bb.87:
	v_add_u32_e32 v66, -10, v0
	v_add_u32_e32 v67, -9, v0
	v_cmp_lt_u32_e32 vcc, 6, v66
	v_mov_b32_e32 v66, 9
	s_and_saveexec_b64 s[2:3], vcc
	s_cbranch_execz .LBB79_91
; %bb.88:
	v_and_b32_e32 v66, -8, v67
	v_sub_u32_e32 v68, 0, v66
	s_mov_b64 s[8:9], 16
	s_movk_i32 s12, 0x64
	s_mov_b64 s[10:11], 0
.LBB79_89:                              ; =>This Inner Loop Header: Depth=1
	s_add_i32 s13, s8, -7
	v_mov_b32_e32 v66, s12
	s_add_i32 s14, s8, -6
	s_set_gpr_idx_on s13, gpr_idx(SRC0)
	v_mov_b32_e32 v71, v18
	s_set_gpr_idx_off
	ds_read2_b32 v[72:73], v66 offset1:1
	s_add_i32 s15, s8, -5
	s_set_gpr_idx_on s14, gpr_idx(SRC0)
	v_mov_b32_e32 v78, v18
	s_set_gpr_idx_off
	s_add_i32 s16, s8, -4
	s_set_gpr_idx_on s15, gpr_idx(SRC0)
	v_mov_b32_e32 v79, v18
	s_set_gpr_idx_off
	ds_read2_b32 v[74:75], v66 offset0:2 offset1:3
	s_add_i32 s17, s8, -3
	s_set_gpr_idx_on s16, gpr_idx(SRC0)
	v_mov_b32_e32 v80, v18
	s_set_gpr_idx_off
	s_add_i32 s18, s8, -2
	s_set_gpr_idx_on s17, gpr_idx(SRC0)
	v_mov_b32_e32 v81, v18
	s_set_gpr_idx_off
	ds_read2_b32 v[76:77], v66 offset0:4 offset1:5
	s_add_i32 s19, s8, -1
	s_waitcnt lgkmcnt(2)
	v_fmac_f32_e32 v70, v71, v72
	s_set_gpr_idx_on s18, gpr_idx(SRC0)
	v_mov_b32_e32 v71, v18
	s_set_gpr_idx_off
	v_fmac_f32_e32 v70, v78, v73
	s_set_gpr_idx_on s19, gpr_idx(SRC0)
	v_mov_b32_e32 v78, v18
	s_set_gpr_idx_off
	ds_read2_b32 v[72:73], v66 offset0:6 offset1:7
	s_waitcnt lgkmcnt(2)
	v_fmac_f32_e32 v70, v79, v74
	s_set_gpr_idx_on s8, gpr_idx(SRC0)
	v_mov_b32_e32 v74, v18
	s_set_gpr_idx_off
	v_fmac_f32_e32 v70, v80, v75
	s_add_u32 s8, s8, 8
	s_waitcnt lgkmcnt(1)
	v_fmac_f32_e32 v70, v81, v76
	v_add_u32_e32 v66, s8, v68
	v_fmac_f32_e32 v70, v71, v77
	s_addc_u32 s9, s9, 0
	s_add_i32 s12, s12, 32
	s_add_i32 s13, s8, -7
	v_cmp_eq_u32_e32 vcc, 16, v66
	s_waitcnt lgkmcnt(0)
	v_fmac_f32_e32 v70, v78, v72
	v_mov_b32_e32 v66, s13
	s_or_b64 s[10:11], vcc, s[10:11]
	v_fmac_f32_e32 v70, v74, v73
	s_andn2_b64 exec, exec, s[10:11]
	s_cbranch_execnz .LBB79_89
; %bb.90:
	s_or_b64 exec, exec, s[10:11]
.LBB79_91:
	s_or_b64 exec, exec, s[2:3]
	v_and_b32_e32 v68, 7, v67
	v_cmp_ne_u32_e32 vcc, 0, v68
	s_and_saveexec_b64 s[8:9], vcc
	s_cbranch_execz .LBB79_95
; %bb.92:
	v_lshl_add_u32 v71, v66, 2, 64
	v_mov_b32_e32 v67, 0
	s_mov_b64 s[10:11], 0
.LBB79_93:                              ; =>This Inner Loop Header: Depth=1
	v_cmp_eq_u32_e32 vcc, 1, v66
	v_cndmask_b32_e32 v72, v18, v19, vcc
	v_add_u32_e32 v68, -1, v68
	v_cmp_eq_u32_e32 vcc, 2, v66
	v_cndmask_b32_e32 v72, v72, v20, vcc
	v_cmp_eq_u32_e32 vcc, 0, v68
	v_cmp_eq_u32_e64 s[2:3], 3, v66
	v_cndmask_b32_e64 v72, v72, v21, s[2:3]
	s_or_b64 s[10:11], vcc, s[10:11]
	v_cmp_eq_u32_e32 vcc, 4, v66
	v_cndmask_b32_e32 v72, v72, v22, vcc
	v_cmp_eq_u32_e32 vcc, 5, v66
	v_cndmask_b32_e32 v72, v72, v23, vcc
	;; [unrolled: 2-line block ×7, first 2 shown]
	v_cmp_eq_u32_e32 vcc, 11, v66
	ds_read_b32 v73, v71
	v_cndmask_b32_e32 v72, v72, v29, vcc
	v_cmp_eq_u32_e32 vcc, 12, v66
	v_cndmask_b32_e32 v72, v72, v30, vcc
	v_cmp_eq_u32_e32 vcc, 13, v66
	;; [unrolled: 2-line block ×4, first 2 shown]
	v_add_co_u32_e64 v66, s[2:3], 1, v66
	v_cndmask_b32_e32 v72, v72, v33, vcc
	v_add_u32_e32 v71, 4, v71
	v_addc_co_u32_e64 v67, s[2:3], 0, v67, s[2:3]
	s_waitcnt lgkmcnt(0)
	v_fmac_f32_e32 v70, v72, v73
	s_andn2_b64 exec, exec, s[10:11]
	s_cbranch_execnz .LBB79_93
; %bb.94:
	s_or_b64 exec, exec, s[10:11]
.LBB79_95:
	s_or_b64 exec, exec, s[8:9]
.LBB79_96:
	s_or_b64 exec, exec, s[6:7]
	v_mov_b32_e32 v26, 0
	ds_read_b32 v26, v26 offset:32
	s_waitcnt lgkmcnt(0)
	v_mul_f32_e32 v26, v70, v26
.LBB79_97:
	s_or_b64 exec, exec, s[4:5]
	v_cmp_lt_u32_e64 s[2:3], 7, v0
	ds_write_b32 v69, v25
	s_waitcnt lgkmcnt(0)
	; wave barrier
	s_waitcnt lgkmcnt(0)
	s_and_saveexec_b64 s[4:5], s[2:3]
	s_cbranch_execz .LBB79_113
; %bb.98:
	s_andn2_b64 vcc, exec, s[34:35]
	s_cbranch_vccnz .LBB79_100
; %bb.99:
	v_cmp_eq_u32_e32 vcc, 1, v0
	v_cndmask_b32_e32 v66, v18, v19, vcc
	v_cmp_eq_u32_e32 vcc, 2, v0
	v_cndmask_b32_e32 v66, v66, v20, vcc
	;; [unrolled: 2-line block ×11, first 2 shown]
	v_cmp_eq_u32_e32 vcc, 12, v0
	ds_read_b32 v67, v69
	v_cndmask_b32_e32 v66, v66, v30, vcc
	v_cmp_eq_u32_e32 vcc, 13, v0
	v_cndmask_b32_e32 v66, v66, v31, vcc
	v_cmp_eq_u32_e32 vcc, 14, v0
	v_cndmask_b32_e32 v66, v66, v32, vcc
	v_cmp_eq_u32_e32 vcc, 15, v0
	v_cndmask_b32_e32 v66, v66, v33, vcc
	s_waitcnt lgkmcnt(0)
	v_mul_f32_e32 v70, v66, v67
	s_cbranch_execz .LBB79_101
	s_branch .LBB79_102
.LBB79_100:
                                        ; implicit-def: $vgpr70
.LBB79_101:
	ds_read_b32 v70, v69
.LBB79_102:
	s_and_saveexec_b64 s[6:7], s[0:1]
	s_cbranch_execz .LBB79_112
; %bb.103:
	v_add_u32_e32 v66, -9, v0
	v_cmp_lt_u32_e32 vcc, 6, v66
	v_mov_b32_e32 v66, 8
	s_and_saveexec_b64 s[0:1], vcc
	s_cbranch_execz .LBB79_107
; %bb.104:
	v_and_b32_e32 v66, 8, v0
	v_sub_u32_e32 v68, 0, v66
	s_mov_b64 s[8:9], 15
	s_movk_i32 s12, 0x60
	s_mov_b64 s[10:11], 0
.LBB79_105:                             ; =>This Inner Loop Header: Depth=1
	s_add_i32 s13, s8, -7
	v_mov_b32_e32 v66, s12
	s_add_i32 s14, s8, -6
	s_set_gpr_idx_on s13, gpr_idx(SRC0)
	v_mov_b32_e32 v67, v18
	s_set_gpr_idx_off
	s_add_i32 s15, s8, -5
	ds_read_b128 v[72:75], v66
	ds_read_b128 v[76:79], v66 offset:16
	s_set_gpr_idx_on s14, gpr_idx(SRC0)
	v_mov_b32_e32 v66, v18
	s_set_gpr_idx_off
	s_add_i32 s16, s8, -4
	s_set_gpr_idx_on s15, gpr_idx(SRC0)
	v_mov_b32_e32 v71, v18
	s_set_gpr_idx_off
	s_add_i32 s17, s8, -3
	s_set_gpr_idx_on s16, gpr_idx(SRC0)
	v_mov_b32_e32 v80, v18
	s_set_gpr_idx_off
	s_add_i32 s18, s8, -2
	s_set_gpr_idx_on s17, gpr_idx(SRC0)
	v_mov_b32_e32 v81, v18
	s_set_gpr_idx_off
	s_add_i32 s19, s8, -1
	s_waitcnt lgkmcnt(1)
	v_fmac_f32_e32 v70, v67, v72
	s_set_gpr_idx_on s18, gpr_idx(SRC0)
	v_mov_b32_e32 v67, v18
	s_set_gpr_idx_off
	v_fmac_f32_e32 v70, v66, v73
	s_set_gpr_idx_on s19, gpr_idx(SRC0)
	v_mov_b32_e32 v72, v18
	s_set_gpr_idx_off
	;; [unrolled: 4-line block ×3, first 2 shown]
	v_fmac_f32_e32 v70, v80, v75
	s_add_u32 s8, s8, 8
	s_waitcnt lgkmcnt(0)
	v_fmac_f32_e32 v70, v81, v76
	v_add_u32_e32 v66, s8, v68
	v_fmac_f32_e32 v70, v67, v77
	s_addc_u32 s9, s9, 0
	s_add_i32 s12, s12, 32
	s_add_i32 s13, s8, -7
	v_cmp_eq_u32_e32 vcc, 7, v66
	v_fmac_f32_e32 v70, v72, v78
	v_mov_b32_e32 v66, s13
	s_or_b64 s[10:11], vcc, s[10:11]
	v_fmac_f32_e32 v70, v71, v79
	s_andn2_b64 exec, exec, s[10:11]
	s_cbranch_execnz .LBB79_105
; %bb.106:
	s_or_b64 exec, exec, s[10:11]
.LBB79_107:
	s_or_b64 exec, exec, s[0:1]
	v_and_b32_e32 v68, 7, v0
	v_cmp_ne_u32_e32 vcc, 0, v68
	s_and_saveexec_b64 s[8:9], vcc
	s_cbranch_execz .LBB79_111
; %bb.108:
	v_lshl_add_u32 v71, v66, 2, 64
	v_mov_b32_e32 v67, 0
	s_mov_b64 s[10:11], 0
.LBB79_109:                             ; =>This Inner Loop Header: Depth=1
	v_cmp_eq_u32_e32 vcc, 1, v66
	v_cndmask_b32_e32 v72, v18, v19, vcc
	v_add_u32_e32 v68, -1, v68
	v_cmp_eq_u32_e32 vcc, 2, v66
	v_cndmask_b32_e32 v72, v72, v20, vcc
	v_cmp_eq_u32_e32 vcc, 0, v68
	v_cmp_eq_u32_e64 s[0:1], 3, v66
	v_cndmask_b32_e64 v72, v72, v21, s[0:1]
	s_or_b64 s[10:11], vcc, s[10:11]
	v_cmp_eq_u32_e32 vcc, 4, v66
	v_cndmask_b32_e32 v72, v72, v22, vcc
	v_cmp_eq_u32_e32 vcc, 5, v66
	v_cndmask_b32_e32 v72, v72, v23, vcc
	;; [unrolled: 2-line block ×7, first 2 shown]
	v_cmp_eq_u32_e32 vcc, 11, v66
	ds_read_b32 v73, v71
	v_cndmask_b32_e32 v72, v72, v29, vcc
	v_cmp_eq_u32_e32 vcc, 12, v66
	v_cndmask_b32_e32 v72, v72, v30, vcc
	v_cmp_eq_u32_e32 vcc, 13, v66
	;; [unrolled: 2-line block ×4, first 2 shown]
	v_add_co_u32_e64 v66, s[0:1], 1, v66
	v_cndmask_b32_e32 v72, v72, v33, vcc
	v_add_u32_e32 v71, 4, v71
	v_addc_co_u32_e64 v67, s[0:1], 0, v67, s[0:1]
	s_waitcnt lgkmcnt(0)
	v_fmac_f32_e32 v70, v72, v73
	s_andn2_b64 exec, exec, s[10:11]
	s_cbranch_execnz .LBB79_109
; %bb.110:
	s_or_b64 exec, exec, s[10:11]
.LBB79_111:
	s_or_b64 exec, exec, s[8:9]
.LBB79_112:
	s_or_b64 exec, exec, s[6:7]
	v_mov_b32_e32 v25, 0
	ds_read_b32 v25, v25 offset:28
	s_waitcnt lgkmcnt(0)
	v_mul_f32_e32 v25, v70, v25
.LBB79_113:
	s_or_b64 exec, exec, s[4:5]
	v_cmp_lt_u32_e64 s[0:1], 6, v0
	ds_write_b32 v69, v24
	s_waitcnt lgkmcnt(0)
	; wave barrier
	s_waitcnt lgkmcnt(0)
	s_and_saveexec_b64 s[4:5], s[0:1]
	s_cbranch_execz .LBB79_129
; %bb.114:
	s_andn2_b64 vcc, exec, s[34:35]
	s_cbranch_vccnz .LBB79_116
; %bb.115:
	v_cmp_eq_u32_e32 vcc, 1, v0
	v_cndmask_b32_e32 v66, v18, v19, vcc
	v_cmp_eq_u32_e32 vcc, 2, v0
	v_cndmask_b32_e32 v66, v66, v20, vcc
	;; [unrolled: 2-line block ×11, first 2 shown]
	v_cmp_eq_u32_e32 vcc, 12, v0
	ds_read_b32 v67, v69
	v_cndmask_b32_e32 v66, v66, v30, vcc
	v_cmp_eq_u32_e32 vcc, 13, v0
	v_cndmask_b32_e32 v66, v66, v31, vcc
	v_cmp_eq_u32_e32 vcc, 14, v0
	;; [unrolled: 2-line block ×3, first 2 shown]
	v_cndmask_b32_e32 v66, v66, v33, vcc
	s_waitcnt lgkmcnt(0)
	v_mul_f32_e32 v70, v66, v67
	s_cbranch_execz .LBB79_117
	s_branch .LBB79_118
.LBB79_116:
                                        ; implicit-def: $vgpr70
.LBB79_117:
	ds_read_b32 v70, v69
.LBB79_118:
	s_and_saveexec_b64 s[6:7], s[2:3]
	s_cbranch_execz .LBB79_128
; %bb.119:
	v_add_u32_e32 v66, -8, v0
	v_add_u32_e32 v67, -7, v0
	v_cmp_lt_u32_e32 vcc, 6, v66
	v_mov_b32_e32 v66, 7
	s_and_saveexec_b64 s[2:3], vcc
	s_cbranch_execz .LBB79_123
; %bb.120:
	v_and_b32_e32 v66, -8, v67
	v_sub_u32_e32 v68, 0, v66
	s_mov_b64 s[8:9], 14
	s_movk_i32 s12, 0x5c
	s_mov_b64 s[10:11], 0
.LBB79_121:                             ; =>This Inner Loop Header: Depth=1
	s_add_i32 s13, s8, -7
	v_mov_b32_e32 v66, s12
	s_add_i32 s14, s8, -6
	s_set_gpr_idx_on s13, gpr_idx(SRC0)
	v_mov_b32_e32 v71, v18
	s_set_gpr_idx_off
	ds_read2_b32 v[72:73], v66 offset1:1
	s_add_i32 s15, s8, -5
	s_set_gpr_idx_on s14, gpr_idx(SRC0)
	v_mov_b32_e32 v78, v18
	s_set_gpr_idx_off
	s_add_i32 s16, s8, -4
	s_set_gpr_idx_on s15, gpr_idx(SRC0)
	v_mov_b32_e32 v79, v18
	s_set_gpr_idx_off
	ds_read2_b32 v[74:75], v66 offset0:2 offset1:3
	s_add_i32 s17, s8, -3
	s_set_gpr_idx_on s16, gpr_idx(SRC0)
	v_mov_b32_e32 v80, v18
	s_set_gpr_idx_off
	s_add_i32 s18, s8, -2
	s_set_gpr_idx_on s17, gpr_idx(SRC0)
	v_mov_b32_e32 v81, v18
	s_set_gpr_idx_off
	ds_read2_b32 v[76:77], v66 offset0:4 offset1:5
	s_add_i32 s19, s8, -1
	s_waitcnt lgkmcnt(2)
	v_fmac_f32_e32 v70, v71, v72
	s_set_gpr_idx_on s18, gpr_idx(SRC0)
	v_mov_b32_e32 v71, v18
	s_set_gpr_idx_off
	v_fmac_f32_e32 v70, v78, v73
	s_set_gpr_idx_on s19, gpr_idx(SRC0)
	v_mov_b32_e32 v78, v18
	s_set_gpr_idx_off
	ds_read2_b32 v[72:73], v66 offset0:6 offset1:7
	s_waitcnt lgkmcnt(2)
	v_fmac_f32_e32 v70, v79, v74
	s_set_gpr_idx_on s8, gpr_idx(SRC0)
	v_mov_b32_e32 v74, v18
	s_set_gpr_idx_off
	v_fmac_f32_e32 v70, v80, v75
	s_add_u32 s8, s8, 8
	s_waitcnt lgkmcnt(1)
	v_fmac_f32_e32 v70, v81, v76
	v_add_u32_e32 v66, s8, v68
	v_fmac_f32_e32 v70, v71, v77
	s_addc_u32 s9, s9, 0
	s_add_i32 s12, s12, 32
	s_add_i32 s13, s8, -7
	v_cmp_eq_u32_e32 vcc, 14, v66
	s_waitcnt lgkmcnt(0)
	v_fmac_f32_e32 v70, v78, v72
	v_mov_b32_e32 v66, s13
	s_or_b64 s[10:11], vcc, s[10:11]
	v_fmac_f32_e32 v70, v74, v73
	s_andn2_b64 exec, exec, s[10:11]
	s_cbranch_execnz .LBB79_121
; %bb.122:
	s_or_b64 exec, exec, s[10:11]
.LBB79_123:
	s_or_b64 exec, exec, s[2:3]
	v_and_b32_e32 v68, 7, v67
	v_cmp_ne_u32_e32 vcc, 0, v68
	s_and_saveexec_b64 s[8:9], vcc
	s_cbranch_execz .LBB79_127
; %bb.124:
	v_lshl_add_u32 v71, v66, 2, 64
	v_mov_b32_e32 v67, 0
	s_mov_b64 s[10:11], 0
.LBB79_125:                             ; =>This Inner Loop Header: Depth=1
	v_cmp_eq_u32_e32 vcc, 1, v66
	v_cndmask_b32_e32 v72, v18, v19, vcc
	v_add_u32_e32 v68, -1, v68
	v_cmp_eq_u32_e32 vcc, 2, v66
	v_cndmask_b32_e32 v72, v72, v20, vcc
	v_cmp_eq_u32_e32 vcc, 0, v68
	v_cmp_eq_u32_e64 s[2:3], 3, v66
	v_cndmask_b32_e64 v72, v72, v21, s[2:3]
	s_or_b64 s[10:11], vcc, s[10:11]
	v_cmp_eq_u32_e32 vcc, 4, v66
	v_cndmask_b32_e32 v72, v72, v22, vcc
	v_cmp_eq_u32_e32 vcc, 5, v66
	v_cndmask_b32_e32 v72, v72, v23, vcc
	;; [unrolled: 2-line block ×7, first 2 shown]
	v_cmp_eq_u32_e32 vcc, 11, v66
	ds_read_b32 v73, v71
	v_cndmask_b32_e32 v72, v72, v29, vcc
	v_cmp_eq_u32_e32 vcc, 12, v66
	v_cndmask_b32_e32 v72, v72, v30, vcc
	v_cmp_eq_u32_e32 vcc, 13, v66
	;; [unrolled: 2-line block ×4, first 2 shown]
	v_add_co_u32_e64 v66, s[2:3], 1, v66
	v_cndmask_b32_e32 v72, v72, v33, vcc
	v_add_u32_e32 v71, 4, v71
	v_addc_co_u32_e64 v67, s[2:3], 0, v67, s[2:3]
	s_waitcnt lgkmcnt(0)
	v_fmac_f32_e32 v70, v72, v73
	s_andn2_b64 exec, exec, s[10:11]
	s_cbranch_execnz .LBB79_125
; %bb.126:
	s_or_b64 exec, exec, s[10:11]
.LBB79_127:
	s_or_b64 exec, exec, s[8:9]
.LBB79_128:
	s_or_b64 exec, exec, s[6:7]
	v_mov_b32_e32 v24, 0
	ds_read_b32 v24, v24 offset:24
	s_waitcnt lgkmcnt(0)
	v_mul_f32_e32 v24, v70, v24
.LBB79_129:
	s_or_b64 exec, exec, s[4:5]
	v_cmp_lt_u32_e64 s[2:3], 5, v0
	ds_write_b32 v69, v23
	s_waitcnt lgkmcnt(0)
	; wave barrier
	s_waitcnt lgkmcnt(0)
	s_and_saveexec_b64 s[4:5], s[2:3]
	s_cbranch_execz .LBB79_145
; %bb.130:
	s_andn2_b64 vcc, exec, s[34:35]
	s_cbranch_vccnz .LBB79_132
; %bb.131:
	v_cmp_eq_u32_e32 vcc, 1, v0
	v_cndmask_b32_e32 v66, v18, v19, vcc
	v_cmp_eq_u32_e32 vcc, 2, v0
	v_cndmask_b32_e32 v66, v66, v20, vcc
	;; [unrolled: 2-line block ×11, first 2 shown]
	v_cmp_eq_u32_e32 vcc, 12, v0
	ds_read_b32 v67, v69
	v_cndmask_b32_e32 v66, v66, v30, vcc
	v_cmp_eq_u32_e32 vcc, 13, v0
	v_cndmask_b32_e32 v66, v66, v31, vcc
	v_cmp_eq_u32_e32 vcc, 14, v0
	;; [unrolled: 2-line block ×3, first 2 shown]
	v_cndmask_b32_e32 v66, v66, v33, vcc
	s_waitcnt lgkmcnt(0)
	v_mul_f32_e32 v70, v66, v67
	s_cbranch_execz .LBB79_133
	s_branch .LBB79_134
.LBB79_132:
                                        ; implicit-def: $vgpr70
.LBB79_133:
	ds_read_b32 v70, v69
.LBB79_134:
	s_and_saveexec_b64 s[6:7], s[0:1]
	s_cbranch_execz .LBB79_144
; %bb.135:
	v_add_u32_e32 v66, -7, v0
	v_add_u32_e32 v67, -6, v0
	v_cmp_lt_u32_e32 vcc, 6, v66
	v_mov_b32_e32 v66, 6
	s_and_saveexec_b64 s[0:1], vcc
	s_cbranch_execz .LBB79_139
; %bb.136:
	v_and_b32_e32 v66, -8, v67
	v_sub_u32_e32 v68, 0, v66
	s_mov_b64 s[8:9], 13
	s_movk_i32 s12, 0x58
	s_mov_b64 s[10:11], 0
.LBB79_137:                             ; =>This Inner Loop Header: Depth=1
	s_add_i32 s13, s8, -7
	v_mov_b32_e32 v66, s12
	s_add_i32 s14, s8, -6
	s_set_gpr_idx_on s13, gpr_idx(SRC0)
	v_mov_b32_e32 v71, v18
	s_set_gpr_idx_off
	ds_read2_b64 v[72:75], v66 offset1:1
	s_add_i32 s15, s8, -5
	s_set_gpr_idx_on s14, gpr_idx(SRC0)
	v_mov_b32_e32 v80, v18
	s_set_gpr_idx_off
	s_add_i32 s16, s8, -4
	s_set_gpr_idx_on s15, gpr_idx(SRC0)
	v_mov_b32_e32 v81, v18
	s_set_gpr_idx_off
	;; [unrolled: 4-line block ×4, first 2 shown]
	ds_read2_b64 v[76:79], v66 offset0:2 offset1:3
	s_add_i32 s19, s8, -1
	s_waitcnt lgkmcnt(1)
	v_fmac_f32_e32 v70, v71, v72
	s_set_gpr_idx_on s18, gpr_idx(SRC0)
	v_mov_b32_e32 v71, v18
	s_set_gpr_idx_off
	v_fmac_f32_e32 v70, v80, v73
	s_set_gpr_idx_on s19, gpr_idx(SRC0)
	v_mov_b32_e32 v72, v18
	s_set_gpr_idx_off
	;; [unrolled: 4-line block ×3, first 2 shown]
	v_fmac_f32_e32 v70, v82, v75
	s_add_u32 s8, s8, 8
	s_waitcnt lgkmcnt(0)
	v_fmac_f32_e32 v70, v83, v76
	v_add_u32_e32 v66, s8, v68
	v_fmac_f32_e32 v70, v71, v77
	s_addc_u32 s9, s9, 0
	s_add_i32 s12, s12, 32
	s_add_i32 s13, s8, -7
	v_cmp_eq_u32_e32 vcc, 13, v66
	v_fmac_f32_e32 v70, v72, v78
	v_mov_b32_e32 v66, s13
	s_or_b64 s[10:11], vcc, s[10:11]
	v_fmac_f32_e32 v70, v73, v79
	s_andn2_b64 exec, exec, s[10:11]
	s_cbranch_execnz .LBB79_137
; %bb.138:
	s_or_b64 exec, exec, s[10:11]
.LBB79_139:
	s_or_b64 exec, exec, s[0:1]
	v_and_b32_e32 v68, 7, v67
	v_cmp_ne_u32_e32 vcc, 0, v68
	s_and_saveexec_b64 s[8:9], vcc
	s_cbranch_execz .LBB79_143
; %bb.140:
	v_lshl_add_u32 v71, v66, 2, 64
	v_mov_b32_e32 v67, 0
	s_mov_b64 s[10:11], 0
.LBB79_141:                             ; =>This Inner Loop Header: Depth=1
	v_cmp_eq_u32_e32 vcc, 1, v66
	v_cndmask_b32_e32 v72, v18, v19, vcc
	v_add_u32_e32 v68, -1, v68
	v_cmp_eq_u32_e32 vcc, 2, v66
	v_cndmask_b32_e32 v72, v72, v20, vcc
	v_cmp_eq_u32_e32 vcc, 0, v68
	v_cmp_eq_u32_e64 s[0:1], 3, v66
	v_cndmask_b32_e64 v72, v72, v21, s[0:1]
	s_or_b64 s[10:11], vcc, s[10:11]
	v_cmp_eq_u32_e32 vcc, 4, v66
	v_cndmask_b32_e32 v72, v72, v22, vcc
	v_cmp_eq_u32_e32 vcc, 5, v66
	v_cndmask_b32_e32 v72, v72, v23, vcc
	;; [unrolled: 2-line block ×7, first 2 shown]
	v_cmp_eq_u32_e32 vcc, 11, v66
	ds_read_b32 v73, v71
	v_cndmask_b32_e32 v72, v72, v29, vcc
	v_cmp_eq_u32_e32 vcc, 12, v66
	v_cndmask_b32_e32 v72, v72, v30, vcc
	v_cmp_eq_u32_e32 vcc, 13, v66
	;; [unrolled: 2-line block ×4, first 2 shown]
	v_add_co_u32_e64 v66, s[0:1], 1, v66
	v_cndmask_b32_e32 v72, v72, v33, vcc
	v_add_u32_e32 v71, 4, v71
	v_addc_co_u32_e64 v67, s[0:1], 0, v67, s[0:1]
	s_waitcnt lgkmcnt(0)
	v_fmac_f32_e32 v70, v72, v73
	s_andn2_b64 exec, exec, s[10:11]
	s_cbranch_execnz .LBB79_141
; %bb.142:
	s_or_b64 exec, exec, s[10:11]
.LBB79_143:
	s_or_b64 exec, exec, s[8:9]
.LBB79_144:
	s_or_b64 exec, exec, s[6:7]
	v_mov_b32_e32 v23, 0
	ds_read_b32 v23, v23 offset:20
	s_waitcnt lgkmcnt(0)
	v_mul_f32_e32 v23, v70, v23
.LBB79_145:
	s_or_b64 exec, exec, s[4:5]
	v_cmp_lt_u32_e64 s[0:1], 4, v0
	ds_write_b32 v69, v22
	s_waitcnt lgkmcnt(0)
	; wave barrier
	s_waitcnt lgkmcnt(0)
	s_and_saveexec_b64 s[4:5], s[0:1]
	s_cbranch_execz .LBB79_161
; %bb.146:
	s_andn2_b64 vcc, exec, s[34:35]
	s_cbranch_vccnz .LBB79_148
; %bb.147:
	v_cmp_eq_u32_e32 vcc, 1, v0
	v_cndmask_b32_e32 v66, v18, v19, vcc
	v_cmp_eq_u32_e32 vcc, 2, v0
	v_cndmask_b32_e32 v66, v66, v20, vcc
	v_cmp_eq_u32_e32 vcc, 3, v0
	v_cndmask_b32_e32 v66, v66, v21, vcc
	v_cmp_eq_u32_e32 vcc, 4, v0
	v_cndmask_b32_e32 v66, v66, v22, vcc
	v_cmp_eq_u32_e32 vcc, 5, v0
	v_cndmask_b32_e32 v66, v66, v23, vcc
	v_cmp_eq_u32_e32 vcc, 6, v0
	v_cndmask_b32_e32 v66, v66, v24, vcc
	v_cmp_eq_u32_e32 vcc, 7, v0
	v_cndmask_b32_e32 v66, v66, v25, vcc
	v_cmp_eq_u32_e32 vcc, 8, v0
	v_cndmask_b32_e32 v66, v66, v26, vcc
	v_cmp_eq_u32_e32 vcc, 9, v0
	v_cndmask_b32_e32 v66, v66, v27, vcc
	v_cmp_eq_u32_e32 vcc, 10, v0
	v_cndmask_b32_e32 v66, v66, v28, vcc
	v_cmp_eq_u32_e32 vcc, 11, v0
	v_cndmask_b32_e32 v66, v66, v29, vcc
	v_cmp_eq_u32_e32 vcc, 12, v0
	ds_read_b32 v67, v69
	v_cndmask_b32_e32 v66, v66, v30, vcc
	v_cmp_eq_u32_e32 vcc, 13, v0
	v_cndmask_b32_e32 v66, v66, v31, vcc
	v_cmp_eq_u32_e32 vcc, 14, v0
	;; [unrolled: 2-line block ×3, first 2 shown]
	v_cndmask_b32_e32 v66, v66, v33, vcc
	s_waitcnt lgkmcnt(0)
	v_mul_f32_e32 v70, v66, v67
	s_cbranch_execz .LBB79_149
	s_branch .LBB79_150
.LBB79_148:
                                        ; implicit-def: $vgpr70
.LBB79_149:
	ds_read_b32 v70, v69
.LBB79_150:
	s_and_saveexec_b64 s[6:7], s[2:3]
	s_cbranch_execz .LBB79_160
; %bb.151:
	v_add_u32_e32 v66, -6, v0
	v_add_u32_e32 v67, -5, v0
	v_cmp_lt_u32_e32 vcc, 6, v66
	v_mov_b32_e32 v66, 5
	s_and_saveexec_b64 s[2:3], vcc
	s_cbranch_execz .LBB79_155
; %bb.152:
	v_and_b32_e32 v66, -8, v67
	v_sub_u32_e32 v68, 0, v66
	s_mov_b64 s[8:9], 12
	s_movk_i32 s12, 0x54
	s_mov_b64 s[10:11], 0
.LBB79_153:                             ; =>This Inner Loop Header: Depth=1
	s_add_i32 s13, s8, -7
	v_mov_b32_e32 v66, s12
	s_add_i32 s14, s8, -6
	s_set_gpr_idx_on s13, gpr_idx(SRC0)
	v_mov_b32_e32 v71, v18
	s_set_gpr_idx_off
	ds_read2_b32 v[72:73], v66 offset1:1
	s_add_i32 s15, s8, -5
	s_set_gpr_idx_on s14, gpr_idx(SRC0)
	v_mov_b32_e32 v78, v18
	s_set_gpr_idx_off
	s_add_i32 s16, s8, -4
	s_set_gpr_idx_on s15, gpr_idx(SRC0)
	v_mov_b32_e32 v79, v18
	s_set_gpr_idx_off
	ds_read2_b32 v[74:75], v66 offset0:2 offset1:3
	s_add_i32 s17, s8, -3
	s_set_gpr_idx_on s16, gpr_idx(SRC0)
	v_mov_b32_e32 v80, v18
	s_set_gpr_idx_off
	s_add_i32 s18, s8, -2
	s_set_gpr_idx_on s17, gpr_idx(SRC0)
	v_mov_b32_e32 v81, v18
	s_set_gpr_idx_off
	ds_read2_b32 v[76:77], v66 offset0:4 offset1:5
	s_add_i32 s19, s8, -1
	s_waitcnt lgkmcnt(2)
	v_fmac_f32_e32 v70, v71, v72
	s_set_gpr_idx_on s18, gpr_idx(SRC0)
	v_mov_b32_e32 v71, v18
	s_set_gpr_idx_off
	v_fmac_f32_e32 v70, v78, v73
	s_set_gpr_idx_on s19, gpr_idx(SRC0)
	v_mov_b32_e32 v78, v18
	s_set_gpr_idx_off
	ds_read2_b32 v[72:73], v66 offset0:6 offset1:7
	s_waitcnt lgkmcnt(2)
	v_fmac_f32_e32 v70, v79, v74
	s_set_gpr_idx_on s8, gpr_idx(SRC0)
	v_mov_b32_e32 v74, v18
	s_set_gpr_idx_off
	v_fmac_f32_e32 v70, v80, v75
	s_add_u32 s8, s8, 8
	s_waitcnt lgkmcnt(1)
	v_fmac_f32_e32 v70, v81, v76
	v_add_u32_e32 v66, s8, v68
	v_fmac_f32_e32 v70, v71, v77
	s_addc_u32 s9, s9, 0
	s_add_i32 s12, s12, 32
	s_add_i32 s13, s8, -7
	v_cmp_eq_u32_e32 vcc, 12, v66
	s_waitcnt lgkmcnt(0)
	v_fmac_f32_e32 v70, v78, v72
	v_mov_b32_e32 v66, s13
	s_or_b64 s[10:11], vcc, s[10:11]
	v_fmac_f32_e32 v70, v74, v73
	s_andn2_b64 exec, exec, s[10:11]
	s_cbranch_execnz .LBB79_153
; %bb.154:
	s_or_b64 exec, exec, s[10:11]
.LBB79_155:
	s_or_b64 exec, exec, s[2:3]
	v_and_b32_e32 v68, 7, v67
	v_cmp_ne_u32_e32 vcc, 0, v68
	s_and_saveexec_b64 s[8:9], vcc
	s_cbranch_execz .LBB79_159
; %bb.156:
	v_lshl_add_u32 v71, v66, 2, 64
	v_mov_b32_e32 v67, 0
	s_mov_b64 s[10:11], 0
.LBB79_157:                             ; =>This Inner Loop Header: Depth=1
	v_cmp_eq_u32_e32 vcc, 1, v66
	v_cndmask_b32_e32 v72, v18, v19, vcc
	v_add_u32_e32 v68, -1, v68
	v_cmp_eq_u32_e32 vcc, 2, v66
	v_cndmask_b32_e32 v72, v72, v20, vcc
	v_cmp_eq_u32_e32 vcc, 0, v68
	v_cmp_eq_u32_e64 s[2:3], 3, v66
	v_cndmask_b32_e64 v72, v72, v21, s[2:3]
	s_or_b64 s[10:11], vcc, s[10:11]
	v_cmp_eq_u32_e32 vcc, 4, v66
	v_cndmask_b32_e32 v72, v72, v22, vcc
	v_cmp_eq_u32_e32 vcc, 5, v66
	v_cndmask_b32_e32 v72, v72, v23, vcc
	;; [unrolled: 2-line block ×7, first 2 shown]
	v_cmp_eq_u32_e32 vcc, 11, v66
	ds_read_b32 v73, v71
	v_cndmask_b32_e32 v72, v72, v29, vcc
	v_cmp_eq_u32_e32 vcc, 12, v66
	v_cndmask_b32_e32 v72, v72, v30, vcc
	v_cmp_eq_u32_e32 vcc, 13, v66
	v_cndmask_b32_e32 v72, v72, v31, vcc
	v_cmp_eq_u32_e32 vcc, 14, v66
	v_cndmask_b32_e32 v72, v72, v32, vcc
	v_cmp_eq_u32_e32 vcc, 15, v66
	v_add_co_u32_e64 v66, s[2:3], 1, v66
	v_cndmask_b32_e32 v72, v72, v33, vcc
	v_add_u32_e32 v71, 4, v71
	v_addc_co_u32_e64 v67, s[2:3], 0, v67, s[2:3]
	s_waitcnt lgkmcnt(0)
	v_fmac_f32_e32 v70, v72, v73
	s_andn2_b64 exec, exec, s[10:11]
	s_cbranch_execnz .LBB79_157
; %bb.158:
	s_or_b64 exec, exec, s[10:11]
.LBB79_159:
	s_or_b64 exec, exec, s[8:9]
.LBB79_160:
	s_or_b64 exec, exec, s[6:7]
	v_mov_b32_e32 v22, 0
	ds_read_b32 v22, v22 offset:16
	s_waitcnt lgkmcnt(0)
	v_mul_f32_e32 v22, v70, v22
.LBB79_161:
	s_or_b64 exec, exec, s[4:5]
	v_cmp_lt_u32_e64 s[2:3], 3, v0
	ds_write_b32 v69, v21
	s_waitcnt lgkmcnt(0)
	; wave barrier
	s_waitcnt lgkmcnt(0)
	s_and_saveexec_b64 s[4:5], s[2:3]
	s_cbranch_execz .LBB79_177
; %bb.162:
	s_andn2_b64 vcc, exec, s[34:35]
	s_cbranch_vccnz .LBB79_164
; %bb.163:
	v_cmp_eq_u32_e32 vcc, 1, v0
	v_cndmask_b32_e32 v66, v18, v19, vcc
	v_cmp_eq_u32_e32 vcc, 2, v0
	v_cndmask_b32_e32 v66, v66, v20, vcc
	;; [unrolled: 2-line block ×11, first 2 shown]
	v_cmp_eq_u32_e32 vcc, 12, v0
	ds_read_b32 v67, v69
	v_cndmask_b32_e32 v66, v66, v30, vcc
	v_cmp_eq_u32_e32 vcc, 13, v0
	v_cndmask_b32_e32 v66, v66, v31, vcc
	v_cmp_eq_u32_e32 vcc, 14, v0
	;; [unrolled: 2-line block ×3, first 2 shown]
	v_cndmask_b32_e32 v66, v66, v33, vcc
	s_waitcnt lgkmcnt(0)
	v_mul_f32_e32 v70, v66, v67
	s_cbranch_execz .LBB79_165
	s_branch .LBB79_166
.LBB79_164:
                                        ; implicit-def: $vgpr70
.LBB79_165:
	ds_read_b32 v70, v69
.LBB79_166:
	s_and_saveexec_b64 s[6:7], s[0:1]
	s_cbranch_execz .LBB79_176
; %bb.167:
	v_add_u32_e32 v66, -5, v0
	v_add_u32_e32 v67, -4, v0
	v_cmp_lt_u32_e32 vcc, 6, v66
	v_mov_b32_e32 v66, 4
	s_and_saveexec_b64 s[0:1], vcc
	s_cbranch_execz .LBB79_171
; %bb.168:
	v_and_b32_e32 v66, -8, v67
	v_sub_u32_e32 v68, 0, v66
	s_mov_b64 s[8:9], 5
	s_movk_i32 s12, 0x50
	s_mov_b64 s[10:11], 0
.LBB79_169:                             ; =>This Inner Loop Header: Depth=1
	s_add_i32 s13, s8, -1
	v_mov_b32_e32 v66, s12
	s_set_gpr_idx_on s13, gpr_idx(SRC0)
	v_mov_b32_e32 v71, v18
	s_set_gpr_idx_off
	s_add_i32 s14, s8, 1
	ds_read_b128 v[72:75], v66
	ds_read_b128 v[76:79], v66 offset:16
	s_set_gpr_idx_on s8, gpr_idx(SRC0)
	v_mov_b32_e32 v80, v18
	s_set_gpr_idx_off
	s_add_i32 s15, s8, 2
	s_set_gpr_idx_on s14, gpr_idx(SRC0)
	v_mov_b32_e32 v81, v18
	s_set_gpr_idx_off
	s_add_i32 s16, s8, 3
	;; [unrolled: 4-line block ×4, first 2 shown]
	s_waitcnt lgkmcnt(1)
	v_fmac_f32_e32 v70, v71, v72
	s_set_gpr_idx_on s17, gpr_idx(SRC0)
	v_mov_b32_e32 v71, v18
	s_set_gpr_idx_off
	s_add_i32 s19, s8, 6
	v_fmac_f32_e32 v70, v80, v73
	s_set_gpr_idx_on s18, gpr_idx(SRC0)
	v_mov_b32_e32 v72, v18
	s_set_gpr_idx_off
	v_fmac_f32_e32 v70, v81, v74
	s_set_gpr_idx_on s19, gpr_idx(SRC0)
	v_mov_b32_e32 v73, v18
	s_set_gpr_idx_off
	v_fmac_f32_e32 v70, v82, v75
	s_add_u32 s8, s8, 8
	s_waitcnt lgkmcnt(0)
	v_fmac_f32_e32 v70, v83, v76
	v_add_u32_e32 v66, s8, v68
	v_fmac_f32_e32 v70, v71, v77
	s_addc_u32 s9, s9, 0
	s_add_i32 s12, s12, 32
	s_add_i32 s13, s8, -1
	v_cmp_eq_u32_e32 vcc, 5, v66
	v_fmac_f32_e32 v70, v72, v78
	v_mov_b32_e32 v66, s13
	s_or_b64 s[10:11], vcc, s[10:11]
	v_fmac_f32_e32 v70, v73, v79
	s_andn2_b64 exec, exec, s[10:11]
	s_cbranch_execnz .LBB79_169
; %bb.170:
	s_or_b64 exec, exec, s[10:11]
.LBB79_171:
	s_or_b64 exec, exec, s[0:1]
	v_and_b32_e32 v68, 7, v67
	v_cmp_ne_u32_e32 vcc, 0, v68
	s_and_saveexec_b64 s[8:9], vcc
	s_cbranch_execz .LBB79_175
; %bb.172:
	v_lshl_add_u32 v71, v66, 2, 64
	v_mov_b32_e32 v67, 0
	s_mov_b64 s[10:11], 0
.LBB79_173:                             ; =>This Inner Loop Header: Depth=1
	v_cmp_eq_u32_e32 vcc, 1, v66
	v_cndmask_b32_e32 v72, v18, v19, vcc
	v_add_u32_e32 v68, -1, v68
	v_cmp_eq_u32_e32 vcc, 2, v66
	v_cndmask_b32_e32 v72, v72, v20, vcc
	v_cmp_eq_u32_e32 vcc, 0, v68
	v_cmp_eq_u32_e64 s[0:1], 3, v66
	v_cndmask_b32_e64 v72, v72, v21, s[0:1]
	s_or_b64 s[10:11], vcc, s[10:11]
	v_cmp_eq_u32_e32 vcc, 4, v66
	v_cndmask_b32_e32 v72, v72, v22, vcc
	v_cmp_eq_u32_e32 vcc, 5, v66
	v_cndmask_b32_e32 v72, v72, v23, vcc
	;; [unrolled: 2-line block ×7, first 2 shown]
	v_cmp_eq_u32_e32 vcc, 11, v66
	ds_read_b32 v73, v71
	v_cndmask_b32_e32 v72, v72, v29, vcc
	v_cmp_eq_u32_e32 vcc, 12, v66
	v_cndmask_b32_e32 v72, v72, v30, vcc
	v_cmp_eq_u32_e32 vcc, 13, v66
	;; [unrolled: 2-line block ×4, first 2 shown]
	v_add_co_u32_e64 v66, s[0:1], 1, v66
	v_cndmask_b32_e32 v72, v72, v33, vcc
	v_add_u32_e32 v71, 4, v71
	v_addc_co_u32_e64 v67, s[0:1], 0, v67, s[0:1]
	s_waitcnt lgkmcnt(0)
	v_fmac_f32_e32 v70, v72, v73
	s_andn2_b64 exec, exec, s[10:11]
	s_cbranch_execnz .LBB79_173
; %bb.174:
	s_or_b64 exec, exec, s[10:11]
.LBB79_175:
	s_or_b64 exec, exec, s[8:9]
.LBB79_176:
	s_or_b64 exec, exec, s[6:7]
	v_mov_b32_e32 v21, 0
	ds_read_b32 v21, v21 offset:12
	s_waitcnt lgkmcnt(0)
	v_mul_f32_e32 v21, v70, v21
.LBB79_177:
	s_or_b64 exec, exec, s[4:5]
	v_cmp_lt_u32_e64 s[0:1], 2, v0
	ds_write_b32 v69, v20
	s_waitcnt lgkmcnt(0)
	; wave barrier
	s_waitcnt lgkmcnt(0)
	s_and_saveexec_b64 s[4:5], s[0:1]
	s_cbranch_execz .LBB79_193
; %bb.178:
	s_andn2_b64 vcc, exec, s[34:35]
	s_cbranch_vccnz .LBB79_180
; %bb.179:
	v_cmp_eq_u32_e32 vcc, 1, v0
	v_cndmask_b32_e32 v66, v18, v19, vcc
	v_cmp_eq_u32_e32 vcc, 2, v0
	v_cndmask_b32_e32 v66, v66, v20, vcc
	;; [unrolled: 2-line block ×11, first 2 shown]
	v_cmp_eq_u32_e32 vcc, 12, v0
	ds_read_b32 v67, v69
	v_cndmask_b32_e32 v66, v66, v30, vcc
	v_cmp_eq_u32_e32 vcc, 13, v0
	v_cndmask_b32_e32 v66, v66, v31, vcc
	v_cmp_eq_u32_e32 vcc, 14, v0
	;; [unrolled: 2-line block ×3, first 2 shown]
	v_cndmask_b32_e32 v66, v66, v33, vcc
	s_waitcnt lgkmcnt(0)
	v_mul_f32_e32 v70, v66, v67
	s_cbranch_execz .LBB79_181
	s_branch .LBB79_182
.LBB79_180:
                                        ; implicit-def: $vgpr70
.LBB79_181:
	ds_read_b32 v70, v69
.LBB79_182:
	s_and_saveexec_b64 s[6:7], s[2:3]
	s_cbranch_execz .LBB79_192
; %bb.183:
	v_add_u32_e32 v66, -4, v0
	v_add_u32_e32 v67, -3, v0
	v_cmp_lt_u32_e32 vcc, 6, v66
	v_mov_b32_e32 v66, 3
	s_and_saveexec_b64 s[2:3], vcc
	s_cbranch_execz .LBB79_187
; %bb.184:
	v_and_b32_e32 v66, -8, v67
	v_sub_u32_e32 v68, 0, v66
	s_mov_b64 s[8:9], 10
	s_movk_i32 s12, 0x4c
	s_mov_b64 s[10:11], 0
.LBB79_185:                             ; =>This Inner Loop Header: Depth=1
	s_add_i32 s13, s8, -7
	v_mov_b32_e32 v66, s12
	s_add_i32 s14, s8, -6
	s_set_gpr_idx_on s13, gpr_idx(SRC0)
	v_mov_b32_e32 v71, v18
	s_set_gpr_idx_off
	ds_read2_b32 v[72:73], v66 offset1:1
	s_add_i32 s15, s8, -5
	s_set_gpr_idx_on s14, gpr_idx(SRC0)
	v_mov_b32_e32 v78, v18
	s_set_gpr_idx_off
	s_add_i32 s16, s8, -4
	s_set_gpr_idx_on s15, gpr_idx(SRC0)
	v_mov_b32_e32 v79, v18
	s_set_gpr_idx_off
	ds_read2_b32 v[74:75], v66 offset0:2 offset1:3
	s_add_i32 s17, s8, -3
	s_set_gpr_idx_on s16, gpr_idx(SRC0)
	v_mov_b32_e32 v80, v18
	s_set_gpr_idx_off
	s_add_i32 s18, s8, -2
	s_set_gpr_idx_on s17, gpr_idx(SRC0)
	v_mov_b32_e32 v81, v18
	s_set_gpr_idx_off
	ds_read2_b32 v[76:77], v66 offset0:4 offset1:5
	s_add_i32 s19, s8, -1
	s_waitcnt lgkmcnt(2)
	v_fmac_f32_e32 v70, v71, v72
	s_set_gpr_idx_on s18, gpr_idx(SRC0)
	v_mov_b32_e32 v71, v18
	s_set_gpr_idx_off
	v_fmac_f32_e32 v70, v78, v73
	s_set_gpr_idx_on s19, gpr_idx(SRC0)
	v_mov_b32_e32 v78, v18
	s_set_gpr_idx_off
	ds_read2_b32 v[72:73], v66 offset0:6 offset1:7
	s_waitcnt lgkmcnt(2)
	v_fmac_f32_e32 v70, v79, v74
	s_set_gpr_idx_on s8, gpr_idx(SRC0)
	v_mov_b32_e32 v74, v18
	s_set_gpr_idx_off
	v_fmac_f32_e32 v70, v80, v75
	s_add_u32 s8, s8, 8
	s_waitcnt lgkmcnt(1)
	v_fmac_f32_e32 v70, v81, v76
	v_add_u32_e32 v66, s8, v68
	v_fmac_f32_e32 v70, v71, v77
	s_addc_u32 s9, s9, 0
	s_add_i32 s12, s12, 32
	s_add_i32 s13, s8, -7
	v_cmp_eq_u32_e32 vcc, 10, v66
	s_waitcnt lgkmcnt(0)
	v_fmac_f32_e32 v70, v78, v72
	v_mov_b32_e32 v66, s13
	s_or_b64 s[10:11], vcc, s[10:11]
	v_fmac_f32_e32 v70, v74, v73
	s_andn2_b64 exec, exec, s[10:11]
	s_cbranch_execnz .LBB79_185
; %bb.186:
	s_or_b64 exec, exec, s[10:11]
.LBB79_187:
	s_or_b64 exec, exec, s[2:3]
	v_and_b32_e32 v68, 7, v67
	v_cmp_ne_u32_e32 vcc, 0, v68
	s_and_saveexec_b64 s[8:9], vcc
	s_cbranch_execz .LBB79_191
; %bb.188:
	v_lshl_add_u32 v71, v66, 2, 64
	v_mov_b32_e32 v67, 0
	s_mov_b64 s[10:11], 0
.LBB79_189:                             ; =>This Inner Loop Header: Depth=1
	v_cmp_eq_u32_e32 vcc, 1, v66
	v_cndmask_b32_e32 v72, v18, v19, vcc
	v_add_u32_e32 v68, -1, v68
	v_cmp_eq_u32_e32 vcc, 2, v66
	v_cndmask_b32_e32 v72, v72, v20, vcc
	v_cmp_eq_u32_e32 vcc, 0, v68
	v_cmp_eq_u32_e64 s[2:3], 3, v66
	v_cndmask_b32_e64 v72, v72, v21, s[2:3]
	s_or_b64 s[10:11], vcc, s[10:11]
	v_cmp_eq_u32_e32 vcc, 4, v66
	v_cndmask_b32_e32 v72, v72, v22, vcc
	v_cmp_eq_u32_e32 vcc, 5, v66
	v_cndmask_b32_e32 v72, v72, v23, vcc
	;; [unrolled: 2-line block ×7, first 2 shown]
	v_cmp_eq_u32_e32 vcc, 11, v66
	ds_read_b32 v73, v71
	v_cndmask_b32_e32 v72, v72, v29, vcc
	v_cmp_eq_u32_e32 vcc, 12, v66
	v_cndmask_b32_e32 v72, v72, v30, vcc
	v_cmp_eq_u32_e32 vcc, 13, v66
	;; [unrolled: 2-line block ×4, first 2 shown]
	v_add_co_u32_e64 v66, s[2:3], 1, v66
	v_cndmask_b32_e32 v72, v72, v33, vcc
	v_add_u32_e32 v71, 4, v71
	v_addc_co_u32_e64 v67, s[2:3], 0, v67, s[2:3]
	s_waitcnt lgkmcnt(0)
	v_fmac_f32_e32 v70, v72, v73
	s_andn2_b64 exec, exec, s[10:11]
	s_cbranch_execnz .LBB79_189
; %bb.190:
	s_or_b64 exec, exec, s[10:11]
.LBB79_191:
	s_or_b64 exec, exec, s[8:9]
.LBB79_192:
	s_or_b64 exec, exec, s[6:7]
	v_mov_b32_e32 v20, 0
	ds_read_b32 v20, v20 offset:8
	s_waitcnt lgkmcnt(0)
	v_mul_f32_e32 v20, v70, v20
.LBB79_193:
	s_or_b64 exec, exec, s[4:5]
	v_cmp_lt_u32_e64 s[2:3], 1, v0
	ds_write_b32 v69, v19
	s_waitcnt lgkmcnt(0)
	; wave barrier
	s_waitcnt lgkmcnt(0)
	s_and_saveexec_b64 s[4:5], s[2:3]
	s_cbranch_execz .LBB79_209
; %bb.194:
	s_andn2_b64 vcc, exec, s[34:35]
	s_cbranch_vccnz .LBB79_196
; %bb.195:
	v_cmp_eq_u32_e32 vcc, 1, v0
	v_cndmask_b32_e32 v66, v18, v19, vcc
	v_cmp_eq_u32_e32 vcc, 2, v0
	v_cndmask_b32_e32 v66, v66, v20, vcc
	;; [unrolled: 2-line block ×11, first 2 shown]
	v_cmp_eq_u32_e32 vcc, 12, v0
	ds_read_b32 v67, v69
	v_cndmask_b32_e32 v66, v66, v30, vcc
	v_cmp_eq_u32_e32 vcc, 13, v0
	v_cndmask_b32_e32 v66, v66, v31, vcc
	v_cmp_eq_u32_e32 vcc, 14, v0
	;; [unrolled: 2-line block ×3, first 2 shown]
	v_cndmask_b32_e32 v66, v66, v33, vcc
	s_waitcnt lgkmcnt(0)
	v_mul_f32_e32 v70, v66, v67
	s_cbranch_execz .LBB79_197
	s_branch .LBB79_198
.LBB79_196:
                                        ; implicit-def: $vgpr70
.LBB79_197:
	ds_read_b32 v70, v69
.LBB79_198:
	s_and_saveexec_b64 s[6:7], s[0:1]
	s_cbranch_execz .LBB79_208
; %bb.199:
	v_add_u32_e32 v66, -3, v0
	v_add_u32_e32 v67, -2, v0
	v_cmp_lt_u32_e32 vcc, 6, v66
	v_mov_b32_e32 v66, 2
	s_and_saveexec_b64 s[0:1], vcc
	s_cbranch_execz .LBB79_203
; %bb.200:
	v_and_b32_e32 v66, -8, v67
	v_sub_u32_e32 v68, 0, v66
	s_mov_b64 s[8:9], 9
	s_movk_i32 s12, 0x48
	s_mov_b64 s[10:11], 0
.LBB79_201:                             ; =>This Inner Loop Header: Depth=1
	s_add_i32 s13, s8, -7
	v_mov_b32_e32 v66, s12
	s_add_i32 s14, s8, -6
	s_set_gpr_idx_on s13, gpr_idx(SRC0)
	v_mov_b32_e32 v71, v18
	s_set_gpr_idx_off
	ds_read2_b64 v[72:75], v66 offset1:1
	s_add_i32 s15, s8, -5
	s_set_gpr_idx_on s14, gpr_idx(SRC0)
	v_mov_b32_e32 v80, v18
	s_set_gpr_idx_off
	s_add_i32 s16, s8, -4
	s_set_gpr_idx_on s15, gpr_idx(SRC0)
	v_mov_b32_e32 v81, v18
	s_set_gpr_idx_off
	;; [unrolled: 4-line block ×4, first 2 shown]
	ds_read2_b64 v[76:79], v66 offset0:2 offset1:3
	s_add_i32 s19, s8, -1
	s_waitcnt lgkmcnt(1)
	v_fmac_f32_e32 v70, v71, v72
	s_set_gpr_idx_on s18, gpr_idx(SRC0)
	v_mov_b32_e32 v71, v18
	s_set_gpr_idx_off
	v_fmac_f32_e32 v70, v80, v73
	s_set_gpr_idx_on s19, gpr_idx(SRC0)
	v_mov_b32_e32 v72, v18
	s_set_gpr_idx_off
	;; [unrolled: 4-line block ×3, first 2 shown]
	v_fmac_f32_e32 v70, v82, v75
	s_add_u32 s8, s8, 8
	s_waitcnt lgkmcnt(0)
	v_fmac_f32_e32 v70, v83, v76
	v_add_u32_e32 v66, s8, v68
	v_fmac_f32_e32 v70, v71, v77
	s_addc_u32 s9, s9, 0
	s_add_i32 s12, s12, 32
	s_add_i32 s13, s8, -7
	v_cmp_eq_u32_e32 vcc, 9, v66
	v_fmac_f32_e32 v70, v72, v78
	v_mov_b32_e32 v66, s13
	s_or_b64 s[10:11], vcc, s[10:11]
	v_fmac_f32_e32 v70, v73, v79
	s_andn2_b64 exec, exec, s[10:11]
	s_cbranch_execnz .LBB79_201
; %bb.202:
	s_or_b64 exec, exec, s[10:11]
.LBB79_203:
	s_or_b64 exec, exec, s[0:1]
	v_and_b32_e32 v68, 7, v67
	v_cmp_ne_u32_e32 vcc, 0, v68
	s_and_saveexec_b64 s[8:9], vcc
	s_cbranch_execz .LBB79_207
; %bb.204:
	v_lshl_add_u32 v71, v66, 2, 64
	v_mov_b32_e32 v67, 0
	s_mov_b64 s[10:11], 0
.LBB79_205:                             ; =>This Inner Loop Header: Depth=1
	v_cmp_eq_u32_e32 vcc, 1, v66
	v_cndmask_b32_e32 v72, v18, v19, vcc
	v_add_u32_e32 v68, -1, v68
	v_cmp_eq_u32_e32 vcc, 2, v66
	v_cndmask_b32_e32 v72, v72, v20, vcc
	v_cmp_eq_u32_e32 vcc, 0, v68
	v_cmp_eq_u32_e64 s[0:1], 3, v66
	v_cndmask_b32_e64 v72, v72, v21, s[0:1]
	s_or_b64 s[10:11], vcc, s[10:11]
	v_cmp_eq_u32_e32 vcc, 4, v66
	v_cndmask_b32_e32 v72, v72, v22, vcc
	v_cmp_eq_u32_e32 vcc, 5, v66
	v_cndmask_b32_e32 v72, v72, v23, vcc
	;; [unrolled: 2-line block ×7, first 2 shown]
	v_cmp_eq_u32_e32 vcc, 11, v66
	ds_read_b32 v73, v71
	v_cndmask_b32_e32 v72, v72, v29, vcc
	v_cmp_eq_u32_e32 vcc, 12, v66
	v_cndmask_b32_e32 v72, v72, v30, vcc
	v_cmp_eq_u32_e32 vcc, 13, v66
	;; [unrolled: 2-line block ×4, first 2 shown]
	v_add_co_u32_e64 v66, s[0:1], 1, v66
	v_cndmask_b32_e32 v72, v72, v33, vcc
	v_add_u32_e32 v71, 4, v71
	v_addc_co_u32_e64 v67, s[0:1], 0, v67, s[0:1]
	s_waitcnt lgkmcnt(0)
	v_fmac_f32_e32 v70, v72, v73
	s_andn2_b64 exec, exec, s[10:11]
	s_cbranch_execnz .LBB79_205
; %bb.206:
	s_or_b64 exec, exec, s[10:11]
.LBB79_207:
	s_or_b64 exec, exec, s[8:9]
.LBB79_208:
	s_or_b64 exec, exec, s[6:7]
	v_mov_b32_e32 v19, 0
	ds_read_b32 v19, v19 offset:4
	s_waitcnt lgkmcnt(0)
	v_mul_f32_e32 v19, v70, v19
.LBB79_209:
	s_or_b64 exec, exec, s[4:5]
	v_cmp_ne_u32_e32 vcc, 0, v0
	ds_write_b32 v69, v18
	s_waitcnt lgkmcnt(0)
	; wave barrier
	s_waitcnt lgkmcnt(0)
	s_and_saveexec_b64 s[4:5], vcc
	s_cbranch_execz .LBB79_225
; %bb.210:
	s_andn2_b64 vcc, exec, s[34:35]
	s_cbranch_vccnz .LBB79_212
; %bb.211:
	v_cmp_eq_u32_e32 vcc, 1, v0
	v_cndmask_b32_e32 v66, v18, v19, vcc
	v_cmp_eq_u32_e32 vcc, 2, v0
	v_cndmask_b32_e32 v66, v66, v20, vcc
	;; [unrolled: 2-line block ×11, first 2 shown]
	v_cmp_eq_u32_e32 vcc, 12, v0
	ds_read_b32 v67, v69
	v_cndmask_b32_e32 v66, v66, v30, vcc
	v_cmp_eq_u32_e32 vcc, 13, v0
	v_cndmask_b32_e32 v66, v66, v31, vcc
	v_cmp_eq_u32_e32 vcc, 14, v0
	;; [unrolled: 2-line block ×3, first 2 shown]
	v_cndmask_b32_e32 v66, v66, v33, vcc
	s_waitcnt lgkmcnt(0)
	v_mul_f32_e32 v70, v66, v67
	s_cbranch_execz .LBB79_213
	s_branch .LBB79_214
.LBB79_212:
                                        ; implicit-def: $vgpr70
.LBB79_213:
	ds_read_b32 v70, v69
.LBB79_214:
	s_and_saveexec_b64 s[6:7], s[2:3]
	s_cbranch_execz .LBB79_224
; %bb.215:
	v_add_u32_e32 v66, -2, v0
	v_add_u32_e32 v67, -1, v0
	v_cmp_lt_u32_e32 vcc, 6, v66
	v_mov_b32_e32 v66, 1
	s_and_saveexec_b64 s[0:1], vcc
	s_cbranch_execz .LBB79_219
; %bb.216:
	v_and_b32_e32 v66, -8, v67
	v_sub_u32_e32 v68, 0, v66
	s_mov_b64 s[2:3], 8
	s_movk_i32 s10, 0x44
	s_mov_b64 s[8:9], 0
.LBB79_217:                             ; =>This Inner Loop Header: Depth=1
	s_add_i32 s11, s2, -7
	v_mov_b32_e32 v66, s10
	s_add_i32 s12, s2, -6
	s_set_gpr_idx_on s11, gpr_idx(SRC0)
	v_mov_b32_e32 v71, v18
	s_set_gpr_idx_off
	ds_read2_b32 v[72:73], v66 offset1:1
	s_add_i32 s13, s2, -5
	s_set_gpr_idx_on s12, gpr_idx(SRC0)
	v_mov_b32_e32 v78, v18
	s_set_gpr_idx_off
	s_add_i32 s14, s2, -4
	s_set_gpr_idx_on s13, gpr_idx(SRC0)
	v_mov_b32_e32 v79, v18
	s_set_gpr_idx_off
	ds_read2_b32 v[74:75], v66 offset0:2 offset1:3
	s_add_i32 s15, s2, -3
	s_set_gpr_idx_on s14, gpr_idx(SRC0)
	v_mov_b32_e32 v80, v18
	s_set_gpr_idx_off
	s_add_i32 s16, s2, -2
	s_set_gpr_idx_on s15, gpr_idx(SRC0)
	v_mov_b32_e32 v81, v18
	s_set_gpr_idx_off
	ds_read2_b32 v[76:77], v66 offset0:4 offset1:5
	s_add_i32 s17, s2, -1
	s_waitcnt lgkmcnt(2)
	v_fmac_f32_e32 v70, v71, v72
	s_set_gpr_idx_on s16, gpr_idx(SRC0)
	v_mov_b32_e32 v71, v18
	s_set_gpr_idx_off
	v_fmac_f32_e32 v70, v78, v73
	s_set_gpr_idx_on s17, gpr_idx(SRC0)
	v_mov_b32_e32 v78, v18
	s_set_gpr_idx_off
	ds_read2_b32 v[72:73], v66 offset0:6 offset1:7
	s_waitcnt lgkmcnt(2)
	v_fmac_f32_e32 v70, v79, v74
	s_set_gpr_idx_on s2, gpr_idx(SRC0)
	v_mov_b32_e32 v74, v18
	s_set_gpr_idx_off
	v_fmac_f32_e32 v70, v80, v75
	s_add_u32 s2, s2, 8
	s_waitcnt lgkmcnt(1)
	v_fmac_f32_e32 v70, v81, v76
	v_add_u32_e32 v66, s2, v68
	v_fmac_f32_e32 v70, v71, v77
	s_addc_u32 s3, s3, 0
	s_add_i32 s10, s10, 32
	s_add_i32 s11, s2, -7
	v_cmp_eq_u32_e32 vcc, 8, v66
	s_waitcnt lgkmcnt(0)
	v_fmac_f32_e32 v70, v78, v72
	v_mov_b32_e32 v66, s11
	s_or_b64 s[8:9], vcc, s[8:9]
	v_fmac_f32_e32 v70, v74, v73
	s_andn2_b64 exec, exec, s[8:9]
	s_cbranch_execnz .LBB79_217
; %bb.218:
	s_or_b64 exec, exec, s[8:9]
.LBB79_219:
	s_or_b64 exec, exec, s[0:1]
	v_and_b32_e32 v68, 7, v67
	v_cmp_ne_u32_e32 vcc, 0, v68
	s_and_saveexec_b64 s[2:3], vcc
	s_cbranch_execz .LBB79_223
; %bb.220:
	v_lshl_add_u32 v71, v66, 2, 64
	v_mov_b32_e32 v67, 0
	s_mov_b64 s[8:9], 0
.LBB79_221:                             ; =>This Inner Loop Header: Depth=1
	v_cmp_eq_u32_e32 vcc, 1, v66
	v_cndmask_b32_e32 v72, v18, v19, vcc
	v_add_u32_e32 v68, -1, v68
	v_cmp_eq_u32_e32 vcc, 2, v66
	v_cndmask_b32_e32 v72, v72, v20, vcc
	v_cmp_eq_u32_e32 vcc, 0, v68
	v_cmp_eq_u32_e64 s[0:1], 3, v66
	v_cndmask_b32_e64 v72, v72, v21, s[0:1]
	s_or_b64 s[8:9], vcc, s[8:9]
	v_cmp_eq_u32_e32 vcc, 4, v66
	v_cndmask_b32_e32 v72, v72, v22, vcc
	v_cmp_eq_u32_e32 vcc, 5, v66
	v_cndmask_b32_e32 v72, v72, v23, vcc
	;; [unrolled: 2-line block ×7, first 2 shown]
	v_cmp_eq_u32_e32 vcc, 11, v66
	ds_read_b32 v73, v71
	v_cndmask_b32_e32 v72, v72, v29, vcc
	v_cmp_eq_u32_e32 vcc, 12, v66
	v_cndmask_b32_e32 v72, v72, v30, vcc
	v_cmp_eq_u32_e32 vcc, 13, v66
	;; [unrolled: 2-line block ×4, first 2 shown]
	v_add_co_u32_e64 v66, s[0:1], 1, v66
	v_cndmask_b32_e32 v72, v72, v33, vcc
	v_add_u32_e32 v71, 4, v71
	v_addc_co_u32_e64 v67, s[0:1], 0, v67, s[0:1]
	s_waitcnt lgkmcnt(0)
	v_fmac_f32_e32 v70, v72, v73
	s_andn2_b64 exec, exec, s[8:9]
	s_cbranch_execnz .LBB79_221
; %bb.222:
	s_or_b64 exec, exec, s[8:9]
.LBB79_223:
	s_or_b64 exec, exec, s[2:3]
.LBB79_224:
	s_or_b64 exec, exec, s[6:7]
	v_mov_b32_e32 v18, 0
	ds_read_b32 v18, v18
	s_waitcnt lgkmcnt(0)
	v_mul_f32_e32 v18, v70, v18
.LBB79_225:
	s_or_b64 exec, exec, s[4:5]
	s_branch .LBB79_381
.LBB79_226:
	v_cmp_eq_u32_e64 s[2:3], 0, v0
	s_waitcnt vmcnt(15)
	ds_write_b32 v69, v3
	s_waitcnt lgkmcnt(0)
	; wave barrier
	s_waitcnt lgkmcnt(0)
	s_and_saveexec_b64 s[0:1], s[2:3]
	s_cbranch_execz .LBB79_232
; %bb.227:
	s_and_b64 vcc, exec, s[34:35]
	s_cbranch_vccz .LBB79_229
; %bb.228:
	v_cmp_eq_u32_e32 vcc, 1, v0
	s_waitcnt vmcnt(1)
	v_cndmask_b32_e32 v3, v2, v3, vcc
	v_cmp_eq_u32_e32 vcc, 2, v0
	v_cndmask_b32_e32 v3, v3, v4, vcc
	v_cmp_eq_u32_e32 vcc, 3, v0
	v_cndmask_b32_e32 v3, v3, v5, vcc
	v_cmp_eq_u32_e32 vcc, 4, v0
	v_cndmask_b32_e32 v3, v3, v6, vcc
	v_cmp_eq_u32_e32 vcc, 5, v0
	v_cndmask_b32_e32 v3, v3, v7, vcc
	v_cmp_eq_u32_e32 vcc, 6, v0
	v_cndmask_b32_e32 v3, v3, v8, vcc
	v_cmp_eq_u32_e32 vcc, 7, v0
	v_cndmask_b32_e32 v3, v3, v9, vcc
	v_cmp_eq_u32_e32 vcc, 8, v0
	v_cndmask_b32_e32 v3, v3, v10, vcc
	v_cmp_eq_u32_e32 vcc, 9, v0
	v_cndmask_b32_e32 v3, v3, v11, vcc
	v_cmp_eq_u32_e32 vcc, 10, v0
	v_cndmask_b32_e32 v3, v3, v12, vcc
	v_cmp_eq_u32_e32 vcc, 11, v0
	v_cndmask_b32_e32 v3, v3, v13, vcc
	v_cmp_eq_u32_e32 vcc, 12, v0
	ds_read_b32 v18, v69
	v_cndmask_b32_e32 v3, v3, v14, vcc
	v_cmp_eq_u32_e32 vcc, 13, v0
	v_cndmask_b32_e32 v3, v3, v15, vcc
	v_cmp_eq_u32_e32 vcc, 14, v0
	;; [unrolled: 2-line block ×3, first 2 shown]
	s_waitcnt vmcnt(0)
	v_cndmask_b32_e32 v3, v3, v17, vcc
	s_waitcnt lgkmcnt(0)
	v_mul_f32_e32 v3, v3, v18
	s_cbranch_execz .LBB79_230
	s_branch .LBB79_231
.LBB79_229:
                                        ; implicit-def: $vgpr3
.LBB79_230:
	ds_read_b32 v3, v69
.LBB79_231:
	v_mov_b32_e32 v18, 0
	ds_read_b32 v18, v18 offset:4
	s_waitcnt lgkmcnt(0)
	v_mul_f32_e32 v3, v3, v18
.LBB79_232:
	s_or_b64 exec, exec, s[0:1]
	v_cndmask_b32_e64 v18, 0, 1, s[34:35]
	v_add_u32_e32 v20, 1, v0
	v_cmp_gt_u32_e32 vcc, 2, v0
	v_cmp_ne_u32_e64 s[0:1], 1, v18
	s_waitcnt vmcnt(14)
	ds_write_b32 v69, v4
	s_waitcnt lgkmcnt(0)
	; wave barrier
	s_waitcnt lgkmcnt(0)
	s_and_saveexec_b64 s[4:5], vcc
	s_cbranch_execz .LBB79_240
; %bb.233:
	s_and_b64 vcc, exec, s[0:1]
	s_cbranch_vccnz .LBB79_235
; %bb.234:
	v_cmp_eq_u32_e32 vcc, 1, v0
	s_waitcnt vmcnt(1)
	v_cndmask_b32_e32 v18, v2, v3, vcc
	v_cmp_eq_u32_e32 vcc, 2, v0
	v_cndmask_b32_e32 v18, v18, v4, vcc
	v_cmp_eq_u32_e32 vcc, 3, v0
	;; [unrolled: 2-line block ×11, first 2 shown]
	ds_read_b32 v19, v69
	v_cndmask_b32_e32 v18, v18, v14, vcc
	v_cmp_eq_u32_e32 vcc, 13, v0
	v_cndmask_b32_e32 v18, v18, v15, vcc
	v_cmp_eq_u32_e32 vcc, 14, v0
	v_cndmask_b32_e32 v18, v18, v16, vcc
	v_cmp_eq_u32_e32 vcc, 15, v0
	s_waitcnt vmcnt(0)
	v_cndmask_b32_e32 v18, v18, v17, vcc
	s_waitcnt lgkmcnt(0)
	v_mul_f32_e32 v18, v18, v19
	s_cbranch_execz .LBB79_236
	s_branch .LBB79_237
.LBB79_235:
                                        ; implicit-def: $vgpr18
.LBB79_236:
	ds_read_b32 v18, v69
.LBB79_237:
	s_and_saveexec_b64 s[6:7], s[2:3]
	s_cbranch_execz .LBB79_239
; %bb.238:
	v_cmp_eq_u32_e32 vcc, 1, v20
	s_waitcnt vmcnt(1)
	v_cndmask_b32_e32 v19, v2, v3, vcc
	v_cmp_eq_u32_e32 vcc, 2, v20
	v_cndmask_b32_e32 v4, v19, v4, vcc
	v_cmp_eq_u32_e32 vcc, 3, v20
	;; [unrolled: 2-line block ×11, first 2 shown]
	ds_read_b32 v19, v69 offset:4
	v_cndmask_b32_e32 v4, v4, v14, vcc
	v_cmp_eq_u32_e32 vcc, 13, v20
	v_cndmask_b32_e32 v4, v4, v15, vcc
	v_cmp_eq_u32_e32 vcc, 14, v20
	v_cndmask_b32_e32 v4, v4, v16, vcc
	v_cmp_eq_u32_e32 vcc, 15, v20
	s_waitcnt vmcnt(0)
	v_cndmask_b32_e32 v4, v4, v17, vcc
	s_waitcnt lgkmcnt(0)
	v_fmac_f32_e32 v18, v4, v19
.LBB79_239:
	s_or_b64 exec, exec, s[6:7]
	v_mov_b32_e32 v4, 0
	ds_read_b32 v4, v4 offset:8
	s_waitcnt lgkmcnt(0)
	v_mul_f32_e32 v4, v18, v4
.LBB79_240:
	s_or_b64 exec, exec, s[4:5]
	v_cmp_gt_u32_e64 s[4:5], 3, v0
	s_waitcnt vmcnt(13)
	ds_write_b32 v69, v5
	s_waitcnt lgkmcnt(0)
	; wave barrier
	s_waitcnt lgkmcnt(0)
	s_and_saveexec_b64 s[6:7], s[4:5]
	s_cbranch_execz .LBB79_248
; %bb.241:
	s_and_b64 vcc, exec, s[0:1]
	s_cbranch_vccnz .LBB79_243
; %bb.242:
	v_cmp_eq_u32_e32 vcc, 1, v0
	s_waitcnt vmcnt(1)
	v_cndmask_b32_e32 v18, v2, v3, vcc
	v_cmp_eq_u32_e32 vcc, 2, v0
	v_cndmask_b32_e32 v18, v18, v4, vcc
	v_cmp_eq_u32_e32 vcc, 3, v0
	;; [unrolled: 2-line block ×11, first 2 shown]
	ds_read_b32 v19, v69
	v_cndmask_b32_e32 v18, v18, v14, vcc
	v_cmp_eq_u32_e32 vcc, 13, v0
	v_cndmask_b32_e32 v18, v18, v15, vcc
	v_cmp_eq_u32_e32 vcc, 14, v0
	;; [unrolled: 2-line block ×3, first 2 shown]
	s_waitcnt vmcnt(0)
	v_cndmask_b32_e32 v18, v18, v17, vcc
	s_waitcnt lgkmcnt(0)
	v_mul_f32_e32 v18, v18, v19
	s_cbranch_execz .LBB79_244
	s_branch .LBB79_245
.LBB79_243:
                                        ; implicit-def: $vgpr18
.LBB79_244:
	ds_read_b32 v18, v69
.LBB79_245:
	v_cmp_ne_u32_e32 vcc, 2, v0
	s_and_saveexec_b64 s[8:9], vcc
	s_cbranch_execz .LBB79_247
; %bb.246:
	v_cmp_eq_u32_e32 vcc, 1, v20
	s_waitcnt vmcnt(1)
	v_cndmask_b32_e32 v19, v2, v3, vcc
	v_cmp_eq_u32_e32 vcc, 2, v20
	v_cndmask_b32_e32 v19, v19, v4, vcc
	v_cmp_eq_u32_e32 vcc, 3, v20
	;; [unrolled: 2-line block ×11, first 2 shown]
	v_mov_b32_e32 v19, 0
	v_cndmask_b32_e32 v5, v5, v14, vcc
	v_cmp_eq_u32_e32 vcc, 13, v20
	ds_read_b32 v21, v69 offset:4
	ds_read_b32 v19, v19 offset:72
	v_cndmask_b32_e32 v5, v5, v15, vcc
	v_cmp_eq_u32_e32 vcc, 14, v20
	v_cndmask_b32_e32 v5, v5, v16, vcc
	v_cmp_eq_u32_e32 vcc, 15, v20
	s_waitcnt vmcnt(0)
	v_cndmask_b32_e32 v5, v5, v17, vcc
	s_waitcnt lgkmcnt(1)
	v_fmac_f32_e32 v18, v5, v21
	s_waitcnt lgkmcnt(0)
	v_fma_f32 v5, v4, v19, v18
	v_cndmask_b32_e64 v18, v18, v5, s[2:3]
.LBB79_247:
	s_or_b64 exec, exec, s[8:9]
	v_mov_b32_e32 v5, 0
	ds_read_b32 v5, v5 offset:12
	s_waitcnt lgkmcnt(0)
	v_mul_f32_e32 v5, v18, v5
.LBB79_248:
	s_or_b64 exec, exec, s[6:7]
	v_cmp_gt_u32_e32 vcc, 4, v0
	s_waitcnt vmcnt(12)
	ds_write_b32 v69, v6
	s_waitcnt lgkmcnt(0)
	; wave barrier
	s_waitcnt lgkmcnt(0)
	s_and_saveexec_b64 s[8:9], vcc
	s_cbranch_execz .LBB79_258
; %bb.249:
	s_and_b64 vcc, exec, s[0:1]
	s_cbranch_vccnz .LBB79_251
; %bb.250:
	v_cmp_eq_u32_e32 vcc, 1, v0
	s_waitcnt vmcnt(1)
	v_cndmask_b32_e32 v18, v2, v3, vcc
	v_cmp_eq_u32_e32 vcc, 2, v0
	v_cndmask_b32_e32 v18, v18, v4, vcc
	v_cmp_eq_u32_e32 vcc, 3, v0
	;; [unrolled: 2-line block ×11, first 2 shown]
	ds_read_b32 v19, v69
	v_cndmask_b32_e32 v18, v18, v14, vcc
	v_cmp_eq_u32_e32 vcc, 13, v0
	v_cndmask_b32_e32 v18, v18, v15, vcc
	v_cmp_eq_u32_e32 vcc, 14, v0
	;; [unrolled: 2-line block ×3, first 2 shown]
	s_waitcnt vmcnt(0)
	v_cndmask_b32_e32 v18, v18, v17, vcc
	s_waitcnt lgkmcnt(0)
	v_mul_f32_e32 v21, v18, v19
	s_cbranch_execz .LBB79_252
	s_branch .LBB79_253
.LBB79_251:
                                        ; implicit-def: $vgpr21
.LBB79_252:
	ds_read_b32 v21, v69
.LBB79_253:
	v_cmp_ne_u32_e32 vcc, 3, v0
	s_and_saveexec_b64 s[10:11], vcc
	s_cbranch_execz .LBB79_257
; %bb.254:
	v_mov_b32_e32 v18, 0x44
	v_lshl_add_u32 v22, v0, 2, v18
	s_mov_b64 s[12:13], 0
	v_pk_mov_b32 v[18:19], v[0:1], v[0:1] op_sel:[0,1]
.LBB79_255:                             ; =>This Inner Loop Header: Depth=1
	v_add_co_u32_e32 v18, vcc, 1, v18
	v_addc_co_u32_e32 v19, vcc, 0, v19, vcc
	v_cmp_eq_u32_e32 vcc, 1, v18
	s_waitcnt vmcnt(1)
	v_cndmask_b32_e32 v24, v2, v3, vcc
	v_cmp_lt_u32_e32 vcc, 2, v18
	v_cmp_eq_u32_e64 s[6:7], 2, v18
	v_cndmask_b32_e64 v24, v24, v4, s[6:7]
	s_or_b64 s[12:13], vcc, s[12:13]
	v_cmp_eq_u32_e32 vcc, 3, v18
	v_cndmask_b32_e32 v24, v24, v5, vcc
	v_cmp_eq_u32_e32 vcc, 4, v18
	v_cndmask_b32_e32 v24, v24, v6, vcc
	;; [unrolled: 2-line block ×8, first 2 shown]
	v_cmp_eq_u32_e32 vcc, 11, v18
	ds_read_b32 v23, v22
	v_cndmask_b32_e32 v24, v24, v13, vcc
	v_cmp_eq_u32_e32 vcc, 12, v18
	v_cndmask_b32_e32 v24, v24, v14, vcc
	v_cmp_eq_u32_e32 vcc, 13, v18
	;; [unrolled: 2-line block ×4, first 2 shown]
	s_waitcnt vmcnt(0)
	v_cndmask_b32_e32 v24, v24, v17, vcc
	v_add_u32_e32 v22, 4, v22
	s_waitcnt lgkmcnt(0)
	v_fmac_f32_e32 v21, v24, v23
	s_andn2_b64 exec, exec, s[12:13]
	s_cbranch_execnz .LBB79_255
; %bb.256:
	s_or_b64 exec, exec, s[12:13]
.LBB79_257:
	s_or_b64 exec, exec, s[10:11]
	v_mov_b32_e32 v6, 0
	ds_read_b32 v6, v6 offset:16
	s_waitcnt lgkmcnt(0)
	v_mul_f32_e32 v6, v21, v6
.LBB79_258:
	s_or_b64 exec, exec, s[8:9]
	v_cmp_gt_u32_e64 s[6:7], 5, v0
	s_waitcnt vmcnt(11)
	ds_write_b32 v69, v7
	s_waitcnt lgkmcnt(0)
	; wave barrier
	s_waitcnt lgkmcnt(0)
	s_and_saveexec_b64 s[10:11], s[6:7]
	s_cbranch_execz .LBB79_268
; %bb.259:
	s_and_b64 vcc, exec, s[0:1]
	s_cbranch_vccnz .LBB79_261
; %bb.260:
	v_cmp_eq_u32_e32 vcc, 1, v0
	s_waitcnt vmcnt(1)
	v_cndmask_b32_e32 v18, v2, v3, vcc
	v_cmp_eq_u32_e32 vcc, 2, v0
	v_cndmask_b32_e32 v18, v18, v4, vcc
	v_cmp_eq_u32_e32 vcc, 3, v0
	;; [unrolled: 2-line block ×11, first 2 shown]
	ds_read_b32 v19, v69
	v_cndmask_b32_e32 v18, v18, v14, vcc
	v_cmp_eq_u32_e32 vcc, 13, v0
	v_cndmask_b32_e32 v18, v18, v15, vcc
	v_cmp_eq_u32_e32 vcc, 14, v0
	;; [unrolled: 2-line block ×3, first 2 shown]
	s_waitcnt vmcnt(0)
	v_cndmask_b32_e32 v18, v18, v17, vcc
	s_waitcnt lgkmcnt(0)
	v_mul_f32_e32 v21, v18, v19
	s_cbranch_execz .LBB79_262
	s_branch .LBB79_263
.LBB79_261:
                                        ; implicit-def: $vgpr21
.LBB79_262:
	ds_read_b32 v21, v69
.LBB79_263:
	v_cmp_ne_u32_e32 vcc, 4, v0
	s_and_saveexec_b64 s[12:13], vcc
	s_cbranch_execz .LBB79_267
; %bb.264:
	v_mov_b32_e32 v18, 0x44
	v_lshl_add_u32 v22, v0, 2, v18
	s_mov_b64 s[14:15], 0
	v_pk_mov_b32 v[18:19], v[0:1], v[0:1] op_sel:[0,1]
.LBB79_265:                             ; =>This Inner Loop Header: Depth=1
	v_add_co_u32_e32 v18, vcc, 1, v18
	v_addc_co_u32_e32 v19, vcc, 0, v19, vcc
	v_cmp_eq_u32_e32 vcc, 1, v18
	s_waitcnt vmcnt(1)
	v_cndmask_b32_e32 v24, v2, v3, vcc
	v_cmp_lt_u32_e32 vcc, 3, v18
	v_cmp_eq_u32_e64 s[8:9], 2, v18
	v_cndmask_b32_e64 v24, v24, v4, s[8:9]
	s_or_b64 s[14:15], vcc, s[14:15]
	v_cmp_eq_u32_e32 vcc, 3, v18
	v_cndmask_b32_e32 v24, v24, v5, vcc
	v_cmp_eq_u32_e32 vcc, 4, v18
	v_cndmask_b32_e32 v24, v24, v6, vcc
	;; [unrolled: 2-line block ×8, first 2 shown]
	v_cmp_eq_u32_e32 vcc, 11, v18
	ds_read_b32 v23, v22
	v_cndmask_b32_e32 v24, v24, v13, vcc
	v_cmp_eq_u32_e32 vcc, 12, v18
	v_cndmask_b32_e32 v24, v24, v14, vcc
	v_cmp_eq_u32_e32 vcc, 13, v18
	;; [unrolled: 2-line block ×4, first 2 shown]
	s_waitcnt vmcnt(0)
	v_cndmask_b32_e32 v24, v24, v17, vcc
	v_add_u32_e32 v22, 4, v22
	s_waitcnt lgkmcnt(0)
	v_fmac_f32_e32 v21, v24, v23
	s_andn2_b64 exec, exec, s[14:15]
	s_cbranch_execnz .LBB79_265
; %bb.266:
	s_or_b64 exec, exec, s[14:15]
.LBB79_267:
	s_or_b64 exec, exec, s[12:13]
	v_mov_b32_e32 v7, 0
	ds_read_b32 v7, v7 offset:20
	s_waitcnt lgkmcnt(0)
	v_mul_f32_e32 v7, v21, v7
.LBB79_268:
	s_or_b64 exec, exec, s[10:11]
	v_cmp_gt_u32_e32 vcc, 6, v0
	s_waitcnt vmcnt(10)
	ds_write_b32 v69, v8
	s_waitcnt lgkmcnt(0)
	; wave barrier
	s_waitcnt lgkmcnt(0)
	s_and_saveexec_b64 s[10:11], vcc
	s_cbranch_execz .LBB79_278
; %bb.269:
	s_and_b64 vcc, exec, s[0:1]
	s_cbranch_vccnz .LBB79_271
; %bb.270:
	v_cmp_eq_u32_e32 vcc, 1, v0
	s_waitcnt vmcnt(1)
	v_cndmask_b32_e32 v18, v2, v3, vcc
	v_cmp_eq_u32_e32 vcc, 2, v0
	v_cndmask_b32_e32 v18, v18, v4, vcc
	v_cmp_eq_u32_e32 vcc, 3, v0
	;; [unrolled: 2-line block ×11, first 2 shown]
	ds_read_b32 v19, v69
	v_cndmask_b32_e32 v18, v18, v14, vcc
	v_cmp_eq_u32_e32 vcc, 13, v0
	v_cndmask_b32_e32 v18, v18, v15, vcc
	v_cmp_eq_u32_e32 vcc, 14, v0
	;; [unrolled: 2-line block ×3, first 2 shown]
	s_waitcnt vmcnt(0)
	v_cndmask_b32_e32 v18, v18, v17, vcc
	s_waitcnt lgkmcnt(0)
	v_mul_f32_e32 v21, v18, v19
	s_cbranch_execz .LBB79_272
	s_branch .LBB79_273
.LBB79_271:
                                        ; implicit-def: $vgpr21
.LBB79_272:
	ds_read_b32 v21, v69
.LBB79_273:
	v_cmp_ne_u32_e32 vcc, 5, v0
	s_and_saveexec_b64 s[12:13], vcc
	s_cbranch_execz .LBB79_277
; %bb.274:
	v_mov_b32_e32 v18, 0x44
	v_lshl_add_u32 v22, v0, 2, v18
	s_mov_b64 s[14:15], 0
	v_pk_mov_b32 v[18:19], v[0:1], v[0:1] op_sel:[0,1]
.LBB79_275:                             ; =>This Inner Loop Header: Depth=1
	v_add_co_u32_e32 v18, vcc, 1, v18
	v_addc_co_u32_e32 v19, vcc, 0, v19, vcc
	v_cmp_eq_u32_e32 vcc, 1, v18
	s_waitcnt vmcnt(1)
	v_cndmask_b32_e32 v24, v2, v3, vcc
	v_cmp_lt_u32_e32 vcc, 4, v18
	v_cmp_eq_u32_e64 s[8:9], 2, v18
	v_cndmask_b32_e64 v24, v24, v4, s[8:9]
	s_or_b64 s[14:15], vcc, s[14:15]
	v_cmp_eq_u32_e32 vcc, 3, v18
	v_cndmask_b32_e32 v24, v24, v5, vcc
	v_cmp_eq_u32_e32 vcc, 4, v18
	v_cndmask_b32_e32 v24, v24, v6, vcc
	;; [unrolled: 2-line block ×8, first 2 shown]
	v_cmp_eq_u32_e32 vcc, 11, v18
	ds_read_b32 v23, v22
	v_cndmask_b32_e32 v24, v24, v13, vcc
	v_cmp_eq_u32_e32 vcc, 12, v18
	v_cndmask_b32_e32 v24, v24, v14, vcc
	v_cmp_eq_u32_e32 vcc, 13, v18
	;; [unrolled: 2-line block ×4, first 2 shown]
	s_waitcnt vmcnt(0)
	v_cndmask_b32_e32 v24, v24, v17, vcc
	v_add_u32_e32 v22, 4, v22
	s_waitcnt lgkmcnt(0)
	v_fmac_f32_e32 v21, v24, v23
	s_andn2_b64 exec, exec, s[14:15]
	s_cbranch_execnz .LBB79_275
; %bb.276:
	s_or_b64 exec, exec, s[14:15]
.LBB79_277:
	s_or_b64 exec, exec, s[12:13]
	v_mov_b32_e32 v8, 0
	ds_read_b32 v8, v8 offset:24
	s_waitcnt lgkmcnt(0)
	v_mul_f32_e32 v8, v21, v8
.LBB79_278:
	s_or_b64 exec, exec, s[10:11]
	v_cmp_gt_u32_e64 s[8:9], 7, v0
	s_waitcnt vmcnt(9)
	ds_write_b32 v69, v9
	s_waitcnt lgkmcnt(0)
	; wave barrier
	s_waitcnt lgkmcnt(0)
	s_and_saveexec_b64 s[12:13], s[8:9]
	s_cbranch_execz .LBB79_288
; %bb.279:
	s_and_b64 vcc, exec, s[0:1]
	s_cbranch_vccnz .LBB79_281
; %bb.280:
	v_cmp_eq_u32_e32 vcc, 1, v0
	s_waitcnt vmcnt(1)
	v_cndmask_b32_e32 v18, v2, v3, vcc
	v_cmp_eq_u32_e32 vcc, 2, v0
	v_cndmask_b32_e32 v18, v18, v4, vcc
	v_cmp_eq_u32_e32 vcc, 3, v0
	;; [unrolled: 2-line block ×11, first 2 shown]
	ds_read_b32 v19, v69
	v_cndmask_b32_e32 v18, v18, v14, vcc
	v_cmp_eq_u32_e32 vcc, 13, v0
	v_cndmask_b32_e32 v18, v18, v15, vcc
	v_cmp_eq_u32_e32 vcc, 14, v0
	;; [unrolled: 2-line block ×3, first 2 shown]
	s_waitcnt vmcnt(0)
	v_cndmask_b32_e32 v18, v18, v17, vcc
	s_waitcnt lgkmcnt(0)
	v_mul_f32_e32 v21, v18, v19
	s_cbranch_execz .LBB79_282
	s_branch .LBB79_283
.LBB79_281:
                                        ; implicit-def: $vgpr21
.LBB79_282:
	ds_read_b32 v21, v69
.LBB79_283:
	v_cmp_ne_u32_e32 vcc, 6, v0
	s_and_saveexec_b64 s[14:15], vcc
	s_cbranch_execz .LBB79_287
; %bb.284:
	v_mov_b32_e32 v18, 0x44
	v_lshl_add_u32 v22, v0, 2, v18
	s_mov_b64 s[16:17], 0
	v_pk_mov_b32 v[18:19], v[0:1], v[0:1] op_sel:[0,1]
.LBB79_285:                             ; =>This Inner Loop Header: Depth=1
	v_add_co_u32_e32 v18, vcc, 1, v18
	v_addc_co_u32_e32 v19, vcc, 0, v19, vcc
	v_cmp_eq_u32_e32 vcc, 1, v18
	s_waitcnt vmcnt(1)
	v_cndmask_b32_e32 v24, v2, v3, vcc
	v_cmp_lt_u32_e32 vcc, 5, v18
	v_cmp_eq_u32_e64 s[10:11], 2, v18
	v_cndmask_b32_e64 v24, v24, v4, s[10:11]
	s_or_b64 s[16:17], vcc, s[16:17]
	v_cmp_eq_u32_e32 vcc, 3, v18
	v_cndmask_b32_e32 v24, v24, v5, vcc
	v_cmp_eq_u32_e32 vcc, 4, v18
	v_cndmask_b32_e32 v24, v24, v6, vcc
	;; [unrolled: 2-line block ×8, first 2 shown]
	v_cmp_eq_u32_e32 vcc, 11, v18
	ds_read_b32 v23, v22
	v_cndmask_b32_e32 v24, v24, v13, vcc
	v_cmp_eq_u32_e32 vcc, 12, v18
	v_cndmask_b32_e32 v24, v24, v14, vcc
	v_cmp_eq_u32_e32 vcc, 13, v18
	;; [unrolled: 2-line block ×4, first 2 shown]
	s_waitcnt vmcnt(0)
	v_cndmask_b32_e32 v24, v24, v17, vcc
	v_add_u32_e32 v22, 4, v22
	s_waitcnt lgkmcnt(0)
	v_fmac_f32_e32 v21, v24, v23
	s_andn2_b64 exec, exec, s[16:17]
	s_cbranch_execnz .LBB79_285
; %bb.286:
	s_or_b64 exec, exec, s[16:17]
.LBB79_287:
	s_or_b64 exec, exec, s[14:15]
	v_mov_b32_e32 v9, 0
	ds_read_b32 v9, v9 offset:28
	s_waitcnt lgkmcnt(0)
	v_mul_f32_e32 v9, v21, v9
.LBB79_288:
	s_or_b64 exec, exec, s[12:13]
	v_cmp_gt_u32_e32 vcc, 8, v0
	s_waitcnt vmcnt(8)
	ds_write_b32 v69, v10
	s_waitcnt lgkmcnt(0)
	; wave barrier
	s_waitcnt lgkmcnt(0)
	s_and_saveexec_b64 s[12:13], vcc
	s_cbranch_execz .LBB79_298
; %bb.289:
	s_and_b64 vcc, exec, s[0:1]
	s_cbranch_vccnz .LBB79_291
; %bb.290:
	v_cmp_eq_u32_e32 vcc, 1, v0
	s_waitcnt vmcnt(1)
	v_cndmask_b32_e32 v18, v2, v3, vcc
	v_cmp_eq_u32_e32 vcc, 2, v0
	v_cndmask_b32_e32 v18, v18, v4, vcc
	v_cmp_eq_u32_e32 vcc, 3, v0
	v_cndmask_b32_e32 v18, v18, v5, vcc
	v_cmp_eq_u32_e32 vcc, 4, v0
	v_cndmask_b32_e32 v18, v18, v6, vcc
	v_cmp_eq_u32_e32 vcc, 5, v0
	v_cndmask_b32_e32 v18, v18, v7, vcc
	v_cmp_eq_u32_e32 vcc, 6, v0
	v_cndmask_b32_e32 v18, v18, v8, vcc
	v_cmp_eq_u32_e32 vcc, 7, v0
	v_cndmask_b32_e32 v18, v18, v9, vcc
	v_cmp_eq_u32_e32 vcc, 8, v0
	v_cndmask_b32_e32 v18, v18, v10, vcc
	v_cmp_eq_u32_e32 vcc, 9, v0
	v_cndmask_b32_e32 v18, v18, v11, vcc
	v_cmp_eq_u32_e32 vcc, 10, v0
	v_cndmask_b32_e32 v18, v18, v12, vcc
	v_cmp_eq_u32_e32 vcc, 11, v0
	v_cndmask_b32_e32 v18, v18, v13, vcc
	v_cmp_eq_u32_e32 vcc, 12, v0
	ds_read_b32 v19, v69
	v_cndmask_b32_e32 v18, v18, v14, vcc
	v_cmp_eq_u32_e32 vcc, 13, v0
	v_cndmask_b32_e32 v18, v18, v15, vcc
	v_cmp_eq_u32_e32 vcc, 14, v0
	v_cndmask_b32_e32 v18, v18, v16, vcc
	v_cmp_eq_u32_e32 vcc, 15, v0
	s_waitcnt vmcnt(0)
	v_cndmask_b32_e32 v18, v18, v17, vcc
	s_waitcnt lgkmcnt(0)
	v_mul_f32_e32 v21, v18, v19
	s_cbranch_execz .LBB79_292
	s_branch .LBB79_293
.LBB79_291:
                                        ; implicit-def: $vgpr21
.LBB79_292:
	ds_read_b32 v21, v69
.LBB79_293:
	v_cmp_ne_u32_e32 vcc, 7, v0
	s_and_saveexec_b64 s[14:15], vcc
	s_cbranch_execz .LBB79_297
; %bb.294:
	v_mov_b32_e32 v18, 0x44
	v_lshl_add_u32 v22, v0, 2, v18
	s_mov_b64 s[16:17], 0
	v_pk_mov_b32 v[18:19], v[0:1], v[0:1] op_sel:[0,1]
.LBB79_295:                             ; =>This Inner Loop Header: Depth=1
	v_add_co_u32_e32 v18, vcc, 1, v18
	v_addc_co_u32_e32 v19, vcc, 0, v19, vcc
	v_cmp_eq_u32_e32 vcc, 1, v18
	s_waitcnt vmcnt(1)
	v_cndmask_b32_e32 v24, v2, v3, vcc
	v_cmp_lt_u32_e32 vcc, 6, v18
	v_cmp_eq_u32_e64 s[10:11], 2, v18
	v_cndmask_b32_e64 v24, v24, v4, s[10:11]
	s_or_b64 s[16:17], vcc, s[16:17]
	v_cmp_eq_u32_e32 vcc, 3, v18
	v_cndmask_b32_e32 v24, v24, v5, vcc
	v_cmp_eq_u32_e32 vcc, 4, v18
	v_cndmask_b32_e32 v24, v24, v6, vcc
	;; [unrolled: 2-line block ×8, first 2 shown]
	v_cmp_eq_u32_e32 vcc, 11, v18
	ds_read_b32 v23, v22
	v_cndmask_b32_e32 v24, v24, v13, vcc
	v_cmp_eq_u32_e32 vcc, 12, v18
	v_cndmask_b32_e32 v24, v24, v14, vcc
	v_cmp_eq_u32_e32 vcc, 13, v18
	;; [unrolled: 2-line block ×4, first 2 shown]
	s_waitcnt vmcnt(0)
	v_cndmask_b32_e32 v24, v24, v17, vcc
	v_add_u32_e32 v22, 4, v22
	s_waitcnt lgkmcnt(0)
	v_fmac_f32_e32 v21, v24, v23
	s_andn2_b64 exec, exec, s[16:17]
	s_cbranch_execnz .LBB79_295
; %bb.296:
	s_or_b64 exec, exec, s[16:17]
.LBB79_297:
	s_or_b64 exec, exec, s[14:15]
	v_mov_b32_e32 v10, 0
	ds_read_b32 v10, v10 offset:32
	s_waitcnt lgkmcnt(0)
	v_mul_f32_e32 v10, v21, v10
.LBB79_298:
	s_or_b64 exec, exec, s[12:13]
	v_cmp_gt_u32_e32 vcc, 9, v0
	s_waitcnt vmcnt(7)
	ds_write_b32 v69, v11
	s_waitcnt lgkmcnt(0)
	; wave barrier
	s_waitcnt lgkmcnt(0)
	s_and_saveexec_b64 s[10:11], vcc
	s_cbranch_execz .LBB79_320
; %bb.299:
	s_and_b64 vcc, exec, s[0:1]
	s_cbranch_vccnz .LBB79_301
; %bb.300:
	v_cmp_eq_u32_e32 vcc, 1, v0
	s_waitcnt vmcnt(1)
	v_cndmask_b32_e32 v18, v2, v3, vcc
	v_cmp_eq_u32_e32 vcc, 2, v0
	v_cndmask_b32_e32 v18, v18, v4, vcc
	v_cmp_eq_u32_e32 vcc, 3, v0
	;; [unrolled: 2-line block ×11, first 2 shown]
	ds_read_b32 v19, v69
	v_cndmask_b32_e32 v18, v18, v14, vcc
	v_cmp_eq_u32_e32 vcc, 13, v0
	v_cndmask_b32_e32 v18, v18, v15, vcc
	v_cmp_eq_u32_e32 vcc, 14, v0
	;; [unrolled: 2-line block ×3, first 2 shown]
	s_waitcnt vmcnt(0)
	v_cndmask_b32_e32 v18, v18, v17, vcc
	s_waitcnt lgkmcnt(0)
	v_mul_f32_e32 v18, v18, v19
	s_cbranch_execz .LBB79_302
	s_branch .LBB79_303
.LBB79_301:
                                        ; implicit-def: $vgpr18
.LBB79_302:
	ds_read_b32 v18, v69
.LBB79_303:
	v_cmp_ne_u32_e32 vcc, 8, v0
	s_and_saveexec_b64 s[12:13], vcc
	s_cbranch_execz .LBB79_319
; %bb.304:
	v_cmp_eq_u32_e32 vcc, 1, v20
	s_waitcnt vmcnt(1)
	v_cndmask_b32_e32 v19, v2, v3, vcc
	v_cmp_eq_u32_e32 vcc, 2, v20
	v_cndmask_b32_e32 v19, v19, v4, vcc
	v_cmp_eq_u32_e32 vcc, 3, v20
	;; [unrolled: 2-line block ×11, first 2 shown]
	ds_read_b32 v21, v69 offset:4
	v_cndmask_b32_e32 v19, v19, v14, vcc
	v_cmp_eq_u32_e32 vcc, 13, v20
	v_cndmask_b32_e32 v19, v19, v15, vcc
	v_cmp_eq_u32_e32 vcc, 14, v20
	;; [unrolled: 2-line block ×3, first 2 shown]
	s_waitcnt vmcnt(0)
	v_cndmask_b32_e32 v19, v19, v17, vcc
	s_waitcnt lgkmcnt(0)
	v_fmac_f32_e32 v18, v19, v21
	s_and_saveexec_b64 s[14:15], s[8:9]
	s_cbranch_execz .LBB79_318
; %bb.305:
	v_add_u32_e32 v19, 2, v0
	v_cmp_eq_u32_e32 vcc, 1, v19
	v_cndmask_b32_e32 v20, v2, v3, vcc
	v_cmp_eq_u32_e32 vcc, 2, v19
	v_cndmask_b32_e32 v20, v20, v4, vcc
	;; [unrolled: 2-line block ×11, first 2 shown]
	v_cmp_eq_u32_e32 vcc, 12, v19
	ds_read_b32 v21, v69 offset:8
	v_cndmask_b32_e32 v20, v20, v14, vcc
	v_cmp_eq_u32_e32 vcc, 13, v19
	v_cndmask_b32_e32 v20, v20, v15, vcc
	v_cmp_eq_u32_e32 vcc, 14, v19
	;; [unrolled: 2-line block ×3, first 2 shown]
	v_cndmask_b32_e32 v19, v20, v17, vcc
	s_waitcnt lgkmcnt(0)
	v_fmac_f32_e32 v18, v19, v21
	v_cmp_ne_u32_e32 vcc, 6, v0
	s_and_saveexec_b64 s[8:9], vcc
	s_cbranch_execz .LBB79_317
; %bb.306:
	v_add_u32_e32 v19, 3, v0
	v_cmp_eq_u32_e32 vcc, 1, v19
	v_cndmask_b32_e32 v20, v2, v3, vcc
	v_cmp_eq_u32_e32 vcc, 2, v19
	v_cndmask_b32_e32 v20, v20, v4, vcc
	;; [unrolled: 2-line block ×11, first 2 shown]
	v_cmp_eq_u32_e32 vcc, 12, v19
	ds_read_b32 v21, v69 offset:12
	v_cndmask_b32_e32 v20, v20, v14, vcc
	v_cmp_eq_u32_e32 vcc, 13, v19
	v_cndmask_b32_e32 v20, v20, v15, vcc
	v_cmp_eq_u32_e32 vcc, 14, v19
	;; [unrolled: 2-line block ×3, first 2 shown]
	v_cndmask_b32_e32 v19, v20, v17, vcc
	s_waitcnt lgkmcnt(0)
	v_fmac_f32_e32 v18, v19, v21
	s_and_saveexec_b64 s[16:17], s[6:7]
	s_cbranch_execz .LBB79_316
; %bb.307:
	v_add_u32_e32 v19, 4, v0
	v_cmp_eq_u32_e32 vcc, 1, v19
	v_cndmask_b32_e32 v20, v2, v3, vcc
	v_cmp_eq_u32_e32 vcc, 2, v19
	v_cndmask_b32_e32 v20, v20, v4, vcc
	v_cmp_eq_u32_e32 vcc, 3, v19
	v_cndmask_b32_e32 v20, v20, v5, vcc
	v_cmp_eq_u32_e32 vcc, 4, v19
	v_cndmask_b32_e32 v20, v20, v6, vcc
	v_cmp_eq_u32_e32 vcc, 5, v19
	v_cndmask_b32_e32 v20, v20, v7, vcc
	v_cmp_eq_u32_e32 vcc, 6, v19
	v_cndmask_b32_e32 v20, v20, v8, vcc
	v_cmp_eq_u32_e32 vcc, 7, v19
	v_cndmask_b32_e32 v20, v20, v9, vcc
	v_cmp_eq_u32_e32 vcc, 8, v19
	v_cndmask_b32_e32 v20, v20, v10, vcc
	v_cmp_eq_u32_e32 vcc, 9, v19
	v_cndmask_b32_e32 v20, v20, v11, vcc
	v_cmp_eq_u32_e32 vcc, 10, v19
	v_cndmask_b32_e32 v20, v20, v12, vcc
	v_cmp_eq_u32_e32 vcc, 11, v19
	v_cndmask_b32_e32 v20, v20, v13, vcc
	v_cmp_eq_u32_e32 vcc, 12, v19
	ds_read_b32 v21, v69 offset:16
	v_cndmask_b32_e32 v20, v20, v14, vcc
	v_cmp_eq_u32_e32 vcc, 13, v19
	v_cndmask_b32_e32 v20, v20, v15, vcc
	v_cmp_eq_u32_e32 vcc, 14, v19
	;; [unrolled: 2-line block ×3, first 2 shown]
	v_cndmask_b32_e32 v19, v20, v17, vcc
	s_waitcnt lgkmcnt(0)
	v_fmac_f32_e32 v18, v19, v21
	v_cmp_ne_u32_e32 vcc, 4, v0
	s_and_saveexec_b64 s[6:7], vcc
	s_cbranch_execz .LBB79_315
; %bb.308:
	v_add_u32_e32 v19, 5, v0
	v_cmp_eq_u32_e32 vcc, 1, v19
	v_cndmask_b32_e32 v20, v2, v3, vcc
	v_cmp_eq_u32_e32 vcc, 2, v19
	v_cndmask_b32_e32 v20, v20, v4, vcc
	;; [unrolled: 2-line block ×11, first 2 shown]
	v_cmp_eq_u32_e32 vcc, 12, v19
	ds_read_b32 v21, v69 offset:20
	v_cndmask_b32_e32 v20, v20, v14, vcc
	v_cmp_eq_u32_e32 vcc, 13, v19
	v_cndmask_b32_e32 v20, v20, v15, vcc
	v_cmp_eq_u32_e32 vcc, 14, v19
	v_cndmask_b32_e32 v20, v20, v16, vcc
	v_cmp_eq_u32_e32 vcc, 15, v19
	v_cndmask_b32_e32 v19, v20, v17, vcc
	s_waitcnt lgkmcnt(0)
	v_fmac_f32_e32 v18, v19, v21
	s_and_saveexec_b64 s[18:19], s[4:5]
	s_cbranch_execz .LBB79_314
; %bb.309:
	v_add_u32_e32 v19, 6, v0
	v_cmp_eq_u32_e32 vcc, 1, v19
	v_cndmask_b32_e32 v20, v2, v3, vcc
	v_cmp_eq_u32_e32 vcc, 2, v19
	v_cndmask_b32_e32 v20, v20, v4, vcc
	;; [unrolled: 2-line block ×11, first 2 shown]
	v_cmp_eq_u32_e32 vcc, 12, v19
	ds_read_b32 v21, v69 offset:24
	v_cndmask_b32_e32 v20, v20, v14, vcc
	v_cmp_eq_u32_e32 vcc, 13, v19
	v_cndmask_b32_e32 v20, v20, v15, vcc
	v_cmp_eq_u32_e32 vcc, 14, v19
	;; [unrolled: 2-line block ×3, first 2 shown]
	v_cndmask_b32_e32 v19, v20, v17, vcc
	s_waitcnt lgkmcnt(0)
	v_fmac_f32_e32 v18, v19, v21
	v_cmp_ne_u32_e32 vcc, 2, v0
	s_and_saveexec_b64 s[4:5], vcc
	s_cbranch_execz .LBB79_313
; %bb.310:
	v_add_u32_e32 v19, 7, v0
	v_cmp_eq_u32_e32 vcc, 1, v19
	v_cndmask_b32_e32 v20, v2, v3, vcc
	v_cmp_eq_u32_e32 vcc, 2, v19
	v_cndmask_b32_e32 v20, v20, v4, vcc
	v_cmp_eq_u32_e32 vcc, 3, v19
	v_cndmask_b32_e32 v20, v20, v5, vcc
	v_cmp_eq_u32_e32 vcc, 4, v19
	v_cndmask_b32_e32 v20, v20, v6, vcc
	v_cmp_eq_u32_e32 vcc, 5, v19
	v_cndmask_b32_e32 v20, v20, v7, vcc
	v_cmp_eq_u32_e32 vcc, 6, v19
	v_cndmask_b32_e32 v20, v20, v8, vcc
	v_cmp_eq_u32_e32 vcc, 7, v19
	v_cndmask_b32_e32 v20, v20, v9, vcc
	v_cmp_eq_u32_e32 vcc, 8, v19
	v_cndmask_b32_e32 v20, v20, v10, vcc
	v_cmp_eq_u32_e32 vcc, 9, v19
	v_cndmask_b32_e32 v11, v20, v11, vcc
	v_cmp_eq_u32_e32 vcc, 10, v19
	v_cndmask_b32_e32 v11, v11, v12, vcc
	v_cmp_eq_u32_e32 vcc, 11, v19
	v_cndmask_b32_e32 v11, v11, v13, vcc
	v_cmp_eq_u32_e32 vcc, 12, v19
	ds_read_b32 v20, v69 offset:28
	v_cndmask_b32_e32 v11, v11, v14, vcc
	v_cmp_eq_u32_e32 vcc, 13, v19
	v_cndmask_b32_e32 v11, v11, v15, vcc
	v_cmp_eq_u32_e32 vcc, 14, v19
	;; [unrolled: 2-line block ×3, first 2 shown]
	v_cndmask_b32_e32 v11, v11, v17, vcc
	s_waitcnt lgkmcnt(0)
	v_fmac_f32_e32 v18, v11, v20
	s_and_saveexec_b64 s[20:21], s[2:3]
	s_cbranch_execz .LBB79_312
; %bb.311:
	ds_read_b32 v11, v69 offset:32
	s_waitcnt lgkmcnt(0)
	v_fmac_f32_e32 v18, v10, v11
.LBB79_312:
	s_or_b64 exec, exec, s[20:21]
.LBB79_313:
	s_or_b64 exec, exec, s[4:5]
.LBB79_314:
	s_or_b64 exec, exec, s[18:19]
.LBB79_315:
	s_or_b64 exec, exec, s[6:7]
.LBB79_316:
	s_or_b64 exec, exec, s[16:17]
.LBB79_317:
	s_or_b64 exec, exec, s[8:9]
.LBB79_318:
	s_or_b64 exec, exec, s[14:15]
.LBB79_319:
	s_or_b64 exec, exec, s[12:13]
	v_mov_b32_e32 v11, 0
	ds_read_b32 v11, v11 offset:36
	s_waitcnt lgkmcnt(0)
	v_mul_f32_e32 v11, v18, v11
.LBB79_320:
	s_or_b64 exec, exec, s[10:11]
	v_cmp_gt_u32_e32 vcc, 10, v0
	s_waitcnt vmcnt(6)
	ds_write_b32 v69, v12
	s_waitcnt lgkmcnt(0)
	; wave barrier
	s_waitcnt lgkmcnt(0)
	s_and_saveexec_b64 s[4:5], vcc
	s_cbranch_execz .LBB79_330
; %bb.321:
	s_and_b64 vcc, exec, s[0:1]
	s_cbranch_vccnz .LBB79_323
; %bb.322:
	v_cmp_eq_u32_e32 vcc, 1, v0
	s_waitcnt vmcnt(1)
	v_cndmask_b32_e32 v18, v2, v3, vcc
	v_cmp_eq_u32_e32 vcc, 2, v0
	v_cndmask_b32_e32 v18, v18, v4, vcc
	v_cmp_eq_u32_e32 vcc, 3, v0
	;; [unrolled: 2-line block ×11, first 2 shown]
	ds_read_b32 v19, v69
	v_cndmask_b32_e32 v18, v18, v14, vcc
	v_cmp_eq_u32_e32 vcc, 13, v0
	v_cndmask_b32_e32 v18, v18, v15, vcc
	v_cmp_eq_u32_e32 vcc, 14, v0
	;; [unrolled: 2-line block ×3, first 2 shown]
	s_waitcnt vmcnt(0)
	v_cndmask_b32_e32 v18, v18, v17, vcc
	s_waitcnt lgkmcnt(0)
	v_mul_f32_e32 v20, v18, v19
	s_cbranch_execz .LBB79_324
	s_branch .LBB79_325
.LBB79_323:
                                        ; implicit-def: $vgpr20
.LBB79_324:
	ds_read_b32 v20, v69
.LBB79_325:
	v_cmp_ne_u32_e32 vcc, 9, v0
	s_and_saveexec_b64 s[6:7], vcc
	s_cbranch_execz .LBB79_329
; %bb.326:
	v_mov_b32_e32 v18, 0x44
	v_lshl_add_u32 v21, v0, 2, v18
	s_mov_b64 s[8:9], 0
	v_pk_mov_b32 v[18:19], v[0:1], v[0:1] op_sel:[0,1]
.LBB79_327:                             ; =>This Inner Loop Header: Depth=1
	v_add_co_u32_e32 v18, vcc, 1, v18
	v_addc_co_u32_e32 v19, vcc, 0, v19, vcc
	v_cmp_eq_u32_e32 vcc, 1, v18
	s_waitcnt vmcnt(1)
	v_cndmask_b32_e32 v23, v2, v3, vcc
	v_cmp_lt_u32_e32 vcc, 8, v18
	v_cmp_eq_u32_e64 s[2:3], 2, v18
	v_cndmask_b32_e64 v23, v23, v4, s[2:3]
	s_or_b64 s[8:9], vcc, s[8:9]
	v_cmp_eq_u32_e32 vcc, 3, v18
	v_cndmask_b32_e32 v23, v23, v5, vcc
	v_cmp_eq_u32_e32 vcc, 4, v18
	v_cndmask_b32_e32 v23, v23, v6, vcc
	;; [unrolled: 2-line block ×8, first 2 shown]
	v_cmp_eq_u32_e32 vcc, 11, v18
	ds_read_b32 v22, v21
	v_cndmask_b32_e32 v23, v23, v13, vcc
	v_cmp_eq_u32_e32 vcc, 12, v18
	v_cndmask_b32_e32 v23, v23, v14, vcc
	v_cmp_eq_u32_e32 vcc, 13, v18
	;; [unrolled: 2-line block ×4, first 2 shown]
	s_waitcnt vmcnt(0)
	v_cndmask_b32_e32 v23, v23, v17, vcc
	v_add_u32_e32 v21, 4, v21
	s_waitcnt lgkmcnt(0)
	v_fmac_f32_e32 v20, v23, v22
	s_andn2_b64 exec, exec, s[8:9]
	s_cbranch_execnz .LBB79_327
; %bb.328:
	s_or_b64 exec, exec, s[8:9]
.LBB79_329:
	s_or_b64 exec, exec, s[6:7]
	v_mov_b32_e32 v12, 0
	ds_read_b32 v12, v12 offset:40
	s_waitcnt lgkmcnt(0)
	v_mul_f32_e32 v12, v20, v12
.LBB79_330:
	s_or_b64 exec, exec, s[4:5]
	v_cmp_gt_u32_e32 vcc, 11, v0
	s_waitcnt vmcnt(5)
	ds_write_b32 v69, v13
	s_waitcnt lgkmcnt(0)
	; wave barrier
	s_waitcnt lgkmcnt(0)
	s_and_saveexec_b64 s[4:5], vcc
	s_cbranch_execz .LBB79_340
; %bb.331:
	s_and_b64 vcc, exec, s[0:1]
	s_cbranch_vccnz .LBB79_333
; %bb.332:
	v_cmp_eq_u32_e32 vcc, 1, v0
	s_waitcnt vmcnt(1)
	v_cndmask_b32_e32 v18, v2, v3, vcc
	v_cmp_eq_u32_e32 vcc, 2, v0
	v_cndmask_b32_e32 v18, v18, v4, vcc
	v_cmp_eq_u32_e32 vcc, 3, v0
	;; [unrolled: 2-line block ×11, first 2 shown]
	ds_read_b32 v19, v69
	v_cndmask_b32_e32 v18, v18, v14, vcc
	v_cmp_eq_u32_e32 vcc, 13, v0
	v_cndmask_b32_e32 v18, v18, v15, vcc
	v_cmp_eq_u32_e32 vcc, 14, v0
	;; [unrolled: 2-line block ×3, first 2 shown]
	s_waitcnt vmcnt(0)
	v_cndmask_b32_e32 v18, v18, v17, vcc
	s_waitcnt lgkmcnt(0)
	v_mul_f32_e32 v20, v18, v19
	s_cbranch_execz .LBB79_334
	s_branch .LBB79_335
.LBB79_333:
                                        ; implicit-def: $vgpr20
.LBB79_334:
	ds_read_b32 v20, v69
.LBB79_335:
	v_cmp_ne_u32_e32 vcc, 10, v0
	s_and_saveexec_b64 s[6:7], vcc
	s_cbranch_execz .LBB79_339
; %bb.336:
	v_mov_b32_e32 v18, 0x44
	v_lshl_add_u32 v21, v0, 2, v18
	s_mov_b64 s[8:9], 0
	v_pk_mov_b32 v[18:19], v[0:1], v[0:1] op_sel:[0,1]
.LBB79_337:                             ; =>This Inner Loop Header: Depth=1
	v_add_co_u32_e32 v18, vcc, 1, v18
	v_addc_co_u32_e32 v19, vcc, 0, v19, vcc
	v_cmp_eq_u32_e32 vcc, 1, v18
	s_waitcnt vmcnt(1)
	v_cndmask_b32_e32 v23, v2, v3, vcc
	v_cmp_lt_u32_e32 vcc, 9, v18
	v_cmp_eq_u32_e64 s[2:3], 2, v18
	v_cndmask_b32_e64 v23, v23, v4, s[2:3]
	s_or_b64 s[8:9], vcc, s[8:9]
	v_cmp_eq_u32_e32 vcc, 3, v18
	v_cndmask_b32_e32 v23, v23, v5, vcc
	v_cmp_eq_u32_e32 vcc, 4, v18
	v_cndmask_b32_e32 v23, v23, v6, vcc
	;; [unrolled: 2-line block ×8, first 2 shown]
	v_cmp_eq_u32_e32 vcc, 11, v18
	ds_read_b32 v22, v21
	v_cndmask_b32_e32 v23, v23, v13, vcc
	v_cmp_eq_u32_e32 vcc, 12, v18
	v_cndmask_b32_e32 v23, v23, v14, vcc
	v_cmp_eq_u32_e32 vcc, 13, v18
	;; [unrolled: 2-line block ×4, first 2 shown]
	s_waitcnt vmcnt(0)
	v_cndmask_b32_e32 v23, v23, v17, vcc
	v_add_u32_e32 v21, 4, v21
	s_waitcnt lgkmcnt(0)
	v_fmac_f32_e32 v20, v23, v22
	s_andn2_b64 exec, exec, s[8:9]
	s_cbranch_execnz .LBB79_337
; %bb.338:
	s_or_b64 exec, exec, s[8:9]
.LBB79_339:
	s_or_b64 exec, exec, s[6:7]
	v_mov_b32_e32 v13, 0
	ds_read_b32 v13, v13 offset:44
	s_waitcnt lgkmcnt(0)
	v_mul_f32_e32 v13, v20, v13
.LBB79_340:
	s_or_b64 exec, exec, s[4:5]
	v_cmp_gt_u32_e32 vcc, 12, v0
	s_waitcnt vmcnt(4)
	ds_write_b32 v69, v14
	s_waitcnt lgkmcnt(0)
	; wave barrier
	s_waitcnt lgkmcnt(0)
	s_and_saveexec_b64 s[4:5], vcc
	s_cbranch_execz .LBB79_350
; %bb.341:
	s_and_b64 vcc, exec, s[0:1]
	s_cbranch_vccnz .LBB79_343
; %bb.342:
	v_cmp_eq_u32_e32 vcc, 1, v0
	s_waitcnt vmcnt(1)
	v_cndmask_b32_e32 v18, v2, v3, vcc
	v_cmp_eq_u32_e32 vcc, 2, v0
	v_cndmask_b32_e32 v18, v18, v4, vcc
	v_cmp_eq_u32_e32 vcc, 3, v0
	;; [unrolled: 2-line block ×11, first 2 shown]
	ds_read_b32 v19, v69
	v_cndmask_b32_e32 v18, v18, v14, vcc
	v_cmp_eq_u32_e32 vcc, 13, v0
	v_cndmask_b32_e32 v18, v18, v15, vcc
	v_cmp_eq_u32_e32 vcc, 14, v0
	;; [unrolled: 2-line block ×3, first 2 shown]
	s_waitcnt vmcnt(0)
	v_cndmask_b32_e32 v18, v18, v17, vcc
	s_waitcnt lgkmcnt(0)
	v_mul_f32_e32 v20, v18, v19
	s_cbranch_execz .LBB79_344
	s_branch .LBB79_345
.LBB79_343:
                                        ; implicit-def: $vgpr20
.LBB79_344:
	ds_read_b32 v20, v69
.LBB79_345:
	v_cmp_ne_u32_e32 vcc, 11, v0
	s_and_saveexec_b64 s[6:7], vcc
	s_cbranch_execz .LBB79_349
; %bb.346:
	v_mov_b32_e32 v18, 0x44
	v_lshl_add_u32 v21, v0, 2, v18
	s_mov_b64 s[8:9], 0
	v_pk_mov_b32 v[18:19], v[0:1], v[0:1] op_sel:[0,1]
.LBB79_347:                             ; =>This Inner Loop Header: Depth=1
	v_add_co_u32_e32 v18, vcc, 1, v18
	v_addc_co_u32_e32 v19, vcc, 0, v19, vcc
	v_cmp_eq_u32_e32 vcc, 1, v18
	s_waitcnt vmcnt(1)
	v_cndmask_b32_e32 v23, v2, v3, vcc
	v_cmp_lt_u32_e32 vcc, 10, v18
	v_cmp_eq_u32_e64 s[2:3], 2, v18
	v_cndmask_b32_e64 v23, v23, v4, s[2:3]
	s_or_b64 s[8:9], vcc, s[8:9]
	v_cmp_eq_u32_e32 vcc, 3, v18
	v_cndmask_b32_e32 v23, v23, v5, vcc
	v_cmp_eq_u32_e32 vcc, 4, v18
	v_cndmask_b32_e32 v23, v23, v6, vcc
	;; [unrolled: 2-line block ×8, first 2 shown]
	v_cmp_eq_u32_e32 vcc, 11, v18
	ds_read_b32 v22, v21
	v_cndmask_b32_e32 v23, v23, v13, vcc
	v_cmp_eq_u32_e32 vcc, 12, v18
	v_cndmask_b32_e32 v23, v23, v14, vcc
	v_cmp_eq_u32_e32 vcc, 13, v18
	;; [unrolled: 2-line block ×4, first 2 shown]
	s_waitcnt vmcnt(0)
	v_cndmask_b32_e32 v23, v23, v17, vcc
	v_add_u32_e32 v21, 4, v21
	s_waitcnt lgkmcnt(0)
	v_fmac_f32_e32 v20, v23, v22
	s_andn2_b64 exec, exec, s[8:9]
	s_cbranch_execnz .LBB79_347
; %bb.348:
	s_or_b64 exec, exec, s[8:9]
.LBB79_349:
	s_or_b64 exec, exec, s[6:7]
	v_mov_b32_e32 v14, 0
	ds_read_b32 v14, v14 offset:48
	s_waitcnt lgkmcnt(0)
	v_mul_f32_e32 v14, v20, v14
.LBB79_350:
	s_or_b64 exec, exec, s[4:5]
	v_cmp_gt_u32_e32 vcc, 13, v0
	s_waitcnt vmcnt(3)
	ds_write_b32 v69, v15
	s_waitcnt lgkmcnt(0)
	; wave barrier
	s_waitcnt lgkmcnt(0)
	s_and_saveexec_b64 s[4:5], vcc
	s_cbranch_execz .LBB79_360
; %bb.351:
	s_and_b64 vcc, exec, s[0:1]
	s_cbranch_vccnz .LBB79_353
; %bb.352:
	v_cmp_eq_u32_e32 vcc, 1, v0
	s_waitcnt vmcnt(1)
	v_cndmask_b32_e32 v18, v2, v3, vcc
	v_cmp_eq_u32_e32 vcc, 2, v0
	v_cndmask_b32_e32 v18, v18, v4, vcc
	v_cmp_eq_u32_e32 vcc, 3, v0
	;; [unrolled: 2-line block ×11, first 2 shown]
	ds_read_b32 v19, v69
	v_cndmask_b32_e32 v18, v18, v14, vcc
	v_cmp_eq_u32_e32 vcc, 13, v0
	v_cndmask_b32_e32 v18, v18, v15, vcc
	v_cmp_eq_u32_e32 vcc, 14, v0
	;; [unrolled: 2-line block ×3, first 2 shown]
	s_waitcnt vmcnt(0)
	v_cndmask_b32_e32 v18, v18, v17, vcc
	s_waitcnt lgkmcnt(0)
	v_mul_f32_e32 v20, v18, v19
	s_cbranch_execz .LBB79_354
	s_branch .LBB79_355
.LBB79_353:
                                        ; implicit-def: $vgpr20
.LBB79_354:
	ds_read_b32 v20, v69
.LBB79_355:
	v_cmp_ne_u32_e32 vcc, 12, v0
	s_and_saveexec_b64 s[6:7], vcc
	s_cbranch_execz .LBB79_359
; %bb.356:
	v_mov_b32_e32 v18, 0x44
	v_lshl_add_u32 v21, v0, 2, v18
	s_mov_b64 s[8:9], 0
	v_pk_mov_b32 v[18:19], v[0:1], v[0:1] op_sel:[0,1]
.LBB79_357:                             ; =>This Inner Loop Header: Depth=1
	v_add_co_u32_e32 v18, vcc, 1, v18
	v_addc_co_u32_e32 v19, vcc, 0, v19, vcc
	v_cmp_eq_u32_e32 vcc, 1, v18
	s_waitcnt vmcnt(1)
	v_cndmask_b32_e32 v23, v2, v3, vcc
	v_cmp_lt_u32_e32 vcc, 11, v18
	v_cmp_eq_u32_e64 s[2:3], 2, v18
	v_cndmask_b32_e64 v23, v23, v4, s[2:3]
	s_or_b64 s[8:9], vcc, s[8:9]
	v_cmp_eq_u32_e32 vcc, 3, v18
	v_cndmask_b32_e32 v23, v23, v5, vcc
	v_cmp_eq_u32_e32 vcc, 4, v18
	v_cndmask_b32_e32 v23, v23, v6, vcc
	;; [unrolled: 2-line block ×8, first 2 shown]
	v_cmp_eq_u32_e32 vcc, 11, v18
	ds_read_b32 v22, v21
	v_cndmask_b32_e32 v23, v23, v13, vcc
	v_cmp_eq_u32_e32 vcc, 12, v18
	v_cndmask_b32_e32 v23, v23, v14, vcc
	v_cmp_eq_u32_e32 vcc, 13, v18
	;; [unrolled: 2-line block ×4, first 2 shown]
	s_waitcnt vmcnt(0)
	v_cndmask_b32_e32 v23, v23, v17, vcc
	v_add_u32_e32 v21, 4, v21
	s_waitcnt lgkmcnt(0)
	v_fmac_f32_e32 v20, v23, v22
	s_andn2_b64 exec, exec, s[8:9]
	s_cbranch_execnz .LBB79_357
; %bb.358:
	s_or_b64 exec, exec, s[8:9]
.LBB79_359:
	s_or_b64 exec, exec, s[6:7]
	v_mov_b32_e32 v15, 0
	ds_read_b32 v15, v15 offset:52
	s_waitcnt lgkmcnt(0)
	v_mul_f32_e32 v15, v20, v15
.LBB79_360:
	s_or_b64 exec, exec, s[4:5]
	v_cmp_gt_u32_e64 s[2:3], 14, v0
	s_waitcnt vmcnt(2)
	ds_write_b32 v69, v16
	s_waitcnt lgkmcnt(0)
	; wave barrier
	s_waitcnt lgkmcnt(0)
	s_and_saveexec_b64 s[6:7], s[2:3]
	s_cbranch_execz .LBB79_370
; %bb.361:
	s_and_b64 vcc, exec, s[0:1]
	s_cbranch_vccnz .LBB79_363
; %bb.362:
	v_cmp_eq_u32_e32 vcc, 1, v0
	s_waitcnt vmcnt(1)
	v_cndmask_b32_e32 v18, v2, v3, vcc
	v_cmp_eq_u32_e32 vcc, 2, v0
	v_cndmask_b32_e32 v18, v18, v4, vcc
	v_cmp_eq_u32_e32 vcc, 3, v0
	;; [unrolled: 2-line block ×11, first 2 shown]
	ds_read_b32 v19, v69
	v_cndmask_b32_e32 v18, v18, v14, vcc
	v_cmp_eq_u32_e32 vcc, 13, v0
	v_cndmask_b32_e32 v18, v18, v15, vcc
	v_cmp_eq_u32_e32 vcc, 14, v0
	;; [unrolled: 2-line block ×3, first 2 shown]
	s_waitcnt vmcnt(0)
	v_cndmask_b32_e32 v18, v18, v17, vcc
	s_waitcnt lgkmcnt(0)
	v_mul_f32_e32 v20, v18, v19
	s_cbranch_execz .LBB79_364
	s_branch .LBB79_365
.LBB79_363:
                                        ; implicit-def: $vgpr20
.LBB79_364:
	ds_read_b32 v20, v69
.LBB79_365:
	v_cmp_ne_u32_e32 vcc, 13, v0
	s_and_saveexec_b64 s[8:9], vcc
	s_cbranch_execz .LBB79_369
; %bb.366:
	v_mov_b32_e32 v18, 0x44
	v_lshl_add_u32 v21, v0, 2, v18
	s_mov_b64 s[10:11], 0
	v_pk_mov_b32 v[18:19], v[0:1], v[0:1] op_sel:[0,1]
.LBB79_367:                             ; =>This Inner Loop Header: Depth=1
	v_add_co_u32_e32 v18, vcc, 1, v18
	v_addc_co_u32_e32 v19, vcc, 0, v19, vcc
	v_cmp_eq_u32_e32 vcc, 1, v18
	s_waitcnt vmcnt(1)
	v_cndmask_b32_e32 v23, v2, v3, vcc
	v_cmp_lt_u32_e32 vcc, 12, v18
	v_cmp_eq_u32_e64 s[4:5], 2, v18
	v_cndmask_b32_e64 v23, v23, v4, s[4:5]
	s_or_b64 s[10:11], vcc, s[10:11]
	v_cmp_eq_u32_e32 vcc, 3, v18
	v_cndmask_b32_e32 v23, v23, v5, vcc
	v_cmp_eq_u32_e32 vcc, 4, v18
	v_cndmask_b32_e32 v23, v23, v6, vcc
	;; [unrolled: 2-line block ×8, first 2 shown]
	v_cmp_eq_u32_e32 vcc, 11, v18
	ds_read_b32 v22, v21
	v_cndmask_b32_e32 v23, v23, v13, vcc
	v_cmp_eq_u32_e32 vcc, 12, v18
	v_cndmask_b32_e32 v23, v23, v14, vcc
	v_cmp_eq_u32_e32 vcc, 13, v18
	v_cndmask_b32_e32 v23, v23, v15, vcc
	v_cmp_eq_u32_e32 vcc, 14, v18
	v_cndmask_b32_e32 v23, v23, v16, vcc
	v_cmp_eq_u32_e32 vcc, 15, v18
	s_waitcnt vmcnt(0)
	v_cndmask_b32_e32 v23, v23, v17, vcc
	v_add_u32_e32 v21, 4, v21
	s_waitcnt lgkmcnt(0)
	v_fmac_f32_e32 v20, v23, v22
	s_andn2_b64 exec, exec, s[10:11]
	s_cbranch_execnz .LBB79_367
; %bb.368:
	s_or_b64 exec, exec, s[10:11]
.LBB79_369:
	s_or_b64 exec, exec, s[8:9]
	v_mov_b32_e32 v16, 0
	ds_read_b32 v16, v16 offset:56
	s_waitcnt lgkmcnt(0)
	v_mul_f32_e32 v16, v20, v16
.LBB79_370:
	s_or_b64 exec, exec, s[6:7]
	v_cmp_ne_u32_e32 vcc, 15, v0
	s_waitcnt vmcnt(0)
	ds_write_b32 v69, v17
	s_waitcnt lgkmcnt(0)
	; wave barrier
	s_waitcnt lgkmcnt(0)
	s_and_saveexec_b64 s[4:5], vcc
	s_cbranch_execz .LBB79_380
; %bb.371:
	s_and_b64 vcc, exec, s[0:1]
	s_cbranch_vccnz .LBB79_373
; %bb.372:
	v_cmp_eq_u32_e32 vcc, 1, v0
	v_cndmask_b32_e32 v18, v2, v3, vcc
	v_cmp_eq_u32_e32 vcc, 2, v0
	v_cndmask_b32_e32 v18, v18, v4, vcc
	;; [unrolled: 2-line block ×11, first 2 shown]
	v_cmp_eq_u32_e32 vcc, 12, v0
	ds_read_b32 v19, v69
	v_cndmask_b32_e32 v18, v18, v14, vcc
	v_cmp_eq_u32_e32 vcc, 13, v0
	v_cndmask_b32_e32 v18, v18, v15, vcc
	v_cmp_eq_u32_e32 vcc, 14, v0
	;; [unrolled: 2-line block ×3, first 2 shown]
	v_cndmask_b32_e32 v18, v18, v17, vcc
	s_waitcnt lgkmcnt(0)
	v_mul_f32_e32 v18, v18, v19
	s_cbranch_execz .LBB79_374
	s_branch .LBB79_375
.LBB79_373:
                                        ; implicit-def: $vgpr18
.LBB79_374:
	ds_read_b32 v18, v69
.LBB79_375:
	s_and_saveexec_b64 s[6:7], s[2:3]
	s_cbranch_execz .LBB79_379
; %bb.376:
	v_mov_b32_e32 v19, 0x44
	v_lshl_add_u32 v19, v0, 2, v19
	s_mov_b64 s[2:3], 0
.LBB79_377:                             ; =>This Inner Loop Header: Depth=1
	v_add_co_u32_e32 v0, vcc, 1, v0
	v_addc_co_u32_e32 v1, vcc, 0, v1, vcc
	v_cmp_eq_u32_e32 vcc, 1, v0
	v_cndmask_b32_e32 v21, v2, v3, vcc
	v_cmp_lt_u32_e32 vcc, 13, v0
	v_cmp_eq_u32_e64 s[0:1], 2, v0
	v_cndmask_b32_e64 v21, v21, v4, s[0:1]
	s_or_b64 s[2:3], vcc, s[2:3]
	v_cmp_eq_u32_e32 vcc, 3, v0
	v_cndmask_b32_e32 v21, v21, v5, vcc
	v_cmp_eq_u32_e32 vcc, 4, v0
	v_cndmask_b32_e32 v21, v21, v6, vcc
	;; [unrolled: 2-line block ×8, first 2 shown]
	v_cmp_eq_u32_e32 vcc, 11, v0
	ds_read_b32 v20, v19
	v_cndmask_b32_e32 v21, v21, v13, vcc
	v_cmp_eq_u32_e32 vcc, 12, v0
	v_cndmask_b32_e32 v21, v21, v14, vcc
	v_cmp_eq_u32_e32 vcc, 13, v0
	;; [unrolled: 2-line block ×4, first 2 shown]
	v_cndmask_b32_e32 v21, v21, v17, vcc
	v_add_u32_e32 v19, 4, v19
	s_waitcnt lgkmcnt(0)
	v_fmac_f32_e32 v18, v21, v20
	s_andn2_b64 exec, exec, s[2:3]
	s_cbranch_execnz .LBB79_377
; %bb.378:
	s_or_b64 exec, exec, s[2:3]
.LBB79_379:
	s_or_b64 exec, exec, s[6:7]
	v_mov_b32_e32 v0, 0
	ds_read_b32 v0, v0 offset:60
	s_waitcnt lgkmcnt(0)
	v_mul_f32_e32 v17, v18, v0
.LBB79_380:
	s_or_b64 exec, exec, s[4:5]
	v_pk_mov_b32 v[32:33], v[16:17], v[16:17] op_sel:[0,1]
	v_pk_mov_b32 v[30:31], v[14:15], v[14:15] op_sel:[0,1]
	;; [unrolled: 1-line block ×8, first 2 shown]
.LBB79_381:
	global_store_dword v[34:35], v18, off
	global_store_dword v[36:37], v19, off
	;; [unrolled: 1-line block ×16, first 2 shown]
.LBB79_382:
	s_endpgm
	.section	.rodata,"a",@progbits
	.p2align	6, 0x0
	.amdhsa_kernel _ZN9rocsolver6v33100L18trti2_kernel_smallILi16EfPKPfEEv13rocblas_fill_17rocblas_diagonal_T1_iil
		.amdhsa_group_segment_fixed_size 128
		.amdhsa_private_segment_fixed_size 0
		.amdhsa_kernarg_size 32
		.amdhsa_user_sgpr_count 6
		.amdhsa_user_sgpr_private_segment_buffer 1
		.amdhsa_user_sgpr_dispatch_ptr 0
		.amdhsa_user_sgpr_queue_ptr 0
		.amdhsa_user_sgpr_kernarg_segment_ptr 1
		.amdhsa_user_sgpr_dispatch_id 0
		.amdhsa_user_sgpr_flat_scratch_init 0
		.amdhsa_user_sgpr_kernarg_preload_length 0
		.amdhsa_user_sgpr_kernarg_preload_offset 0
		.amdhsa_user_sgpr_private_segment_size 0
		.amdhsa_uses_dynamic_stack 0
		.amdhsa_system_sgpr_private_segment_wavefront_offset 0
		.amdhsa_system_sgpr_workgroup_id_x 1
		.amdhsa_system_sgpr_workgroup_id_y 0
		.amdhsa_system_sgpr_workgroup_id_z 0
		.amdhsa_system_sgpr_workgroup_info 0
		.amdhsa_system_vgpr_workitem_id 0
		.amdhsa_next_free_vgpr 84
		.amdhsa_next_free_sgpr 40
		.amdhsa_accum_offset 84
		.amdhsa_reserve_vcc 1
		.amdhsa_reserve_flat_scratch 0
		.amdhsa_float_round_mode_32 0
		.amdhsa_float_round_mode_16_64 0
		.amdhsa_float_denorm_mode_32 3
		.amdhsa_float_denorm_mode_16_64 3
		.amdhsa_dx10_clamp 1
		.amdhsa_ieee_mode 1
		.amdhsa_fp16_overflow 0
		.amdhsa_tg_split 0
		.amdhsa_exception_fp_ieee_invalid_op 0
		.amdhsa_exception_fp_denorm_src 0
		.amdhsa_exception_fp_ieee_div_zero 0
		.amdhsa_exception_fp_ieee_overflow 0
		.amdhsa_exception_fp_ieee_underflow 0
		.amdhsa_exception_fp_ieee_inexact 0
		.amdhsa_exception_int_div_zero 0
	.end_amdhsa_kernel
	.section	.text._ZN9rocsolver6v33100L18trti2_kernel_smallILi16EfPKPfEEv13rocblas_fill_17rocblas_diagonal_T1_iil,"axG",@progbits,_ZN9rocsolver6v33100L18trti2_kernel_smallILi16EfPKPfEEv13rocblas_fill_17rocblas_diagonal_T1_iil,comdat
.Lfunc_end79:
	.size	_ZN9rocsolver6v33100L18trti2_kernel_smallILi16EfPKPfEEv13rocblas_fill_17rocblas_diagonal_T1_iil, .Lfunc_end79-_ZN9rocsolver6v33100L18trti2_kernel_smallILi16EfPKPfEEv13rocblas_fill_17rocblas_diagonal_T1_iil
                                        ; -- End function
	.section	.AMDGPU.csdata,"",@progbits
; Kernel info:
; codeLenInByte = 18856
; NumSgprs: 44
; NumVgprs: 84
; NumAgprs: 0
; TotalNumVgprs: 84
; ScratchSize: 0
; MemoryBound: 0
; FloatMode: 240
; IeeeMode: 1
; LDSByteSize: 128 bytes/workgroup (compile time only)
; SGPRBlocks: 5
; VGPRBlocks: 10
; NumSGPRsForWavesPerEU: 44
; NumVGPRsForWavesPerEU: 84
; AccumOffset: 84
; Occupancy: 5
; WaveLimiterHint : 1
; COMPUTE_PGM_RSRC2:SCRATCH_EN: 0
; COMPUTE_PGM_RSRC2:USER_SGPR: 6
; COMPUTE_PGM_RSRC2:TRAP_HANDLER: 0
; COMPUTE_PGM_RSRC2:TGID_X_EN: 1
; COMPUTE_PGM_RSRC2:TGID_Y_EN: 0
; COMPUTE_PGM_RSRC2:TGID_Z_EN: 0
; COMPUTE_PGM_RSRC2:TIDIG_COMP_CNT: 0
; COMPUTE_PGM_RSRC3_GFX90A:ACCUM_OFFSET: 20
; COMPUTE_PGM_RSRC3_GFX90A:TG_SPLIT: 0
	.section	.text._ZN9rocsolver6v33100L18trti2_kernel_smallILi17EfPKPfEEv13rocblas_fill_17rocblas_diagonal_T1_iil,"axG",@progbits,_ZN9rocsolver6v33100L18trti2_kernel_smallILi17EfPKPfEEv13rocblas_fill_17rocblas_diagonal_T1_iil,comdat
	.globl	_ZN9rocsolver6v33100L18trti2_kernel_smallILi17EfPKPfEEv13rocblas_fill_17rocblas_diagonal_T1_iil ; -- Begin function _ZN9rocsolver6v33100L18trti2_kernel_smallILi17EfPKPfEEv13rocblas_fill_17rocblas_diagonal_T1_iil
	.p2align	8
	.type	_ZN9rocsolver6v33100L18trti2_kernel_smallILi17EfPKPfEEv13rocblas_fill_17rocblas_diagonal_T1_iil,@function
_ZN9rocsolver6v33100L18trti2_kernel_smallILi17EfPKPfEEv13rocblas_fill_17rocblas_diagonal_T1_iil: ; @_ZN9rocsolver6v33100L18trti2_kernel_smallILi17EfPKPfEEv13rocblas_fill_17rocblas_diagonal_T1_iil
; %bb.0:
	s_add_u32 s0, s0, s9
	s_addc_u32 s1, s1, 0
	v_cmp_gt_u32_e32 vcc, 17, v0
	s_and_saveexec_b64 s[6:7], vcc
	s_cbranch_execz .LBB80_312
; %bb.1:
	s_load_dwordx2 s[6:7], s[4:5], 0x10
	s_load_dwordx4 s[12:15], s[4:5], 0x0
	s_ashr_i32 s9, s8, 31
	s_lshl_b64 s[4:5], s[8:9], 3
	v_lshlrev_b32_e32 v1, 2, v0
	s_waitcnt lgkmcnt(0)
	s_ashr_i32 s9, s6, 31
	s_add_u32 s4, s14, s4
	s_addc_u32 s5, s15, s5
	s_load_dwordx2 s[4:5], s[4:5], 0x0
	s_mov_b32 s8, s6
	s_lshl_b64 s[8:9], s[8:9], 2
	s_waitcnt lgkmcnt(0)
	s_add_u32 s4, s4, s8
	s_addc_u32 s5, s5, s9
	v_mov_b32_e32 v3, s5
	v_add_co_u32_e32 v2, vcc, s4, v1
	s_ashr_i32 s9, s7, 31
	s_mov_b32 s8, s7
	s_add_i32 s6, s7, s7
	v_addc_co_u32_e32 v3, vcc, 0, v3, vcc
	s_lshl_b64 s[8:9], s[8:9], 2
	v_add_u32_e32 v8, s6, v0
	v_mov_b32_e32 v5, s9
	v_add_co_u32_e32 v4, vcc, s8, v2
	v_ashrrev_i32_e32 v9, 31, v8
	v_addc_co_u32_e32 v5, vcc, v3, v5, vcc
	v_lshlrev_b64 v[6:7], 2, v[8:9]
	v_add_u32_e32 v10, s7, v8
	v_mov_b32_e32 v9, s5
	v_add_co_u32_e32 v6, vcc, s4, v6
	v_ashrrev_i32_e32 v11, 31, v10
	v_addc_co_u32_e32 v7, vcc, v9, v7, vcc
	v_lshlrev_b64 v[8:9], 2, v[10:11]
	;; [unrolled: 6-line block ×14, first 2 shown]
	v_mov_b32_e32 v35, s5
	v_add_co_u32_e32 v32, vcc, s4, v32
	v_add_u32_e32 v34, s7, v34
	v_addc_co_u32_e32 v33, vcc, v35, v33, vcc
	v_ashrrev_i32_e32 v35, 31, v34
	v_lshlrev_b64 v[34:35], 2, v[34:35]
	global_load_dword v36, v1, s[4:5]
	v_mov_b32_e32 v44, s5
	v_add_co_u32_e32 v34, vcc, s4, v34
	global_load_dword v37, v[4:5], off
	global_load_dword v38, v[6:7], off
	;; [unrolled: 1-line block ×11, first 2 shown]
	v_addc_co_u32_e32 v35, vcc, v44, v35, vcc
	global_load_dword v49, v[26:27], off
	global_load_dword v50, v[28:29], off
	;; [unrolled: 1-line block ×5, first 2 shown]
	s_cmpk_lg_i32 s13, 0x84
	s_waitcnt vmcnt(16)
	buffer_store_dword v36, off, s[0:3], 0
	s_waitcnt vmcnt(16)
	buffer_store_dword v37, off, s[0:3], 0 offset:4
	v_mov_b32_e32 v44, 0
	s_cselect_b64 s[10:11], -1, 0
	s_cmpk_eq_i32 s13, 0x84
	v_mov_b32_e32 v36, -1.0
	s_waitcnt vmcnt(16)
	buffer_store_dword v38, off, s[0:3], 0 offset:8
	s_waitcnt vmcnt(16)
	buffer_store_dword v39, off, s[0:3], 0 offset:12
	;; [unrolled: 2-line block ×9, first 2 shown]
	buffer_store_dword v47, off, s[0:3], 0 offset:40
	s_waitcnt vmcnt(16)
	buffer_store_dword v49, off, s[0:3], 0 offset:48
	s_waitcnt vmcnt(16)
	;; [unrolled: 2-line block ×5, first 2 shown]
	buffer_store_dword v53, off, s[0:3], 0 offset:64
	s_cbranch_scc1 .LBB80_3
; %bb.2:
	v_lshl_add_u32 v36, v0, 2, v44
	buffer_load_dword v37, v36, s[0:3], 0 offen
	s_waitcnt vmcnt(0)
	v_div_scale_f32 v38, s[4:5], v37, v37, 1.0
	v_rcp_f32_e32 v39, v38
	v_div_scale_f32 v40, vcc, 1.0, v37, 1.0
	v_fma_f32 v41, -v38, v39, 1.0
	v_fmac_f32_e32 v39, v41, v39
	v_mul_f32_e32 v41, v40, v39
	v_fma_f32 v42, -v38, v41, v40
	v_fmac_f32_e32 v41, v42, v39
	v_fma_f32 v38, -v38, v41, v40
	v_div_fmas_f32 v38, v38, v39, v41
	v_div_fixup_f32 v37, v38, v37, 1.0
	buffer_store_dword v37, v36, s[0:3], 0 offen
	v_xor_b32_e32 v36, 0x80000000, v37
.LBB80_3:
	ds_write_b32 v1, v36
	s_cmpk_eq_i32 s12, 0x79
	v_add_u32_e32 v36, 0x50, v1
	v_add_u32_e32 v37, 0, v1
	s_mov_b64 s[4:5], -1
	s_cbranch_scc1 .LBB80_157
; %bb.4:
	buffer_load_dword v38, off, s[0:3], 0 offset:60
	v_cmp_eq_u32_e64 s[4:5], 16, v0
	s_waitcnt vmcnt(0)
	ds_write_b32 v36, v38
	s_waitcnt lgkmcnt(0)
	; wave barrier
	s_waitcnt lgkmcnt(0)
	s_and_saveexec_b64 s[6:7], s[4:5]
	s_cbranch_execz .LBB80_10
; %bb.5:
	s_and_b64 vcc, exec, s[10:11]
	s_cbranch_vccz .LBB80_7
; %bb.6:
	buffer_load_dword v38, v37, s[0:3], 0 offen
	ds_read_b32 v39, v36
	s_waitcnt vmcnt(0) lgkmcnt(0)
	v_mul_f32_e32 v38, v38, v39
	s_cbranch_execz .LBB80_8
	s_branch .LBB80_9
.LBB80_7:
                                        ; implicit-def: $vgpr38
.LBB80_8:
	ds_read_b32 v38, v36
.LBB80_9:
	v_mov_b32_e32 v39, 0
	ds_read_b32 v39, v39 offset:60
	s_waitcnt lgkmcnt(0)
	v_mul_f32_e32 v38, v38, v39
	buffer_store_dword v38, off, s[0:3], 0 offset:60
.LBB80_10:
	s_or_b64 exec, exec, s[6:7]
	buffer_load_dword v45, off, s[0:3], 0 offset:56
	v_or_b32_e32 v38, 8, v44
	v_add_u32_e32 v39, 16, v44
	v_add_u32_e32 v40, 24, v44
	;; [unrolled: 1-line block ×6, first 2 shown]
	v_cmp_lt_u32_e64 s[8:9], 14, v0
	s_waitcnt vmcnt(0)
	ds_write_b32 v36, v45
	s_waitcnt lgkmcnt(0)
	; wave barrier
	s_waitcnt lgkmcnt(0)
	s_and_saveexec_b64 s[6:7], s[8:9]
	s_cbranch_execz .LBB80_16
; %bb.11:
	s_andn2_b64 vcc, exec, s[10:11]
	s_cbranch_vccnz .LBB80_13
; %bb.12:
	buffer_load_dword v45, v37, s[0:3], 0 offen
	ds_read_b32 v46, v36
	s_waitcnt vmcnt(0) lgkmcnt(0)
	v_mul_f32_e32 v45, v45, v46
	s_cbranch_execz .LBB80_14
	s_branch .LBB80_15
.LBB80_13:
                                        ; implicit-def: $vgpr45
.LBB80_14:
	ds_read_b32 v45, v36
.LBB80_15:
	buffer_load_dword v48, off, s[0:3], 0 offset:60
	v_mov_b32_e32 v46, 0
	ds_read2_b32 v[46:47], v46 offset0:14 offset1:35
	s_waitcnt vmcnt(0) lgkmcnt(0)
	v_fma_f32 v47, v48, v47, v45
	v_cndmask_b32_e64 v45, v45, v47, s[4:5]
	v_mul_f32_e32 v45, v45, v46
	buffer_store_dword v45, off, s[0:3], 0 offset:56
.LBB80_16:
	s_or_b64 exec, exec, s[6:7]
	buffer_load_dword v45, off, s[0:3], 0 offset:52
	v_cmp_lt_u32_e64 s[6:7], 13, v0
	s_waitcnt vmcnt(0)
	ds_write_b32 v36, v45
	s_waitcnt lgkmcnt(0)
	; wave barrier
	s_waitcnt lgkmcnt(0)
	s_and_saveexec_b64 s[4:5], s[6:7]
	s_cbranch_execz .LBB80_26
; %bb.17:
	s_andn2_b64 vcc, exec, s[10:11]
	s_cbranch_vccnz .LBB80_19
; %bb.18:
	buffer_load_dword v45, v37, s[0:3], 0 offen
	ds_read_b32 v46, v36
	s_waitcnt vmcnt(0) lgkmcnt(0)
	v_mul_f32_e32 v45, v45, v46
	s_cbranch_execz .LBB80_20
	s_branch .LBB80_21
.LBB80_19:
                                        ; implicit-def: $vgpr45
.LBB80_20:
	ds_read_b32 v45, v36
.LBB80_21:
	s_and_saveexec_b64 s[12:13], s[8:9]
	s_cbranch_execz .LBB80_25
; %bb.22:
	v_add_u32_e32 v46, -14, v0
	s_movk_i32 s14, 0x88
	s_mov_b64 s[8:9], 0
.LBB80_23:                              ; =>This Inner Loop Header: Depth=1
	buffer_load_dword v47, v44, s[0:3], 0 offen
	v_mov_b32_e32 v48, s14
	ds_read_b32 v48, v48
	v_add_u32_e32 v46, -1, v46
	s_add_i32 s14, s14, 4
	v_cmp_eq_u32_e32 vcc, 0, v46
	v_add_u32_e32 v44, 4, v44
	s_or_b64 s[8:9], vcc, s[8:9]
	s_waitcnt vmcnt(0) lgkmcnt(0)
	v_fmac_f32_e32 v45, v47, v48
	s_andn2_b64 exec, exec, s[8:9]
	s_cbranch_execnz .LBB80_23
; %bb.24:
	s_or_b64 exec, exec, s[8:9]
.LBB80_25:
	s_or_b64 exec, exec, s[12:13]
	v_mov_b32_e32 v44, 0
	ds_read_b32 v44, v44 offset:52
	s_waitcnt lgkmcnt(0)
	v_mul_f32_e32 v44, v45, v44
	buffer_store_dword v44, off, s[0:3], 0 offset:52
.LBB80_26:
	s_or_b64 exec, exec, s[4:5]
	buffer_load_dword v44, off, s[0:3], 0 offset:48
	v_cmp_lt_u32_e64 s[4:5], 12, v0
	s_waitcnt vmcnt(0)
	ds_write_b32 v36, v44
	s_waitcnt lgkmcnt(0)
	; wave barrier
	s_waitcnt lgkmcnt(0)
	s_and_saveexec_b64 s[8:9], s[4:5]
	s_cbranch_execz .LBB80_36
; %bb.27:
	s_andn2_b64 vcc, exec, s[10:11]
	s_cbranch_vccnz .LBB80_29
; %bb.28:
	buffer_load_dword v44, v37, s[0:3], 0 offen
	ds_read_b32 v45, v36
	s_waitcnt vmcnt(0) lgkmcnt(0)
	v_mul_f32_e32 v44, v44, v45
	s_cbranch_execz .LBB80_30
	s_branch .LBB80_31
.LBB80_29:
                                        ; implicit-def: $vgpr44
.LBB80_30:
	ds_read_b32 v44, v36
.LBB80_31:
	s_and_saveexec_b64 s[12:13], s[6:7]
	s_cbranch_execz .LBB80_35
; %bb.32:
	v_mov_b32_e32 v45, 0
	v_add_u32_e32 v45, 52, v45
	v_add_u32_e32 v46, -13, v0
	s_movk_i32 s14, 0x84
	s_mov_b64 s[6:7], 0
.LBB80_33:                              ; =>This Inner Loop Header: Depth=1
	buffer_load_dword v47, v45, s[0:3], 0 offen
	v_mov_b32_e32 v48, s14
	ds_read_b32 v48, v48
	v_add_u32_e32 v46, -1, v46
	s_add_i32 s14, s14, 4
	v_cmp_eq_u32_e32 vcc, 0, v46
	v_add_u32_e32 v45, 4, v45
	s_or_b64 s[6:7], vcc, s[6:7]
	s_waitcnt vmcnt(0) lgkmcnt(0)
	v_fmac_f32_e32 v44, v47, v48
	s_andn2_b64 exec, exec, s[6:7]
	s_cbranch_execnz .LBB80_33
; %bb.34:
	s_or_b64 exec, exec, s[6:7]
.LBB80_35:
	s_or_b64 exec, exec, s[12:13]
	v_mov_b32_e32 v45, 0
	ds_read_b32 v45, v45 offset:48
	s_waitcnt lgkmcnt(0)
	v_mul_f32_e32 v44, v44, v45
	buffer_store_dword v44, off, s[0:3], 0 offset:48
.LBB80_36:
	s_or_b64 exec, exec, s[8:9]
	buffer_load_dword v44, off, s[0:3], 0 offset:44
	v_cmp_lt_u32_e64 s[6:7], 11, v0
	s_waitcnt vmcnt(0)
	ds_write_b32 v36, v44
	s_waitcnt lgkmcnt(0)
	; wave barrier
	s_waitcnt lgkmcnt(0)
	s_and_saveexec_b64 s[8:9], s[6:7]
	s_cbranch_execz .LBB80_46
; %bb.37:
	s_andn2_b64 vcc, exec, s[10:11]
	s_cbranch_vccnz .LBB80_39
; %bb.38:
	buffer_load_dword v44, v37, s[0:3], 0 offen
	ds_read_b32 v45, v36
	s_waitcnt vmcnt(0) lgkmcnt(0)
	v_mul_f32_e32 v44, v44, v45
	s_cbranch_execz .LBB80_40
	s_branch .LBB80_41
.LBB80_39:
                                        ; implicit-def: $vgpr44
.LBB80_40:
	ds_read_b32 v44, v36
.LBB80_41:
	s_and_saveexec_b64 s[12:13], s[4:5]
	s_cbranch_execz .LBB80_45
; %bb.42:
	v_add_u32_e32 v45, -12, v0
	s_movk_i32 s14, 0x80
	s_mov_b64 s[4:5], 0
.LBB80_43:                              ; =>This Inner Loop Header: Depth=1
	buffer_load_dword v46, v43, s[0:3], 0 offen
	v_mov_b32_e32 v47, s14
	ds_read_b32 v47, v47
	v_add_u32_e32 v45, -1, v45
	s_add_i32 s14, s14, 4
	v_cmp_eq_u32_e32 vcc, 0, v45
	v_add_u32_e32 v43, 4, v43
	s_or_b64 s[4:5], vcc, s[4:5]
	s_waitcnt vmcnt(0) lgkmcnt(0)
	v_fmac_f32_e32 v44, v46, v47
	s_andn2_b64 exec, exec, s[4:5]
	s_cbranch_execnz .LBB80_43
; %bb.44:
	s_or_b64 exec, exec, s[4:5]
.LBB80_45:
	s_or_b64 exec, exec, s[12:13]
	v_mov_b32_e32 v43, 0
	ds_read_b32 v43, v43 offset:44
	s_waitcnt lgkmcnt(0)
	v_mul_f32_e32 v43, v44, v43
	buffer_store_dword v43, off, s[0:3], 0 offset:44
.LBB80_46:
	s_or_b64 exec, exec, s[8:9]
	buffer_load_dword v43, off, s[0:3], 0 offset:40
	v_cmp_lt_u32_e64 s[4:5], 10, v0
	s_waitcnt vmcnt(0)
	ds_write_b32 v36, v43
	s_waitcnt lgkmcnt(0)
	; wave barrier
	s_waitcnt lgkmcnt(0)
	s_and_saveexec_b64 s[8:9], s[4:5]
	s_cbranch_execz .LBB80_56
; %bb.47:
	s_andn2_b64 vcc, exec, s[10:11]
	s_cbranch_vccnz .LBB80_49
; %bb.48:
	buffer_load_dword v43, v37, s[0:3], 0 offen
	ds_read_b32 v44, v36
	s_waitcnt vmcnt(0) lgkmcnt(0)
	v_mul_f32_e32 v43, v43, v44
	s_cbranch_execz .LBB80_50
	s_branch .LBB80_51
.LBB80_49:
                                        ; implicit-def: $vgpr43
.LBB80_50:
	ds_read_b32 v43, v36
.LBB80_51:
	s_and_saveexec_b64 s[12:13], s[6:7]
	s_cbranch_execz .LBB80_55
; %bb.52:
	v_mov_b32_e32 v44, 0
	v_add_u32_e32 v44, 44, v44
	v_add_u32_e32 v45, -11, v0
	s_movk_i32 s14, 0x7c
	s_mov_b64 s[6:7], 0
.LBB80_53:                              ; =>This Inner Loop Header: Depth=1
	buffer_load_dword v46, v44, s[0:3], 0 offen
	v_mov_b32_e32 v47, s14
	ds_read_b32 v47, v47
	v_add_u32_e32 v45, -1, v45
	s_add_i32 s14, s14, 4
	v_cmp_eq_u32_e32 vcc, 0, v45
	v_add_u32_e32 v44, 4, v44
	s_or_b64 s[6:7], vcc, s[6:7]
	s_waitcnt vmcnt(0) lgkmcnt(0)
	v_fmac_f32_e32 v43, v46, v47
	s_andn2_b64 exec, exec, s[6:7]
	s_cbranch_execnz .LBB80_53
; %bb.54:
	s_or_b64 exec, exec, s[6:7]
.LBB80_55:
	s_or_b64 exec, exec, s[12:13]
	v_mov_b32_e32 v44, 0
	ds_read_b32 v44, v44 offset:40
	s_waitcnt lgkmcnt(0)
	v_mul_f32_e32 v43, v43, v44
	buffer_store_dword v43, off, s[0:3], 0 offset:40
.LBB80_56:
	s_or_b64 exec, exec, s[8:9]
	buffer_load_dword v43, off, s[0:3], 0 offset:36
	v_cmp_lt_u32_e64 s[6:7], 9, v0
	s_waitcnt vmcnt(0)
	ds_write_b32 v36, v43
	s_waitcnt lgkmcnt(0)
	; wave barrier
	s_waitcnt lgkmcnt(0)
	s_and_saveexec_b64 s[8:9], s[6:7]
	s_cbranch_execz .LBB80_66
; %bb.57:
	s_andn2_b64 vcc, exec, s[10:11]
	s_cbranch_vccnz .LBB80_59
; %bb.58:
	buffer_load_dword v43, v37, s[0:3], 0 offen
	ds_read_b32 v44, v36
	s_waitcnt vmcnt(0) lgkmcnt(0)
	v_mul_f32_e32 v43, v43, v44
	s_cbranch_execz .LBB80_60
	s_branch .LBB80_61
.LBB80_59:
                                        ; implicit-def: $vgpr43
.LBB80_60:
	ds_read_b32 v43, v36
.LBB80_61:
	s_and_saveexec_b64 s[12:13], s[4:5]
	s_cbranch_execz .LBB80_65
; %bb.62:
	v_add_u32_e32 v44, -10, v0
	s_movk_i32 s14, 0x78
	s_mov_b64 s[4:5], 0
.LBB80_63:                              ; =>This Inner Loop Header: Depth=1
	buffer_load_dword v45, v42, s[0:3], 0 offen
	v_mov_b32_e32 v46, s14
	ds_read_b32 v46, v46
	v_add_u32_e32 v44, -1, v44
	s_add_i32 s14, s14, 4
	v_cmp_eq_u32_e32 vcc, 0, v44
	v_add_u32_e32 v42, 4, v42
	s_or_b64 s[4:5], vcc, s[4:5]
	s_waitcnt vmcnt(0) lgkmcnt(0)
	v_fmac_f32_e32 v43, v45, v46
	s_andn2_b64 exec, exec, s[4:5]
	s_cbranch_execnz .LBB80_63
; %bb.64:
	s_or_b64 exec, exec, s[4:5]
.LBB80_65:
	s_or_b64 exec, exec, s[12:13]
	v_mov_b32_e32 v42, 0
	ds_read_b32 v42, v42 offset:36
	s_waitcnt lgkmcnt(0)
	v_mul_f32_e32 v42, v43, v42
	buffer_store_dword v42, off, s[0:3], 0 offset:36
.LBB80_66:
	s_or_b64 exec, exec, s[8:9]
	buffer_load_dword v42, off, s[0:3], 0 offset:32
	v_cmp_lt_u32_e64 s[4:5], 8, v0
	s_waitcnt vmcnt(0)
	ds_write_b32 v36, v42
	s_waitcnt lgkmcnt(0)
	; wave barrier
	s_waitcnt lgkmcnt(0)
	s_and_saveexec_b64 s[8:9], s[4:5]
	s_cbranch_execz .LBB80_76
; %bb.67:
	s_andn2_b64 vcc, exec, s[10:11]
	s_cbranch_vccnz .LBB80_69
; %bb.68:
	buffer_load_dword v42, v37, s[0:3], 0 offen
	ds_read_b32 v43, v36
	s_waitcnt vmcnt(0) lgkmcnt(0)
	v_mul_f32_e32 v42, v42, v43
	s_cbranch_execz .LBB80_70
	s_branch .LBB80_71
.LBB80_69:
                                        ; implicit-def: $vgpr42
.LBB80_70:
	ds_read_b32 v42, v36
.LBB80_71:
	s_and_saveexec_b64 s[12:13], s[6:7]
	s_cbranch_execz .LBB80_75
; %bb.72:
	v_mov_b32_e32 v43, 0
	v_add_u32_e32 v43, 36, v43
	v_add_u32_e32 v44, -9, v0
	s_movk_i32 s14, 0x74
	s_mov_b64 s[6:7], 0
.LBB80_73:                              ; =>This Inner Loop Header: Depth=1
	buffer_load_dword v45, v43, s[0:3], 0 offen
	v_mov_b32_e32 v46, s14
	ds_read_b32 v46, v46
	v_add_u32_e32 v44, -1, v44
	s_add_i32 s14, s14, 4
	v_cmp_eq_u32_e32 vcc, 0, v44
	v_add_u32_e32 v43, 4, v43
	s_or_b64 s[6:7], vcc, s[6:7]
	s_waitcnt vmcnt(0) lgkmcnt(0)
	v_fmac_f32_e32 v42, v45, v46
	s_andn2_b64 exec, exec, s[6:7]
	s_cbranch_execnz .LBB80_73
; %bb.74:
	s_or_b64 exec, exec, s[6:7]
.LBB80_75:
	s_or_b64 exec, exec, s[12:13]
	v_mov_b32_e32 v43, 0
	ds_read_b32 v43, v43 offset:32
	s_waitcnt lgkmcnt(0)
	v_mul_f32_e32 v42, v42, v43
	buffer_store_dword v42, off, s[0:3], 0 offset:32
.LBB80_76:
	s_or_b64 exec, exec, s[8:9]
	buffer_load_dword v42, off, s[0:3], 0 offset:28
	v_cmp_lt_u32_e64 s[6:7], 7, v0
	s_waitcnt vmcnt(0)
	ds_write_b32 v36, v42
	s_waitcnt lgkmcnt(0)
	; wave barrier
	s_waitcnt lgkmcnt(0)
	s_and_saveexec_b64 s[8:9], s[6:7]
	s_cbranch_execz .LBB80_86
; %bb.77:
	s_andn2_b64 vcc, exec, s[10:11]
	s_cbranch_vccnz .LBB80_79
; %bb.78:
	buffer_load_dword v42, v37, s[0:3], 0 offen
	ds_read_b32 v43, v36
	s_waitcnt vmcnt(0) lgkmcnt(0)
	v_mul_f32_e32 v42, v42, v43
	s_cbranch_execz .LBB80_80
	s_branch .LBB80_81
.LBB80_79:
                                        ; implicit-def: $vgpr42
.LBB80_80:
	ds_read_b32 v42, v36
.LBB80_81:
	s_and_saveexec_b64 s[12:13], s[4:5]
	s_cbranch_execz .LBB80_85
; %bb.82:
	v_add_u32_e32 v43, -8, v0
	s_movk_i32 s14, 0x70
	s_mov_b64 s[4:5], 0
.LBB80_83:                              ; =>This Inner Loop Header: Depth=1
	buffer_load_dword v44, v41, s[0:3], 0 offen
	v_mov_b32_e32 v45, s14
	ds_read_b32 v45, v45
	v_add_u32_e32 v43, -1, v43
	s_add_i32 s14, s14, 4
	v_cmp_eq_u32_e32 vcc, 0, v43
	v_add_u32_e32 v41, 4, v41
	s_or_b64 s[4:5], vcc, s[4:5]
	s_waitcnt vmcnt(0) lgkmcnt(0)
	v_fmac_f32_e32 v42, v44, v45
	s_andn2_b64 exec, exec, s[4:5]
	s_cbranch_execnz .LBB80_83
; %bb.84:
	s_or_b64 exec, exec, s[4:5]
.LBB80_85:
	s_or_b64 exec, exec, s[12:13]
	v_mov_b32_e32 v41, 0
	ds_read_b32 v41, v41 offset:28
	s_waitcnt lgkmcnt(0)
	v_mul_f32_e32 v41, v42, v41
	buffer_store_dword v41, off, s[0:3], 0 offset:28
.LBB80_86:
	s_or_b64 exec, exec, s[8:9]
	buffer_load_dword v41, off, s[0:3], 0 offset:24
	v_cmp_lt_u32_e64 s[4:5], 6, v0
	s_waitcnt vmcnt(0)
	ds_write_b32 v36, v41
	s_waitcnt lgkmcnt(0)
	; wave barrier
	s_waitcnt lgkmcnt(0)
	s_and_saveexec_b64 s[8:9], s[4:5]
	s_cbranch_execz .LBB80_96
; %bb.87:
	s_andn2_b64 vcc, exec, s[10:11]
	s_cbranch_vccnz .LBB80_89
; %bb.88:
	buffer_load_dword v41, v37, s[0:3], 0 offen
	ds_read_b32 v42, v36
	s_waitcnt vmcnt(0) lgkmcnt(0)
	v_mul_f32_e32 v41, v41, v42
	s_cbranch_execz .LBB80_90
	s_branch .LBB80_91
.LBB80_89:
                                        ; implicit-def: $vgpr41
.LBB80_90:
	ds_read_b32 v41, v36
.LBB80_91:
	s_and_saveexec_b64 s[12:13], s[6:7]
	s_cbranch_execz .LBB80_95
; %bb.92:
	v_mov_b32_e32 v42, 0
	v_add_u32_e32 v42, 28, v42
	v_add_u32_e32 v43, -7, v0
	s_movk_i32 s14, 0x6c
	s_mov_b64 s[6:7], 0
.LBB80_93:                              ; =>This Inner Loop Header: Depth=1
	buffer_load_dword v44, v42, s[0:3], 0 offen
	v_mov_b32_e32 v45, s14
	ds_read_b32 v45, v45
	v_add_u32_e32 v43, -1, v43
	s_add_i32 s14, s14, 4
	v_cmp_eq_u32_e32 vcc, 0, v43
	v_add_u32_e32 v42, 4, v42
	s_or_b64 s[6:7], vcc, s[6:7]
	s_waitcnt vmcnt(0) lgkmcnt(0)
	v_fmac_f32_e32 v41, v44, v45
	s_andn2_b64 exec, exec, s[6:7]
	s_cbranch_execnz .LBB80_93
; %bb.94:
	s_or_b64 exec, exec, s[6:7]
.LBB80_95:
	s_or_b64 exec, exec, s[12:13]
	v_mov_b32_e32 v42, 0
	ds_read_b32 v42, v42 offset:24
	s_waitcnt lgkmcnt(0)
	v_mul_f32_e32 v41, v41, v42
	buffer_store_dword v41, off, s[0:3], 0 offset:24
.LBB80_96:
	s_or_b64 exec, exec, s[8:9]
	buffer_load_dword v41, off, s[0:3], 0 offset:20
	v_cmp_lt_u32_e64 s[6:7], 5, v0
	s_waitcnt vmcnt(0)
	ds_write_b32 v36, v41
	s_waitcnt lgkmcnt(0)
	; wave barrier
	s_waitcnt lgkmcnt(0)
	s_and_saveexec_b64 s[8:9], s[6:7]
	s_cbranch_execz .LBB80_106
; %bb.97:
	s_andn2_b64 vcc, exec, s[10:11]
	s_cbranch_vccnz .LBB80_99
; %bb.98:
	buffer_load_dword v41, v37, s[0:3], 0 offen
	ds_read_b32 v42, v36
	s_waitcnt vmcnt(0) lgkmcnt(0)
	v_mul_f32_e32 v41, v41, v42
	s_cbranch_execz .LBB80_100
	s_branch .LBB80_101
.LBB80_99:
                                        ; implicit-def: $vgpr41
.LBB80_100:
	ds_read_b32 v41, v36
.LBB80_101:
	s_and_saveexec_b64 s[12:13], s[4:5]
	s_cbranch_execz .LBB80_105
; %bb.102:
	v_add_u32_e32 v42, -6, v0
	s_movk_i32 s14, 0x68
	s_mov_b64 s[4:5], 0
.LBB80_103:                             ; =>This Inner Loop Header: Depth=1
	buffer_load_dword v43, v40, s[0:3], 0 offen
	v_mov_b32_e32 v44, s14
	ds_read_b32 v44, v44
	v_add_u32_e32 v42, -1, v42
	s_add_i32 s14, s14, 4
	v_cmp_eq_u32_e32 vcc, 0, v42
	v_add_u32_e32 v40, 4, v40
	s_or_b64 s[4:5], vcc, s[4:5]
	s_waitcnt vmcnt(0) lgkmcnt(0)
	v_fmac_f32_e32 v41, v43, v44
	s_andn2_b64 exec, exec, s[4:5]
	s_cbranch_execnz .LBB80_103
; %bb.104:
	s_or_b64 exec, exec, s[4:5]
.LBB80_105:
	s_or_b64 exec, exec, s[12:13]
	v_mov_b32_e32 v40, 0
	ds_read_b32 v40, v40 offset:20
	s_waitcnt lgkmcnt(0)
	v_mul_f32_e32 v40, v41, v40
	buffer_store_dword v40, off, s[0:3], 0 offset:20
.LBB80_106:
	s_or_b64 exec, exec, s[8:9]
	buffer_load_dword v40, off, s[0:3], 0 offset:16
	v_cmp_lt_u32_e64 s[4:5], 4, v0
	s_waitcnt vmcnt(0)
	ds_write_b32 v36, v40
	s_waitcnt lgkmcnt(0)
	; wave barrier
	s_waitcnt lgkmcnt(0)
	s_and_saveexec_b64 s[8:9], s[4:5]
	s_cbranch_execz .LBB80_116
; %bb.107:
	s_andn2_b64 vcc, exec, s[10:11]
	s_cbranch_vccnz .LBB80_109
; %bb.108:
	buffer_load_dword v40, v37, s[0:3], 0 offen
	ds_read_b32 v41, v36
	s_waitcnt vmcnt(0) lgkmcnt(0)
	v_mul_f32_e32 v40, v40, v41
	s_cbranch_execz .LBB80_110
	s_branch .LBB80_111
.LBB80_109:
                                        ; implicit-def: $vgpr40
.LBB80_110:
	ds_read_b32 v40, v36
.LBB80_111:
	s_and_saveexec_b64 s[12:13], s[6:7]
	s_cbranch_execz .LBB80_115
; %bb.112:
	v_mov_b32_e32 v41, 0
	v_add_u32_e32 v41, 20, v41
	v_add_u32_e32 v42, -5, v0
	s_movk_i32 s14, 0x64
	s_mov_b64 s[6:7], 0
.LBB80_113:                             ; =>This Inner Loop Header: Depth=1
	buffer_load_dword v43, v41, s[0:3], 0 offen
	v_mov_b32_e32 v44, s14
	ds_read_b32 v44, v44
	v_add_u32_e32 v42, -1, v42
	s_add_i32 s14, s14, 4
	v_cmp_eq_u32_e32 vcc, 0, v42
	v_add_u32_e32 v41, 4, v41
	s_or_b64 s[6:7], vcc, s[6:7]
	s_waitcnt vmcnt(0) lgkmcnt(0)
	v_fmac_f32_e32 v40, v43, v44
	s_andn2_b64 exec, exec, s[6:7]
	s_cbranch_execnz .LBB80_113
; %bb.114:
	s_or_b64 exec, exec, s[6:7]
.LBB80_115:
	s_or_b64 exec, exec, s[12:13]
	v_mov_b32_e32 v41, 0
	ds_read_b32 v41, v41 offset:16
	s_waitcnt lgkmcnt(0)
	v_mul_f32_e32 v40, v40, v41
	buffer_store_dword v40, off, s[0:3], 0 offset:16
.LBB80_116:
	s_or_b64 exec, exec, s[8:9]
	buffer_load_dword v40, off, s[0:3], 0 offset:12
	v_cmp_lt_u32_e64 s[6:7], 3, v0
	s_waitcnt vmcnt(0)
	ds_write_b32 v36, v40
	s_waitcnt lgkmcnt(0)
	; wave barrier
	s_waitcnt lgkmcnt(0)
	s_and_saveexec_b64 s[8:9], s[6:7]
	s_cbranch_execz .LBB80_126
; %bb.117:
	s_andn2_b64 vcc, exec, s[10:11]
	s_cbranch_vccnz .LBB80_119
; %bb.118:
	buffer_load_dword v40, v37, s[0:3], 0 offen
	ds_read_b32 v41, v36
	s_waitcnt vmcnt(0) lgkmcnt(0)
	v_mul_f32_e32 v40, v40, v41
	s_cbranch_execz .LBB80_120
	s_branch .LBB80_121
.LBB80_119:
                                        ; implicit-def: $vgpr40
.LBB80_120:
	ds_read_b32 v40, v36
.LBB80_121:
	s_and_saveexec_b64 s[12:13], s[4:5]
	s_cbranch_execz .LBB80_125
; %bb.122:
	v_add_u32_e32 v41, -4, v0
	s_movk_i32 s14, 0x60
	s_mov_b64 s[4:5], 0
.LBB80_123:                             ; =>This Inner Loop Header: Depth=1
	buffer_load_dword v42, v39, s[0:3], 0 offen
	v_mov_b32_e32 v43, s14
	ds_read_b32 v43, v43
	v_add_u32_e32 v41, -1, v41
	s_add_i32 s14, s14, 4
	v_cmp_eq_u32_e32 vcc, 0, v41
	v_add_u32_e32 v39, 4, v39
	s_or_b64 s[4:5], vcc, s[4:5]
	s_waitcnt vmcnt(0) lgkmcnt(0)
	v_fmac_f32_e32 v40, v42, v43
	s_andn2_b64 exec, exec, s[4:5]
	s_cbranch_execnz .LBB80_123
; %bb.124:
	s_or_b64 exec, exec, s[4:5]
.LBB80_125:
	s_or_b64 exec, exec, s[12:13]
	v_mov_b32_e32 v39, 0
	ds_read_b32 v39, v39 offset:12
	s_waitcnt lgkmcnt(0)
	v_mul_f32_e32 v39, v40, v39
	buffer_store_dword v39, off, s[0:3], 0 offset:12
.LBB80_126:
	s_or_b64 exec, exec, s[8:9]
	buffer_load_dword v39, off, s[0:3], 0 offset:8
	v_cmp_lt_u32_e64 s[4:5], 2, v0
	s_waitcnt vmcnt(0)
	ds_write_b32 v36, v39
	s_waitcnt lgkmcnt(0)
	; wave barrier
	s_waitcnt lgkmcnt(0)
	s_and_saveexec_b64 s[8:9], s[4:5]
	s_cbranch_execz .LBB80_136
; %bb.127:
	s_andn2_b64 vcc, exec, s[10:11]
	s_cbranch_vccnz .LBB80_129
; %bb.128:
	buffer_load_dword v39, v37, s[0:3], 0 offen
	ds_read_b32 v40, v36
	s_waitcnt vmcnt(0) lgkmcnt(0)
	v_mul_f32_e32 v39, v39, v40
	s_cbranch_execz .LBB80_130
	s_branch .LBB80_131
.LBB80_129:
                                        ; implicit-def: $vgpr39
.LBB80_130:
	ds_read_b32 v39, v36
.LBB80_131:
	s_and_saveexec_b64 s[12:13], s[6:7]
	s_cbranch_execz .LBB80_135
; %bb.132:
	v_mov_b32_e32 v40, 0
	v_or_b32_e32 v40, 12, v40
	v_add_u32_e32 v41, -3, v0
	s_movk_i32 s14, 0x5c
	s_mov_b64 s[6:7], 0
.LBB80_133:                             ; =>This Inner Loop Header: Depth=1
	buffer_load_dword v42, v40, s[0:3], 0 offen
	v_mov_b32_e32 v43, s14
	ds_read_b32 v43, v43
	v_add_u32_e32 v41, -1, v41
	s_add_i32 s14, s14, 4
	v_cmp_eq_u32_e32 vcc, 0, v41
	v_add_u32_e32 v40, 4, v40
	s_or_b64 s[6:7], vcc, s[6:7]
	s_waitcnt vmcnt(0) lgkmcnt(0)
	v_fmac_f32_e32 v39, v42, v43
	s_andn2_b64 exec, exec, s[6:7]
	s_cbranch_execnz .LBB80_133
; %bb.134:
	s_or_b64 exec, exec, s[6:7]
.LBB80_135:
	s_or_b64 exec, exec, s[12:13]
	v_mov_b32_e32 v40, 0
	ds_read_b32 v40, v40 offset:8
	s_waitcnt lgkmcnt(0)
	v_mul_f32_e32 v39, v39, v40
	buffer_store_dword v39, off, s[0:3], 0 offset:8
.LBB80_136:
	s_or_b64 exec, exec, s[8:9]
	buffer_load_dword v39, off, s[0:3], 0 offset:4
	v_cmp_lt_u32_e64 s[6:7], 1, v0
	s_waitcnt vmcnt(0)
	ds_write_b32 v36, v39
	s_waitcnt lgkmcnt(0)
	; wave barrier
	s_waitcnt lgkmcnt(0)
	s_and_saveexec_b64 s[8:9], s[6:7]
	s_cbranch_execz .LBB80_146
; %bb.137:
	s_andn2_b64 vcc, exec, s[10:11]
	s_cbranch_vccnz .LBB80_139
; %bb.138:
	buffer_load_dword v39, v37, s[0:3], 0 offen
	ds_read_b32 v40, v36
	s_waitcnt vmcnt(0) lgkmcnt(0)
	v_mul_f32_e32 v39, v39, v40
	s_cbranch_execz .LBB80_140
	s_branch .LBB80_141
.LBB80_139:
                                        ; implicit-def: $vgpr39
.LBB80_140:
	ds_read_b32 v39, v36
.LBB80_141:
	s_and_saveexec_b64 s[12:13], s[4:5]
	s_cbranch_execz .LBB80_145
; %bb.142:
	v_add_u32_e32 v40, -2, v0
	s_movk_i32 s14, 0x58
	s_mov_b64 s[4:5], 0
.LBB80_143:                             ; =>This Inner Loop Header: Depth=1
	buffer_load_dword v41, v38, s[0:3], 0 offen
	v_mov_b32_e32 v42, s14
	ds_read_b32 v42, v42
	v_add_u32_e32 v40, -1, v40
	s_add_i32 s14, s14, 4
	v_cmp_eq_u32_e32 vcc, 0, v40
	v_add_u32_e32 v38, 4, v38
	s_or_b64 s[4:5], vcc, s[4:5]
	s_waitcnt vmcnt(0) lgkmcnt(0)
	v_fmac_f32_e32 v39, v41, v42
	s_andn2_b64 exec, exec, s[4:5]
	s_cbranch_execnz .LBB80_143
; %bb.144:
	s_or_b64 exec, exec, s[4:5]
.LBB80_145:
	s_or_b64 exec, exec, s[12:13]
	v_mov_b32_e32 v38, 0
	ds_read_b32 v38, v38 offset:4
	s_waitcnt lgkmcnt(0)
	v_mul_f32_e32 v38, v39, v38
	buffer_store_dword v38, off, s[0:3], 0 offset:4
.LBB80_146:
	s_or_b64 exec, exec, s[8:9]
	buffer_load_dword v38, off, s[0:3], 0
	v_cmp_ne_u32_e32 vcc, 0, v0
	s_waitcnt vmcnt(0)
	ds_write_b32 v36, v38
	s_waitcnt lgkmcnt(0)
	; wave barrier
	s_waitcnt lgkmcnt(0)
	s_and_saveexec_b64 s[4:5], vcc
	s_cbranch_execz .LBB80_156
; %bb.147:
	s_andn2_b64 vcc, exec, s[10:11]
	s_cbranch_vccnz .LBB80_149
; %bb.148:
	buffer_load_dword v38, v37, s[0:3], 0 offen
	ds_read_b32 v39, v36
	s_waitcnt vmcnt(0) lgkmcnt(0)
	v_mul_f32_e32 v38, v38, v39
	s_cbranch_execz .LBB80_150
	s_branch .LBB80_151
.LBB80_149:
                                        ; implicit-def: $vgpr38
.LBB80_150:
	ds_read_b32 v38, v36
.LBB80_151:
	s_and_saveexec_b64 s[8:9], s[6:7]
	s_cbranch_execz .LBB80_155
; %bb.152:
	v_mov_b32_e32 v39, 0
	v_or_b32_e32 v39, 4, v39
	v_add_u32_e32 v40, -1, v0
	s_movk_i32 s12, 0x54
	s_mov_b64 s[6:7], 0
.LBB80_153:                             ; =>This Inner Loop Header: Depth=1
	buffer_load_dword v41, v39, s[0:3], 0 offen
	v_mov_b32_e32 v42, s12
	ds_read_b32 v42, v42
	v_add_u32_e32 v40, -1, v40
	s_add_i32 s12, s12, 4
	v_cmp_eq_u32_e32 vcc, 0, v40
	v_add_u32_e32 v39, 4, v39
	s_or_b64 s[6:7], vcc, s[6:7]
	s_waitcnt vmcnt(0) lgkmcnt(0)
	v_fmac_f32_e32 v38, v41, v42
	s_andn2_b64 exec, exec, s[6:7]
	s_cbranch_execnz .LBB80_153
; %bb.154:
	s_or_b64 exec, exec, s[6:7]
.LBB80_155:
	s_or_b64 exec, exec, s[8:9]
	v_mov_b32_e32 v39, 0
	ds_read_b32 v39, v39
	s_waitcnt lgkmcnt(0)
	v_mul_f32_e32 v38, v38, v39
	buffer_store_dword v38, off, s[0:3], 0
.LBB80_156:
	s_or_b64 exec, exec, s[4:5]
	s_mov_b64 s[4:5], 0
.LBB80_157:
	s_and_b64 vcc, exec, s[4:5]
	s_cbranch_vccz .LBB80_311
; %bb.158:
	buffer_load_dword v38, off, s[0:3], 0 offset:4
	v_cmp_eq_u32_e64 s[6:7], 0, v0
	s_waitcnt vmcnt(0)
	ds_write_b32 v36, v38
	s_waitcnt lgkmcnt(0)
	; wave barrier
	s_waitcnt lgkmcnt(0)
	s_and_saveexec_b64 s[4:5], s[6:7]
	s_cbranch_execz .LBB80_164
; %bb.159:
	s_and_b64 vcc, exec, s[10:11]
	s_cbranch_vccz .LBB80_161
; %bb.160:
	buffer_load_dword v38, v37, s[0:3], 0 offen
	ds_read_b32 v39, v36
	s_waitcnt vmcnt(0) lgkmcnt(0)
	v_mul_f32_e32 v38, v38, v39
	s_cbranch_execz .LBB80_162
	s_branch .LBB80_163
.LBB80_161:
                                        ; implicit-def: $vgpr38
.LBB80_162:
	ds_read_b32 v38, v36
.LBB80_163:
	v_mov_b32_e32 v39, 0
	ds_read_b32 v39, v39 offset:4
	s_waitcnt lgkmcnt(0)
	v_mul_f32_e32 v38, v38, v39
	buffer_store_dword v38, off, s[0:3], 0 offset:4
.LBB80_164:
	s_or_b64 exec, exec, s[4:5]
	buffer_load_dword v38, off, s[0:3], 0 offset:8
	v_cndmask_b32_e64 v39, 0, 1, s[10:11]
	v_cmp_gt_u32_e32 vcc, 2, v0
	v_cmp_ne_u32_e64 s[4:5], 1, v39
	s_waitcnt vmcnt(0)
	ds_write_b32 v36, v38
	s_waitcnt lgkmcnt(0)
	; wave barrier
	s_waitcnt lgkmcnt(0)
	s_and_saveexec_b64 s[8:9], vcc
	s_cbranch_execz .LBB80_172
; %bb.165:
	s_and_b64 vcc, exec, s[4:5]
	s_cbranch_vccnz .LBB80_167
; %bb.166:
	buffer_load_dword v38, v37, s[0:3], 0 offen
	ds_read_b32 v39, v36
	s_waitcnt vmcnt(0) lgkmcnt(0)
	v_mul_f32_e32 v38, v38, v39
	s_cbranch_execz .LBB80_168
	s_branch .LBB80_169
.LBB80_167:
                                        ; implicit-def: $vgpr38
.LBB80_168:
	ds_read_b32 v38, v36
.LBB80_169:
	s_and_saveexec_b64 s[10:11], s[6:7]
	s_cbranch_execz .LBB80_171
; %bb.170:
	buffer_load_dword v39, v37, s[0:3], 0 offen offset:4
	ds_read_b32 v40, v36 offset:4
	s_waitcnt vmcnt(0) lgkmcnt(0)
	v_fmac_f32_e32 v38, v39, v40
.LBB80_171:
	s_or_b64 exec, exec, s[10:11]
	v_mov_b32_e32 v39, 0
	ds_read_b32 v39, v39 offset:8
	s_waitcnt lgkmcnt(0)
	v_mul_f32_e32 v38, v38, v39
	buffer_store_dword v38, off, s[0:3], 0 offset:8
.LBB80_172:
	s_or_b64 exec, exec, s[8:9]
	buffer_load_dword v38, off, s[0:3], 0 offset:12
	v_cmp_gt_u32_e32 vcc, 3, v0
	s_waitcnt vmcnt(0)
	ds_write_b32 v36, v38
	s_waitcnt lgkmcnt(0)
	; wave barrier
	s_waitcnt lgkmcnt(0)
	s_and_saveexec_b64 s[8:9], vcc
	s_cbranch_execz .LBB80_180
; %bb.173:
	s_and_b64 vcc, exec, s[4:5]
	s_cbranch_vccnz .LBB80_175
; %bb.174:
	buffer_load_dword v38, v37, s[0:3], 0 offen
	ds_read_b32 v39, v36
	s_waitcnt vmcnt(0) lgkmcnt(0)
	v_mul_f32_e32 v38, v38, v39
	s_cbranch_execz .LBB80_176
	s_branch .LBB80_177
.LBB80_175:
                                        ; implicit-def: $vgpr38
.LBB80_176:
	ds_read_b32 v38, v36
.LBB80_177:
	v_cmp_ne_u32_e32 vcc, 2, v0
	s_and_saveexec_b64 s[10:11], vcc
	s_cbranch_execz .LBB80_179
; %bb.178:
	buffer_load_dword v39, v37, s[0:3], 0 offen offset:4
	buffer_load_dword v40, off, s[0:3], 0 offset:8
	v_mov_b32_e32 v41, 0
	ds_read_b32 v42, v36 offset:4
	ds_read_b32 v41, v41 offset:88
	s_waitcnt vmcnt(1) lgkmcnt(1)
	v_fmac_f32_e32 v38, v39, v42
	s_waitcnt vmcnt(0) lgkmcnt(0)
	v_fma_f32 v39, v40, v41, v38
	v_cndmask_b32_e64 v38, v38, v39, s[6:7]
.LBB80_179:
	s_or_b64 exec, exec, s[10:11]
	v_mov_b32_e32 v39, 0
	ds_read_b32 v39, v39 offset:12
	s_waitcnt lgkmcnt(0)
	v_mul_f32_e32 v38, v38, v39
	buffer_store_dword v38, off, s[0:3], 0 offset:12
.LBB80_180:
	s_or_b64 exec, exec, s[8:9]
	buffer_load_dword v38, off, s[0:3], 0 offset:16
	v_cmp_gt_u32_e32 vcc, 4, v0
	s_waitcnt vmcnt(0)
	ds_write_b32 v36, v38
	s_waitcnt lgkmcnt(0)
	; wave barrier
	s_waitcnt lgkmcnt(0)
	s_and_saveexec_b64 s[6:7], vcc
	s_cbranch_execz .LBB80_190
; %bb.181:
	s_and_b64 vcc, exec, s[4:5]
	s_cbranch_vccnz .LBB80_183
; %bb.182:
	buffer_load_dword v38, v37, s[0:3], 0 offen
	ds_read_b32 v39, v36
	s_waitcnt vmcnt(0) lgkmcnt(0)
	v_mul_f32_e32 v38, v38, v39
	s_cbranch_execz .LBB80_184
	s_branch .LBB80_185
.LBB80_183:
                                        ; implicit-def: $vgpr38
.LBB80_184:
	ds_read_b32 v38, v36
.LBB80_185:
	v_cmp_ne_u32_e32 vcc, 3, v0
	s_and_saveexec_b64 s[8:9], vcc
	s_cbranch_execz .LBB80_189
; %bb.186:
	v_mov_b32_e32 v40, 0
	v_add_u32_e32 v39, 0x54, v1
	v_add3_u32 v40, v1, v40, 4
	s_mov_b64 s[10:11], 0
	v_mov_b32_e32 v41, v0
.LBB80_187:                             ; =>This Inner Loop Header: Depth=1
	buffer_load_dword v42, v40, s[0:3], 0 offen
	ds_read_b32 v43, v39
	v_add_u32_e32 v41, 1, v41
	v_cmp_lt_u32_e32 vcc, 2, v41
	v_add_u32_e32 v39, 4, v39
	v_add_u32_e32 v40, 4, v40
	s_or_b64 s[10:11], vcc, s[10:11]
	s_waitcnt vmcnt(0) lgkmcnt(0)
	v_fmac_f32_e32 v38, v42, v43
	s_andn2_b64 exec, exec, s[10:11]
	s_cbranch_execnz .LBB80_187
; %bb.188:
	s_or_b64 exec, exec, s[10:11]
.LBB80_189:
	s_or_b64 exec, exec, s[8:9]
	v_mov_b32_e32 v39, 0
	ds_read_b32 v39, v39 offset:16
	s_waitcnt lgkmcnt(0)
	v_mul_f32_e32 v38, v38, v39
	buffer_store_dword v38, off, s[0:3], 0 offset:16
.LBB80_190:
	s_or_b64 exec, exec, s[6:7]
	buffer_load_dword v38, off, s[0:3], 0 offset:20
	v_cmp_gt_u32_e32 vcc, 5, v0
	s_waitcnt vmcnt(0)
	ds_write_b32 v36, v38
	s_waitcnt lgkmcnt(0)
	; wave barrier
	s_waitcnt lgkmcnt(0)
	s_and_saveexec_b64 s[6:7], vcc
	s_cbranch_execz .LBB80_200
; %bb.191:
	s_and_b64 vcc, exec, s[4:5]
	s_cbranch_vccnz .LBB80_193
; %bb.192:
	buffer_load_dword v38, v37, s[0:3], 0 offen
	ds_read_b32 v39, v36
	s_waitcnt vmcnt(0) lgkmcnt(0)
	v_mul_f32_e32 v38, v38, v39
	s_cbranch_execz .LBB80_194
	s_branch .LBB80_195
.LBB80_193:
                                        ; implicit-def: $vgpr38
.LBB80_194:
	ds_read_b32 v38, v36
.LBB80_195:
	v_cmp_ne_u32_e32 vcc, 4, v0
	s_and_saveexec_b64 s[8:9], vcc
	s_cbranch_execz .LBB80_199
; %bb.196:
	v_mov_b32_e32 v40, 0
	v_add_u32_e32 v39, 0x54, v1
	v_add3_u32 v40, v1, v40, 4
	s_mov_b64 s[10:11], 0
	v_mov_b32_e32 v41, v0
.LBB80_197:                             ; =>This Inner Loop Header: Depth=1
	buffer_load_dword v42, v40, s[0:3], 0 offen
	ds_read_b32 v43, v39
	v_add_u32_e32 v41, 1, v41
	v_cmp_lt_u32_e32 vcc, 3, v41
	v_add_u32_e32 v39, 4, v39
	v_add_u32_e32 v40, 4, v40
	s_or_b64 s[10:11], vcc, s[10:11]
	s_waitcnt vmcnt(0) lgkmcnt(0)
	v_fmac_f32_e32 v38, v42, v43
	s_andn2_b64 exec, exec, s[10:11]
	s_cbranch_execnz .LBB80_197
; %bb.198:
	s_or_b64 exec, exec, s[10:11]
.LBB80_199:
	s_or_b64 exec, exec, s[8:9]
	v_mov_b32_e32 v39, 0
	ds_read_b32 v39, v39 offset:20
	s_waitcnt lgkmcnt(0)
	v_mul_f32_e32 v38, v38, v39
	buffer_store_dword v38, off, s[0:3], 0 offset:20
.LBB80_200:
	s_or_b64 exec, exec, s[6:7]
	buffer_load_dword v38, off, s[0:3], 0 offset:24
	v_cmp_gt_u32_e32 vcc, 6, v0
	s_waitcnt vmcnt(0)
	ds_write_b32 v36, v38
	s_waitcnt lgkmcnt(0)
	; wave barrier
	s_waitcnt lgkmcnt(0)
	s_and_saveexec_b64 s[6:7], vcc
	s_cbranch_execz .LBB80_210
; %bb.201:
	s_and_b64 vcc, exec, s[4:5]
	s_cbranch_vccnz .LBB80_203
; %bb.202:
	buffer_load_dword v38, v37, s[0:3], 0 offen
	ds_read_b32 v39, v36
	s_waitcnt vmcnt(0) lgkmcnt(0)
	v_mul_f32_e32 v38, v38, v39
	s_cbranch_execz .LBB80_204
	s_branch .LBB80_205
.LBB80_203:
                                        ; implicit-def: $vgpr38
.LBB80_204:
	ds_read_b32 v38, v36
.LBB80_205:
	v_cmp_ne_u32_e32 vcc, 5, v0
	s_and_saveexec_b64 s[8:9], vcc
	s_cbranch_execz .LBB80_209
; %bb.206:
	v_mov_b32_e32 v40, 0
	v_add_u32_e32 v39, 0x54, v1
	v_add3_u32 v40, v1, v40, 4
	s_mov_b64 s[10:11], 0
	v_mov_b32_e32 v41, v0
.LBB80_207:                             ; =>This Inner Loop Header: Depth=1
	buffer_load_dword v42, v40, s[0:3], 0 offen
	ds_read_b32 v43, v39
	v_add_u32_e32 v41, 1, v41
	v_cmp_lt_u32_e32 vcc, 4, v41
	v_add_u32_e32 v39, 4, v39
	v_add_u32_e32 v40, 4, v40
	s_or_b64 s[10:11], vcc, s[10:11]
	s_waitcnt vmcnt(0) lgkmcnt(0)
	v_fmac_f32_e32 v38, v42, v43
	s_andn2_b64 exec, exec, s[10:11]
	s_cbranch_execnz .LBB80_207
; %bb.208:
	s_or_b64 exec, exec, s[10:11]
.LBB80_209:
	s_or_b64 exec, exec, s[8:9]
	v_mov_b32_e32 v39, 0
	ds_read_b32 v39, v39 offset:24
	s_waitcnt lgkmcnt(0)
	v_mul_f32_e32 v38, v38, v39
	buffer_store_dword v38, off, s[0:3], 0 offset:24
.LBB80_210:
	s_or_b64 exec, exec, s[6:7]
	buffer_load_dword v38, off, s[0:3], 0 offset:28
	v_cmp_gt_u32_e32 vcc, 7, v0
	s_waitcnt vmcnt(0)
	ds_write_b32 v36, v38
	s_waitcnt lgkmcnt(0)
	; wave barrier
	s_waitcnt lgkmcnt(0)
	s_and_saveexec_b64 s[6:7], vcc
	s_cbranch_execz .LBB80_220
; %bb.211:
	s_and_b64 vcc, exec, s[4:5]
	s_cbranch_vccnz .LBB80_213
; %bb.212:
	buffer_load_dword v38, v37, s[0:3], 0 offen
	ds_read_b32 v39, v36
	s_waitcnt vmcnt(0) lgkmcnt(0)
	v_mul_f32_e32 v38, v38, v39
	s_cbranch_execz .LBB80_214
	s_branch .LBB80_215
.LBB80_213:
                                        ; implicit-def: $vgpr38
.LBB80_214:
	ds_read_b32 v38, v36
.LBB80_215:
	v_cmp_ne_u32_e32 vcc, 6, v0
	s_and_saveexec_b64 s[8:9], vcc
	s_cbranch_execz .LBB80_219
; %bb.216:
	v_mov_b32_e32 v40, 0
	v_add_u32_e32 v39, 0x54, v1
	v_add3_u32 v40, v1, v40, 4
	s_mov_b64 s[10:11], 0
	v_mov_b32_e32 v41, v0
.LBB80_217:                             ; =>This Inner Loop Header: Depth=1
	buffer_load_dword v42, v40, s[0:3], 0 offen
	ds_read_b32 v43, v39
	v_add_u32_e32 v41, 1, v41
	v_cmp_lt_u32_e32 vcc, 5, v41
	v_add_u32_e32 v39, 4, v39
	v_add_u32_e32 v40, 4, v40
	s_or_b64 s[10:11], vcc, s[10:11]
	s_waitcnt vmcnt(0) lgkmcnt(0)
	v_fmac_f32_e32 v38, v42, v43
	s_andn2_b64 exec, exec, s[10:11]
	s_cbranch_execnz .LBB80_217
; %bb.218:
	s_or_b64 exec, exec, s[10:11]
.LBB80_219:
	s_or_b64 exec, exec, s[8:9]
	v_mov_b32_e32 v39, 0
	ds_read_b32 v39, v39 offset:28
	s_waitcnt lgkmcnt(0)
	v_mul_f32_e32 v38, v38, v39
	buffer_store_dword v38, off, s[0:3], 0 offset:28
.LBB80_220:
	s_or_b64 exec, exec, s[6:7]
	buffer_load_dword v38, off, s[0:3], 0 offset:32
	v_cmp_gt_u32_e32 vcc, 8, v0
	s_waitcnt vmcnt(0)
	ds_write_b32 v36, v38
	s_waitcnt lgkmcnt(0)
	; wave barrier
	s_waitcnt lgkmcnt(0)
	s_and_saveexec_b64 s[6:7], vcc
	s_cbranch_execz .LBB80_230
; %bb.221:
	s_and_b64 vcc, exec, s[4:5]
	s_cbranch_vccnz .LBB80_223
; %bb.222:
	buffer_load_dword v38, v37, s[0:3], 0 offen
	ds_read_b32 v39, v36
	s_waitcnt vmcnt(0) lgkmcnt(0)
	v_mul_f32_e32 v38, v38, v39
	s_cbranch_execz .LBB80_224
	s_branch .LBB80_225
.LBB80_223:
                                        ; implicit-def: $vgpr38
.LBB80_224:
	ds_read_b32 v38, v36
.LBB80_225:
	v_cmp_ne_u32_e32 vcc, 7, v0
	s_and_saveexec_b64 s[8:9], vcc
	s_cbranch_execz .LBB80_229
; %bb.226:
	v_mov_b32_e32 v40, 0
	v_add_u32_e32 v39, 0x54, v1
	v_add3_u32 v40, v1, v40, 4
	s_mov_b64 s[10:11], 0
	v_mov_b32_e32 v41, v0
.LBB80_227:                             ; =>This Inner Loop Header: Depth=1
	buffer_load_dword v42, v40, s[0:3], 0 offen
	ds_read_b32 v43, v39
	v_add_u32_e32 v41, 1, v41
	v_cmp_lt_u32_e32 vcc, 6, v41
	v_add_u32_e32 v39, 4, v39
	v_add_u32_e32 v40, 4, v40
	s_or_b64 s[10:11], vcc, s[10:11]
	s_waitcnt vmcnt(0) lgkmcnt(0)
	v_fmac_f32_e32 v38, v42, v43
	s_andn2_b64 exec, exec, s[10:11]
	s_cbranch_execnz .LBB80_227
; %bb.228:
	s_or_b64 exec, exec, s[10:11]
.LBB80_229:
	s_or_b64 exec, exec, s[8:9]
	v_mov_b32_e32 v39, 0
	ds_read_b32 v39, v39 offset:32
	s_waitcnt lgkmcnt(0)
	v_mul_f32_e32 v38, v38, v39
	buffer_store_dword v38, off, s[0:3], 0 offset:32
.LBB80_230:
	s_or_b64 exec, exec, s[6:7]
	buffer_load_dword v38, off, s[0:3], 0 offset:36
	v_cmp_gt_u32_e32 vcc, 9, v0
	s_waitcnt vmcnt(0)
	ds_write_b32 v36, v38
	s_waitcnt lgkmcnt(0)
	; wave barrier
	s_waitcnt lgkmcnt(0)
	s_and_saveexec_b64 s[6:7], vcc
	s_cbranch_execz .LBB80_240
; %bb.231:
	s_and_b64 vcc, exec, s[4:5]
	s_cbranch_vccnz .LBB80_233
; %bb.232:
	buffer_load_dword v38, v37, s[0:3], 0 offen
	ds_read_b32 v39, v36
	s_waitcnt vmcnt(0) lgkmcnt(0)
	v_mul_f32_e32 v38, v38, v39
	s_cbranch_execz .LBB80_234
	s_branch .LBB80_235
.LBB80_233:
                                        ; implicit-def: $vgpr38
.LBB80_234:
	ds_read_b32 v38, v36
.LBB80_235:
	v_cmp_ne_u32_e32 vcc, 8, v0
	s_and_saveexec_b64 s[8:9], vcc
	s_cbranch_execz .LBB80_239
; %bb.236:
	v_mov_b32_e32 v40, 0
	v_add_u32_e32 v39, 0x54, v1
	v_add3_u32 v40, v1, v40, 4
	s_mov_b64 s[10:11], 0
	v_mov_b32_e32 v41, v0
.LBB80_237:                             ; =>This Inner Loop Header: Depth=1
	buffer_load_dword v42, v40, s[0:3], 0 offen
	ds_read_b32 v43, v39
	v_add_u32_e32 v41, 1, v41
	v_cmp_lt_u32_e32 vcc, 7, v41
	v_add_u32_e32 v39, 4, v39
	v_add_u32_e32 v40, 4, v40
	s_or_b64 s[10:11], vcc, s[10:11]
	s_waitcnt vmcnt(0) lgkmcnt(0)
	v_fmac_f32_e32 v38, v42, v43
	s_andn2_b64 exec, exec, s[10:11]
	s_cbranch_execnz .LBB80_237
; %bb.238:
	s_or_b64 exec, exec, s[10:11]
.LBB80_239:
	s_or_b64 exec, exec, s[8:9]
	v_mov_b32_e32 v39, 0
	ds_read_b32 v39, v39 offset:36
	s_waitcnt lgkmcnt(0)
	v_mul_f32_e32 v38, v38, v39
	buffer_store_dword v38, off, s[0:3], 0 offset:36
.LBB80_240:
	s_or_b64 exec, exec, s[6:7]
	buffer_load_dword v38, off, s[0:3], 0 offset:40
	v_cmp_gt_u32_e32 vcc, 10, v0
	s_waitcnt vmcnt(0)
	ds_write_b32 v36, v38
	s_waitcnt lgkmcnt(0)
	; wave barrier
	s_waitcnt lgkmcnt(0)
	s_and_saveexec_b64 s[6:7], vcc
	s_cbranch_execz .LBB80_250
; %bb.241:
	s_and_b64 vcc, exec, s[4:5]
	s_cbranch_vccnz .LBB80_243
; %bb.242:
	buffer_load_dword v38, v37, s[0:3], 0 offen
	ds_read_b32 v39, v36
	s_waitcnt vmcnt(0) lgkmcnt(0)
	v_mul_f32_e32 v38, v38, v39
	s_cbranch_execz .LBB80_244
	s_branch .LBB80_245
.LBB80_243:
                                        ; implicit-def: $vgpr38
.LBB80_244:
	ds_read_b32 v38, v36
.LBB80_245:
	v_cmp_ne_u32_e32 vcc, 9, v0
	s_and_saveexec_b64 s[8:9], vcc
	s_cbranch_execz .LBB80_249
; %bb.246:
	v_mov_b32_e32 v40, 0
	v_add_u32_e32 v39, 0x54, v1
	v_add3_u32 v40, v1, v40, 4
	s_mov_b64 s[10:11], 0
	v_mov_b32_e32 v41, v0
.LBB80_247:                             ; =>This Inner Loop Header: Depth=1
	buffer_load_dword v42, v40, s[0:3], 0 offen
	ds_read_b32 v43, v39
	v_add_u32_e32 v41, 1, v41
	v_cmp_lt_u32_e32 vcc, 8, v41
	v_add_u32_e32 v39, 4, v39
	v_add_u32_e32 v40, 4, v40
	s_or_b64 s[10:11], vcc, s[10:11]
	s_waitcnt vmcnt(0) lgkmcnt(0)
	v_fmac_f32_e32 v38, v42, v43
	s_andn2_b64 exec, exec, s[10:11]
	s_cbranch_execnz .LBB80_247
; %bb.248:
	s_or_b64 exec, exec, s[10:11]
.LBB80_249:
	s_or_b64 exec, exec, s[8:9]
	v_mov_b32_e32 v39, 0
	ds_read_b32 v39, v39 offset:40
	s_waitcnt lgkmcnt(0)
	v_mul_f32_e32 v38, v38, v39
	buffer_store_dword v38, off, s[0:3], 0 offset:40
.LBB80_250:
	s_or_b64 exec, exec, s[6:7]
	buffer_load_dword v38, off, s[0:3], 0 offset:44
	v_cmp_gt_u32_e32 vcc, 11, v0
	s_waitcnt vmcnt(0)
	ds_write_b32 v36, v38
	s_waitcnt lgkmcnt(0)
	; wave barrier
	s_waitcnt lgkmcnt(0)
	s_and_saveexec_b64 s[6:7], vcc
	s_cbranch_execz .LBB80_260
; %bb.251:
	s_and_b64 vcc, exec, s[4:5]
	s_cbranch_vccnz .LBB80_253
; %bb.252:
	buffer_load_dword v38, v37, s[0:3], 0 offen
	ds_read_b32 v39, v36
	s_waitcnt vmcnt(0) lgkmcnt(0)
	v_mul_f32_e32 v38, v38, v39
	s_cbranch_execz .LBB80_254
	s_branch .LBB80_255
.LBB80_253:
                                        ; implicit-def: $vgpr38
.LBB80_254:
	ds_read_b32 v38, v36
.LBB80_255:
	v_cmp_ne_u32_e32 vcc, 10, v0
	s_and_saveexec_b64 s[8:9], vcc
	s_cbranch_execz .LBB80_259
; %bb.256:
	v_mov_b32_e32 v40, 0
	v_add_u32_e32 v39, 0x54, v1
	v_add3_u32 v40, v1, v40, 4
	s_mov_b64 s[10:11], 0
	v_mov_b32_e32 v41, v0
.LBB80_257:                             ; =>This Inner Loop Header: Depth=1
	buffer_load_dword v42, v40, s[0:3], 0 offen
	ds_read_b32 v43, v39
	v_add_u32_e32 v41, 1, v41
	v_cmp_lt_u32_e32 vcc, 9, v41
	v_add_u32_e32 v39, 4, v39
	v_add_u32_e32 v40, 4, v40
	s_or_b64 s[10:11], vcc, s[10:11]
	s_waitcnt vmcnt(0) lgkmcnt(0)
	v_fmac_f32_e32 v38, v42, v43
	s_andn2_b64 exec, exec, s[10:11]
	s_cbranch_execnz .LBB80_257
; %bb.258:
	s_or_b64 exec, exec, s[10:11]
.LBB80_259:
	s_or_b64 exec, exec, s[8:9]
	v_mov_b32_e32 v39, 0
	ds_read_b32 v39, v39 offset:44
	s_waitcnt lgkmcnt(0)
	v_mul_f32_e32 v38, v38, v39
	buffer_store_dword v38, off, s[0:3], 0 offset:44
.LBB80_260:
	s_or_b64 exec, exec, s[6:7]
	buffer_load_dword v38, off, s[0:3], 0 offset:48
	v_cmp_gt_u32_e32 vcc, 12, v0
	s_waitcnt vmcnt(0)
	ds_write_b32 v36, v38
	s_waitcnt lgkmcnt(0)
	; wave barrier
	s_waitcnt lgkmcnt(0)
	s_and_saveexec_b64 s[6:7], vcc
	s_cbranch_execz .LBB80_270
; %bb.261:
	s_and_b64 vcc, exec, s[4:5]
	s_cbranch_vccnz .LBB80_263
; %bb.262:
	buffer_load_dword v38, v37, s[0:3], 0 offen
	ds_read_b32 v39, v36
	s_waitcnt vmcnt(0) lgkmcnt(0)
	v_mul_f32_e32 v38, v38, v39
	s_cbranch_execz .LBB80_264
	s_branch .LBB80_265
.LBB80_263:
                                        ; implicit-def: $vgpr38
.LBB80_264:
	ds_read_b32 v38, v36
.LBB80_265:
	v_cmp_ne_u32_e32 vcc, 11, v0
	s_and_saveexec_b64 s[8:9], vcc
	s_cbranch_execz .LBB80_269
; %bb.266:
	v_mov_b32_e32 v40, 0
	v_add_u32_e32 v39, 0x54, v1
	v_add3_u32 v40, v1, v40, 4
	s_mov_b64 s[10:11], 0
	v_mov_b32_e32 v41, v0
.LBB80_267:                             ; =>This Inner Loop Header: Depth=1
	buffer_load_dword v42, v40, s[0:3], 0 offen
	ds_read_b32 v43, v39
	v_add_u32_e32 v41, 1, v41
	v_cmp_lt_u32_e32 vcc, 10, v41
	v_add_u32_e32 v39, 4, v39
	v_add_u32_e32 v40, 4, v40
	s_or_b64 s[10:11], vcc, s[10:11]
	s_waitcnt vmcnt(0) lgkmcnt(0)
	v_fmac_f32_e32 v38, v42, v43
	s_andn2_b64 exec, exec, s[10:11]
	s_cbranch_execnz .LBB80_267
; %bb.268:
	s_or_b64 exec, exec, s[10:11]
.LBB80_269:
	s_or_b64 exec, exec, s[8:9]
	v_mov_b32_e32 v39, 0
	ds_read_b32 v39, v39 offset:48
	s_waitcnt lgkmcnt(0)
	v_mul_f32_e32 v38, v38, v39
	buffer_store_dword v38, off, s[0:3], 0 offset:48
.LBB80_270:
	s_or_b64 exec, exec, s[6:7]
	buffer_load_dword v38, off, s[0:3], 0 offset:52
	v_cmp_gt_u32_e32 vcc, 13, v0
	s_waitcnt vmcnt(0)
	ds_write_b32 v36, v38
	s_waitcnt lgkmcnt(0)
	; wave barrier
	s_waitcnt lgkmcnt(0)
	s_and_saveexec_b64 s[6:7], vcc
	s_cbranch_execz .LBB80_280
; %bb.271:
	s_and_b64 vcc, exec, s[4:5]
	s_cbranch_vccnz .LBB80_273
; %bb.272:
	buffer_load_dword v38, v37, s[0:3], 0 offen
	ds_read_b32 v39, v36
	s_waitcnt vmcnt(0) lgkmcnt(0)
	v_mul_f32_e32 v38, v38, v39
	s_cbranch_execz .LBB80_274
	s_branch .LBB80_275
.LBB80_273:
                                        ; implicit-def: $vgpr38
.LBB80_274:
	ds_read_b32 v38, v36
.LBB80_275:
	v_cmp_ne_u32_e32 vcc, 12, v0
	s_and_saveexec_b64 s[8:9], vcc
	s_cbranch_execz .LBB80_279
; %bb.276:
	v_mov_b32_e32 v40, 0
	v_add_u32_e32 v39, 0x54, v1
	v_add3_u32 v40, v1, v40, 4
	s_mov_b64 s[10:11], 0
	v_mov_b32_e32 v41, v0
.LBB80_277:                             ; =>This Inner Loop Header: Depth=1
	buffer_load_dword v42, v40, s[0:3], 0 offen
	ds_read_b32 v43, v39
	v_add_u32_e32 v41, 1, v41
	v_cmp_lt_u32_e32 vcc, 11, v41
	v_add_u32_e32 v39, 4, v39
	v_add_u32_e32 v40, 4, v40
	s_or_b64 s[10:11], vcc, s[10:11]
	s_waitcnt vmcnt(0) lgkmcnt(0)
	v_fmac_f32_e32 v38, v42, v43
	s_andn2_b64 exec, exec, s[10:11]
	s_cbranch_execnz .LBB80_277
; %bb.278:
	s_or_b64 exec, exec, s[10:11]
.LBB80_279:
	s_or_b64 exec, exec, s[8:9]
	v_mov_b32_e32 v39, 0
	ds_read_b32 v39, v39 offset:52
	s_waitcnt lgkmcnt(0)
	v_mul_f32_e32 v38, v38, v39
	buffer_store_dword v38, off, s[0:3], 0 offset:52
.LBB80_280:
	s_or_b64 exec, exec, s[6:7]
	buffer_load_dword v38, off, s[0:3], 0 offset:56
	v_cmp_gt_u32_e32 vcc, 14, v0
	s_waitcnt vmcnt(0)
	ds_write_b32 v36, v38
	s_waitcnt lgkmcnt(0)
	; wave barrier
	s_waitcnt lgkmcnt(0)
	s_and_saveexec_b64 s[6:7], vcc
	s_cbranch_execz .LBB80_290
; %bb.281:
	s_and_b64 vcc, exec, s[4:5]
	s_cbranch_vccnz .LBB80_283
; %bb.282:
	buffer_load_dword v38, v37, s[0:3], 0 offen
	ds_read_b32 v39, v36
	s_waitcnt vmcnt(0) lgkmcnt(0)
	v_mul_f32_e32 v38, v38, v39
	s_cbranch_execz .LBB80_284
	s_branch .LBB80_285
.LBB80_283:
                                        ; implicit-def: $vgpr38
.LBB80_284:
	ds_read_b32 v38, v36
.LBB80_285:
	v_cmp_ne_u32_e32 vcc, 13, v0
	s_and_saveexec_b64 s[8:9], vcc
	s_cbranch_execz .LBB80_289
; %bb.286:
	v_mov_b32_e32 v40, 0
	v_add_u32_e32 v39, 0x54, v1
	v_add3_u32 v40, v1, v40, 4
	s_mov_b64 s[10:11], 0
	v_mov_b32_e32 v41, v0
.LBB80_287:                             ; =>This Inner Loop Header: Depth=1
	buffer_load_dword v42, v40, s[0:3], 0 offen
	ds_read_b32 v43, v39
	v_add_u32_e32 v41, 1, v41
	v_cmp_lt_u32_e32 vcc, 12, v41
	v_add_u32_e32 v39, 4, v39
	v_add_u32_e32 v40, 4, v40
	s_or_b64 s[10:11], vcc, s[10:11]
	s_waitcnt vmcnt(0) lgkmcnt(0)
	v_fmac_f32_e32 v38, v42, v43
	s_andn2_b64 exec, exec, s[10:11]
	s_cbranch_execnz .LBB80_287
; %bb.288:
	s_or_b64 exec, exec, s[10:11]
.LBB80_289:
	s_or_b64 exec, exec, s[8:9]
	v_mov_b32_e32 v39, 0
	ds_read_b32 v39, v39 offset:56
	s_waitcnt lgkmcnt(0)
	v_mul_f32_e32 v38, v38, v39
	buffer_store_dword v38, off, s[0:3], 0 offset:56
.LBB80_290:
	s_or_b64 exec, exec, s[6:7]
	buffer_load_dword v38, off, s[0:3], 0 offset:60
	v_cmp_gt_u32_e64 s[6:7], 15, v0
	s_waitcnt vmcnt(0)
	ds_write_b32 v36, v38
	s_waitcnt lgkmcnt(0)
	; wave barrier
	s_waitcnt lgkmcnt(0)
	s_and_saveexec_b64 s[8:9], s[6:7]
	s_cbranch_execz .LBB80_300
; %bb.291:
	s_and_b64 vcc, exec, s[4:5]
	s_cbranch_vccnz .LBB80_293
; %bb.292:
	buffer_load_dword v38, v37, s[0:3], 0 offen
	ds_read_b32 v39, v36
	s_waitcnt vmcnt(0) lgkmcnt(0)
	v_mul_f32_e32 v38, v38, v39
	s_cbranch_execz .LBB80_294
	s_branch .LBB80_295
.LBB80_293:
                                        ; implicit-def: $vgpr38
.LBB80_294:
	ds_read_b32 v38, v36
.LBB80_295:
	v_cmp_ne_u32_e32 vcc, 14, v0
	s_and_saveexec_b64 s[10:11], vcc
	s_cbranch_execz .LBB80_299
; %bb.296:
	v_mov_b32_e32 v40, 0
	v_add_u32_e32 v39, 0x54, v1
	v_add3_u32 v40, v1, v40, 4
	s_mov_b64 s[12:13], 0
	v_mov_b32_e32 v41, v0
.LBB80_297:                             ; =>This Inner Loop Header: Depth=1
	buffer_load_dword v42, v40, s[0:3], 0 offen
	ds_read_b32 v43, v39
	v_add_u32_e32 v41, 1, v41
	v_cmp_lt_u32_e32 vcc, 13, v41
	v_add_u32_e32 v39, 4, v39
	v_add_u32_e32 v40, 4, v40
	s_or_b64 s[12:13], vcc, s[12:13]
	s_waitcnt vmcnt(0) lgkmcnt(0)
	v_fmac_f32_e32 v38, v42, v43
	s_andn2_b64 exec, exec, s[12:13]
	s_cbranch_execnz .LBB80_297
; %bb.298:
	s_or_b64 exec, exec, s[12:13]
.LBB80_299:
	s_or_b64 exec, exec, s[10:11]
	v_mov_b32_e32 v39, 0
	ds_read_b32 v39, v39 offset:60
	s_waitcnt lgkmcnt(0)
	v_mul_f32_e32 v38, v38, v39
	buffer_store_dword v38, off, s[0:3], 0 offset:60
.LBB80_300:
	s_or_b64 exec, exec, s[8:9]
	buffer_load_dword v38, off, s[0:3], 0 offset:64
	v_cmp_ne_u32_e32 vcc, 16, v0
	s_waitcnt vmcnt(0)
	ds_write_b32 v36, v38
	s_waitcnt lgkmcnt(0)
	; wave barrier
	s_waitcnt lgkmcnt(0)
	s_and_saveexec_b64 s[8:9], vcc
	s_cbranch_execz .LBB80_310
; %bb.301:
	s_and_b64 vcc, exec, s[4:5]
	s_cbranch_vccnz .LBB80_303
; %bb.302:
	buffer_load_dword v37, v37, s[0:3], 0 offen
	ds_read_b32 v38, v36
	s_waitcnt vmcnt(0) lgkmcnt(0)
	v_mul_f32_e32 v37, v37, v38
	s_cbranch_execz .LBB80_304
	s_branch .LBB80_305
.LBB80_303:
                                        ; implicit-def: $vgpr37
.LBB80_304:
	ds_read_b32 v37, v36
.LBB80_305:
	s_and_saveexec_b64 s[4:5], s[6:7]
	s_cbranch_execz .LBB80_309
; %bb.306:
	v_mov_b32_e32 v38, 0
	v_add_u32_e32 v36, 0x54, v1
	v_add3_u32 v1, v1, v38, 4
	s_mov_b64 s[6:7], 0
.LBB80_307:                             ; =>This Inner Loop Header: Depth=1
	buffer_load_dword v38, v1, s[0:3], 0 offen
	ds_read_b32 v39, v36
	v_add_u32_e32 v0, 1, v0
	v_cmp_lt_u32_e32 vcc, 14, v0
	v_add_u32_e32 v36, 4, v36
	v_add_u32_e32 v1, 4, v1
	s_or_b64 s[6:7], vcc, s[6:7]
	s_waitcnt vmcnt(0) lgkmcnt(0)
	v_fmac_f32_e32 v37, v38, v39
	s_andn2_b64 exec, exec, s[6:7]
	s_cbranch_execnz .LBB80_307
; %bb.308:
	s_or_b64 exec, exec, s[6:7]
.LBB80_309:
	s_or_b64 exec, exec, s[4:5]
	v_mov_b32_e32 v0, 0
	ds_read_b32 v0, v0 offset:64
	s_waitcnt lgkmcnt(0)
	v_mul_f32_e32 v0, v37, v0
	buffer_store_dword v0, off, s[0:3], 0 offset:64
.LBB80_310:
	s_or_b64 exec, exec, s[8:9]
.LBB80_311:
	buffer_load_dword v0, off, s[0:3], 0
	buffer_load_dword v1, off, s[0:3], 0 offset:4
	buffer_load_dword v36, off, s[0:3], 0 offset:8
	buffer_load_dword v37, off, s[0:3], 0 offset:12
	buffer_load_dword v38, off, s[0:3], 0 offset:16
	buffer_load_dword v39, off, s[0:3], 0 offset:20
	buffer_load_dword v40, off, s[0:3], 0 offset:24
	buffer_load_dword v41, off, s[0:3], 0 offset:28
	buffer_load_dword v42, off, s[0:3], 0 offset:32
	buffer_load_dword v43, off, s[0:3], 0 offset:36
	buffer_load_dword v44, off, s[0:3], 0 offset:40
	buffer_load_dword v45, off, s[0:3], 0 offset:44
	buffer_load_dword v46, off, s[0:3], 0 offset:48
	buffer_load_dword v47, off, s[0:3], 0 offset:52
	buffer_load_dword v48, off, s[0:3], 0 offset:56
	buffer_load_dword v49, off, s[0:3], 0 offset:60
	buffer_load_dword v50, off, s[0:3], 0 offset:64
	s_waitcnt vmcnt(16)
	global_store_dword v[2:3], v0, off
	s_waitcnt vmcnt(16)
	global_store_dword v[4:5], v1, off
	;; [unrolled: 2-line block ×17, first 2 shown]
.LBB80_312:
	s_endpgm
	.section	.rodata,"a",@progbits
	.p2align	6, 0x0
	.amdhsa_kernel _ZN9rocsolver6v33100L18trti2_kernel_smallILi17EfPKPfEEv13rocblas_fill_17rocblas_diagonal_T1_iil
		.amdhsa_group_segment_fixed_size 148
		.amdhsa_private_segment_fixed_size 80
		.amdhsa_kernarg_size 32
		.amdhsa_user_sgpr_count 8
		.amdhsa_user_sgpr_private_segment_buffer 1
		.amdhsa_user_sgpr_dispatch_ptr 0
		.amdhsa_user_sgpr_queue_ptr 0
		.amdhsa_user_sgpr_kernarg_segment_ptr 1
		.amdhsa_user_sgpr_dispatch_id 0
		.amdhsa_user_sgpr_flat_scratch_init 1
		.amdhsa_user_sgpr_kernarg_preload_length 0
		.amdhsa_user_sgpr_kernarg_preload_offset 0
		.amdhsa_user_sgpr_private_segment_size 0
		.amdhsa_uses_dynamic_stack 0
		.amdhsa_system_sgpr_private_segment_wavefront_offset 1
		.amdhsa_system_sgpr_workgroup_id_x 1
		.amdhsa_system_sgpr_workgroup_id_y 0
		.amdhsa_system_sgpr_workgroup_id_z 0
		.amdhsa_system_sgpr_workgroup_info 0
		.amdhsa_system_vgpr_workitem_id 0
		.amdhsa_next_free_vgpr 54
		.amdhsa_next_free_sgpr 16
		.amdhsa_accum_offset 56
		.amdhsa_reserve_vcc 1
		.amdhsa_reserve_flat_scratch 0
		.amdhsa_float_round_mode_32 0
		.amdhsa_float_round_mode_16_64 0
		.amdhsa_float_denorm_mode_32 3
		.amdhsa_float_denorm_mode_16_64 3
		.amdhsa_dx10_clamp 1
		.amdhsa_ieee_mode 1
		.amdhsa_fp16_overflow 0
		.amdhsa_tg_split 0
		.amdhsa_exception_fp_ieee_invalid_op 0
		.amdhsa_exception_fp_denorm_src 0
		.amdhsa_exception_fp_ieee_div_zero 0
		.amdhsa_exception_fp_ieee_overflow 0
		.amdhsa_exception_fp_ieee_underflow 0
		.amdhsa_exception_fp_ieee_inexact 0
		.amdhsa_exception_int_div_zero 0
	.end_amdhsa_kernel
	.section	.text._ZN9rocsolver6v33100L18trti2_kernel_smallILi17EfPKPfEEv13rocblas_fill_17rocblas_diagonal_T1_iil,"axG",@progbits,_ZN9rocsolver6v33100L18trti2_kernel_smallILi17EfPKPfEEv13rocblas_fill_17rocblas_diagonal_T1_iil,comdat
.Lfunc_end80:
	.size	_ZN9rocsolver6v33100L18trti2_kernel_smallILi17EfPKPfEEv13rocblas_fill_17rocblas_diagonal_T1_iil, .Lfunc_end80-_ZN9rocsolver6v33100L18trti2_kernel_smallILi17EfPKPfEEv13rocblas_fill_17rocblas_diagonal_T1_iil
                                        ; -- End function
	.section	.AMDGPU.csdata,"",@progbits
; Kernel info:
; codeLenInByte = 8024
; NumSgprs: 20
; NumVgprs: 54
; NumAgprs: 0
; TotalNumVgprs: 54
; ScratchSize: 80
; MemoryBound: 0
; FloatMode: 240
; IeeeMode: 1
; LDSByteSize: 148 bytes/workgroup (compile time only)
; SGPRBlocks: 2
; VGPRBlocks: 6
; NumSGPRsForWavesPerEU: 20
; NumVGPRsForWavesPerEU: 54
; AccumOffset: 56
; Occupancy: 8
; WaveLimiterHint : 1
; COMPUTE_PGM_RSRC2:SCRATCH_EN: 1
; COMPUTE_PGM_RSRC2:USER_SGPR: 8
; COMPUTE_PGM_RSRC2:TRAP_HANDLER: 0
; COMPUTE_PGM_RSRC2:TGID_X_EN: 1
; COMPUTE_PGM_RSRC2:TGID_Y_EN: 0
; COMPUTE_PGM_RSRC2:TGID_Z_EN: 0
; COMPUTE_PGM_RSRC2:TIDIG_COMP_CNT: 0
; COMPUTE_PGM_RSRC3_GFX90A:ACCUM_OFFSET: 13
; COMPUTE_PGM_RSRC3_GFX90A:TG_SPLIT: 0
	.section	.text._ZN9rocsolver6v33100L18trti2_kernel_smallILi18EfPKPfEEv13rocblas_fill_17rocblas_diagonal_T1_iil,"axG",@progbits,_ZN9rocsolver6v33100L18trti2_kernel_smallILi18EfPKPfEEv13rocblas_fill_17rocblas_diagonal_T1_iil,comdat
	.globl	_ZN9rocsolver6v33100L18trti2_kernel_smallILi18EfPKPfEEv13rocblas_fill_17rocblas_diagonal_T1_iil ; -- Begin function _ZN9rocsolver6v33100L18trti2_kernel_smallILi18EfPKPfEEv13rocblas_fill_17rocblas_diagonal_T1_iil
	.p2align	8
	.type	_ZN9rocsolver6v33100L18trti2_kernel_smallILi18EfPKPfEEv13rocblas_fill_17rocblas_diagonal_T1_iil,@function
_ZN9rocsolver6v33100L18trti2_kernel_smallILi18EfPKPfEEv13rocblas_fill_17rocblas_diagonal_T1_iil: ; @_ZN9rocsolver6v33100L18trti2_kernel_smallILi18EfPKPfEEv13rocblas_fill_17rocblas_diagonal_T1_iil
; %bb.0:
	s_add_u32 s0, s0, s9
	s_addc_u32 s1, s1, 0
	v_cmp_gt_u32_e32 vcc, 18, v0
	s_and_saveexec_b64 s[6:7], vcc
	s_cbranch_execz .LBB81_332
; %bb.1:
	s_load_dwordx2 s[6:7], s[4:5], 0x10
	s_load_dwordx4 s[12:15], s[4:5], 0x0
	s_ashr_i32 s9, s8, 31
	s_lshl_b64 s[4:5], s[8:9], 3
	v_lshlrev_b32_e32 v1, 2, v0
	s_waitcnt lgkmcnt(0)
	s_ashr_i32 s9, s6, 31
	s_add_u32 s4, s14, s4
	s_addc_u32 s5, s15, s5
	s_load_dwordx2 s[4:5], s[4:5], 0x0
	s_mov_b32 s8, s6
	s_lshl_b64 s[8:9], s[8:9], 2
	s_waitcnt lgkmcnt(0)
	s_add_u32 s4, s4, s8
	s_addc_u32 s5, s5, s9
	v_mov_b32_e32 v3, s5
	v_add_co_u32_e32 v2, vcc, s4, v1
	s_ashr_i32 s9, s7, 31
	s_mov_b32 s8, s7
	s_add_i32 s6, s7, s7
	v_addc_co_u32_e32 v3, vcc, 0, v3, vcc
	s_lshl_b64 s[8:9], s[8:9], 2
	v_add_u32_e32 v8, s6, v0
	v_mov_b32_e32 v5, s9
	v_add_co_u32_e32 v4, vcc, s8, v2
	v_ashrrev_i32_e32 v9, 31, v8
	v_addc_co_u32_e32 v5, vcc, v3, v5, vcc
	v_lshlrev_b64 v[6:7], 2, v[8:9]
	v_add_u32_e32 v10, s7, v8
	v_mov_b32_e32 v9, s5
	v_add_co_u32_e32 v6, vcc, s4, v6
	v_ashrrev_i32_e32 v11, 31, v10
	v_addc_co_u32_e32 v7, vcc, v9, v7, vcc
	v_lshlrev_b64 v[8:9], 2, v[10:11]
	;; [unrolled: 6-line block ×15, first 2 shown]
	global_load_dword v38, v1, s[4:5]
	v_mov_b32_e32 v37, s5
	v_add_co_u32_e32 v34, vcc, s4, v34
	global_load_dword v39, v[4:5], off
	global_load_dword v40, v[6:7], off
	;; [unrolled: 1-line block ×8, first 2 shown]
	v_addc_co_u32_e32 v35, vcc, v37, v35, vcc
	global_load_dword v48, v[20:21], off
	global_load_dword v49, v[22:23], off
	;; [unrolled: 1-line block ×8, first 2 shown]
	v_add_u32_e32 v36, s7, v36
	v_ashrrev_i32_e32 v37, 31, v36
	v_lshlrev_b64 v[36:37], 2, v[36:37]
	v_mov_b32_e32 v46, s5
	v_add_co_u32_e32 v36, vcc, s4, v36
	v_addc_co_u32_e32 v37, vcc, v46, v37, vcc
	global_load_dword v56, v[36:37], off
	s_cmpk_lg_i32 s13, 0x84
	s_waitcnt vmcnt(17)
	buffer_store_dword v38, off, s[0:3], 0
	s_waitcnt vmcnt(17)
	buffer_store_dword v39, off, s[0:3], 0 offset:4
	v_mov_b32_e32 v46, 0
	s_cselect_b64 s[8:9], -1, 0
	s_cmpk_eq_i32 s13, 0x84
	v_mov_b32_e32 v38, -1.0
	s_waitcnt vmcnt(17)
	buffer_store_dword v40, off, s[0:3], 0 offset:8
	s_waitcnt vmcnt(17)
	buffer_store_dword v41, off, s[0:3], 0 offset:12
	s_waitcnt vmcnt(17)
	buffer_store_dword v42, off, s[0:3], 0 offset:16
	s_waitcnt vmcnt(17)
	buffer_store_dword v43, off, s[0:3], 0 offset:20
	s_waitcnt vmcnt(17)
	buffer_store_dword v44, off, s[0:3], 0 offset:24
	s_waitcnt vmcnt(17)
	buffer_store_dword v45, off, s[0:3], 0 offset:28
	s_waitcnt vmcnt(17)
	buffer_store_dword v47, off, s[0:3], 0 offset:32
	s_waitcnt vmcnt(17)
	buffer_store_dword v48, off, s[0:3], 0 offset:36
	s_waitcnt vmcnt(16)
	buffer_store_dword v50, off, s[0:3], 0 offset:44
	buffer_store_dword v49, off, s[0:3], 0 offset:40
	s_waitcnt vmcnt(17)
	buffer_store_dword v51, off, s[0:3], 0 offset:48
	s_waitcnt vmcnt(17)
	;; [unrolled: 2-line block ×6, first 2 shown]
	buffer_store_dword v56, off, s[0:3], 0 offset:68
	s_cbranch_scc1 .LBB81_3
; %bb.2:
	v_lshl_add_u32 v38, v0, 2, v46
	buffer_load_dword v39, v38, s[0:3], 0 offen
	s_waitcnt vmcnt(0)
	v_div_scale_f32 v40, s[4:5], v39, v39, 1.0
	v_rcp_f32_e32 v41, v40
	v_div_scale_f32 v42, vcc, 1.0, v39, 1.0
	v_fma_f32 v43, -v40, v41, 1.0
	v_fmac_f32_e32 v41, v43, v41
	v_mul_f32_e32 v43, v42, v41
	v_fma_f32 v44, -v40, v43, v42
	v_fmac_f32_e32 v43, v44, v41
	v_fma_f32 v40, -v40, v43, v42
	v_div_fmas_f32 v40, v40, v41, v43
	v_div_fixup_f32 v39, v40, v39, 1.0
	buffer_store_dword v39, v38, s[0:3], 0 offen
	v_xor_b32_e32 v38, 0x80000000, v39
.LBB81_3:
	ds_write_b32 v1, v38
	s_cmpk_eq_i32 s12, 0x79
	v_add_u32_e32 v38, 0x50, v1
	v_add_u32_e32 v39, 0, v1
	s_mov_b64 s[4:5], -1
	s_cbranch_scc1 .LBB81_167
; %bb.4:
	buffer_load_dword v40, off, s[0:3], 0 offset:64
	v_cmp_eq_u32_e64 s[4:5], 17, v0
	s_waitcnt vmcnt(0)
	ds_write_b32 v38, v40
	s_waitcnt lgkmcnt(0)
	; wave barrier
	s_waitcnt lgkmcnt(0)
	s_and_saveexec_b64 s[6:7], s[4:5]
	s_cbranch_execz .LBB81_10
; %bb.5:
	s_and_b64 vcc, exec, s[8:9]
	s_cbranch_vccz .LBB81_7
; %bb.6:
	buffer_load_dword v40, v39, s[0:3], 0 offen
	ds_read_b32 v41, v38
	s_waitcnt vmcnt(0) lgkmcnt(0)
	v_mul_f32_e32 v40, v40, v41
	s_cbranch_execz .LBB81_8
	s_branch .LBB81_9
.LBB81_7:
                                        ; implicit-def: $vgpr40
.LBB81_8:
	ds_read_b32 v40, v38
.LBB81_9:
	v_mov_b32_e32 v41, 0
	ds_read_b32 v41, v41 offset:64
	s_waitcnt lgkmcnt(0)
	v_mul_f32_e32 v40, v40, v41
	buffer_store_dword v40, off, s[0:3], 0 offset:64
.LBB81_10:
	s_or_b64 exec, exec, s[6:7]
	buffer_load_dword v47, off, s[0:3], 0 offset:60
	v_or_b32_e32 v40, 8, v46
	v_add_u32_e32 v41, 16, v46
	v_add_u32_e32 v42, 24, v46
	;; [unrolled: 1-line block ×6, first 2 shown]
	v_cmp_lt_u32_e64 s[6:7], 15, v0
	s_waitcnt vmcnt(0)
	ds_write_b32 v38, v47
	s_waitcnt lgkmcnt(0)
	; wave barrier
	s_waitcnt lgkmcnt(0)
	s_and_saveexec_b64 s[10:11], s[6:7]
	s_cbranch_execz .LBB81_16
; %bb.11:
	s_andn2_b64 vcc, exec, s[8:9]
	s_cbranch_vccnz .LBB81_13
; %bb.12:
	buffer_load_dword v47, v39, s[0:3], 0 offen
	ds_read_b32 v48, v38
	s_waitcnt vmcnt(0) lgkmcnt(0)
	v_mul_f32_e32 v47, v47, v48
	s_cbranch_execz .LBB81_14
	s_branch .LBB81_15
.LBB81_13:
                                        ; implicit-def: $vgpr47
.LBB81_14:
	ds_read_b32 v47, v38
.LBB81_15:
	buffer_load_dword v50, off, s[0:3], 0 offset:64
	v_mov_b32_e32 v48, 0
	ds_read2_b32 v[48:49], v48 offset0:15 offset1:36
	s_waitcnt vmcnt(0) lgkmcnt(0)
	v_fma_f32 v49, v50, v49, v47
	v_cndmask_b32_e64 v47, v47, v49, s[4:5]
	v_mul_f32_e32 v47, v47, v48
	buffer_store_dword v47, off, s[0:3], 0 offset:60
.LBB81_16:
	s_or_b64 exec, exec, s[10:11]
	buffer_load_dword v47, off, s[0:3], 0 offset:56
	v_cmp_lt_u32_e64 s[4:5], 14, v0
	s_waitcnt vmcnt(0)
	ds_write_b32 v38, v47
	s_waitcnt lgkmcnt(0)
	; wave barrier
	s_waitcnt lgkmcnt(0)
	s_and_saveexec_b64 s[10:11], s[4:5]
	s_cbranch_execz .LBB81_26
; %bb.17:
	s_andn2_b64 vcc, exec, s[8:9]
	s_cbranch_vccnz .LBB81_19
; %bb.18:
	buffer_load_dword v47, v39, s[0:3], 0 offen
	ds_read_b32 v48, v38
	s_waitcnt vmcnt(0) lgkmcnt(0)
	v_mul_f32_e32 v47, v47, v48
	s_cbranch_execz .LBB81_20
	s_branch .LBB81_21
.LBB81_19:
                                        ; implicit-def: $vgpr47
.LBB81_20:
	ds_read_b32 v47, v38
.LBB81_21:
	s_and_saveexec_b64 s[12:13], s[6:7]
	s_cbranch_execz .LBB81_25
; %bb.22:
	v_mov_b32_e32 v48, 0
	v_add_u32_e32 v48, 60, v48
	v_add_u32_e32 v49, -15, v0
	s_movk_i32 s14, 0x8c
	s_mov_b64 s[6:7], 0
.LBB81_23:                              ; =>This Inner Loop Header: Depth=1
	buffer_load_dword v50, v48, s[0:3], 0 offen
	v_mov_b32_e32 v51, s14
	ds_read_b32 v51, v51
	v_add_u32_e32 v49, -1, v49
	s_add_i32 s14, s14, 4
	v_cmp_eq_u32_e32 vcc, 0, v49
	v_add_u32_e32 v48, 4, v48
	s_or_b64 s[6:7], vcc, s[6:7]
	s_waitcnt vmcnt(0) lgkmcnt(0)
	v_fmac_f32_e32 v47, v50, v51
	s_andn2_b64 exec, exec, s[6:7]
	s_cbranch_execnz .LBB81_23
; %bb.24:
	s_or_b64 exec, exec, s[6:7]
.LBB81_25:
	s_or_b64 exec, exec, s[12:13]
	v_mov_b32_e32 v48, 0
	ds_read_b32 v48, v48 offset:56
	s_waitcnt lgkmcnt(0)
	v_mul_f32_e32 v47, v47, v48
	buffer_store_dword v47, off, s[0:3], 0 offset:56
.LBB81_26:
	s_or_b64 exec, exec, s[10:11]
	buffer_load_dword v47, off, s[0:3], 0 offset:52
	v_cmp_lt_u32_e64 s[6:7], 13, v0
	s_waitcnt vmcnt(0)
	ds_write_b32 v38, v47
	s_waitcnt lgkmcnt(0)
	; wave barrier
	s_waitcnt lgkmcnt(0)
	s_and_saveexec_b64 s[10:11], s[6:7]
	s_cbranch_execz .LBB81_36
; %bb.27:
	s_andn2_b64 vcc, exec, s[8:9]
	s_cbranch_vccnz .LBB81_29
; %bb.28:
	buffer_load_dword v47, v39, s[0:3], 0 offen
	ds_read_b32 v48, v38
	s_waitcnt vmcnt(0) lgkmcnt(0)
	v_mul_f32_e32 v47, v47, v48
	s_cbranch_execz .LBB81_30
	s_branch .LBB81_31
.LBB81_29:
                                        ; implicit-def: $vgpr47
.LBB81_30:
	ds_read_b32 v47, v38
.LBB81_31:
	s_and_saveexec_b64 s[12:13], s[4:5]
	s_cbranch_execz .LBB81_35
; %bb.32:
	v_add_u32_e32 v48, -14, v0
	s_movk_i32 s14, 0x88
	s_mov_b64 s[4:5], 0
.LBB81_33:                              ; =>This Inner Loop Header: Depth=1
	buffer_load_dword v49, v46, s[0:3], 0 offen
	v_mov_b32_e32 v50, s14
	ds_read_b32 v50, v50
	v_add_u32_e32 v48, -1, v48
	s_add_i32 s14, s14, 4
	v_cmp_eq_u32_e32 vcc, 0, v48
	v_add_u32_e32 v46, 4, v46
	s_or_b64 s[4:5], vcc, s[4:5]
	s_waitcnt vmcnt(0) lgkmcnt(0)
	v_fmac_f32_e32 v47, v49, v50
	s_andn2_b64 exec, exec, s[4:5]
	s_cbranch_execnz .LBB81_33
; %bb.34:
	s_or_b64 exec, exec, s[4:5]
.LBB81_35:
	s_or_b64 exec, exec, s[12:13]
	v_mov_b32_e32 v46, 0
	ds_read_b32 v46, v46 offset:52
	s_waitcnt lgkmcnt(0)
	v_mul_f32_e32 v46, v47, v46
	buffer_store_dword v46, off, s[0:3], 0 offset:52
.LBB81_36:
	s_or_b64 exec, exec, s[10:11]
	buffer_load_dword v46, off, s[0:3], 0 offset:48
	v_cmp_lt_u32_e64 s[4:5], 12, v0
	s_waitcnt vmcnt(0)
	ds_write_b32 v38, v46
	s_waitcnt lgkmcnt(0)
	; wave barrier
	s_waitcnt lgkmcnt(0)
	s_and_saveexec_b64 s[10:11], s[4:5]
	s_cbranch_execz .LBB81_46
; %bb.37:
	s_andn2_b64 vcc, exec, s[8:9]
	s_cbranch_vccnz .LBB81_39
; %bb.38:
	buffer_load_dword v46, v39, s[0:3], 0 offen
	ds_read_b32 v47, v38
	s_waitcnt vmcnt(0) lgkmcnt(0)
	v_mul_f32_e32 v46, v46, v47
	s_cbranch_execz .LBB81_40
	s_branch .LBB81_41
.LBB81_39:
                                        ; implicit-def: $vgpr46
.LBB81_40:
	ds_read_b32 v46, v38
.LBB81_41:
	s_and_saveexec_b64 s[12:13], s[6:7]
	s_cbranch_execz .LBB81_45
; %bb.42:
	v_mov_b32_e32 v47, 0
	v_add_u32_e32 v47, 52, v47
	v_add_u32_e32 v48, -13, v0
	s_movk_i32 s14, 0x84
	s_mov_b64 s[6:7], 0
.LBB81_43:                              ; =>This Inner Loop Header: Depth=1
	buffer_load_dword v49, v47, s[0:3], 0 offen
	v_mov_b32_e32 v50, s14
	ds_read_b32 v50, v50
	v_add_u32_e32 v48, -1, v48
	s_add_i32 s14, s14, 4
	v_cmp_eq_u32_e32 vcc, 0, v48
	v_add_u32_e32 v47, 4, v47
	s_or_b64 s[6:7], vcc, s[6:7]
	s_waitcnt vmcnt(0) lgkmcnt(0)
	v_fmac_f32_e32 v46, v49, v50
	s_andn2_b64 exec, exec, s[6:7]
	s_cbranch_execnz .LBB81_43
; %bb.44:
	s_or_b64 exec, exec, s[6:7]
.LBB81_45:
	s_or_b64 exec, exec, s[12:13]
	v_mov_b32_e32 v47, 0
	ds_read_b32 v47, v47 offset:48
	s_waitcnt lgkmcnt(0)
	v_mul_f32_e32 v46, v46, v47
	buffer_store_dword v46, off, s[0:3], 0 offset:48
.LBB81_46:
	s_or_b64 exec, exec, s[10:11]
	buffer_load_dword v46, off, s[0:3], 0 offset:44
	v_cmp_lt_u32_e64 s[6:7], 11, v0
	s_waitcnt vmcnt(0)
	ds_write_b32 v38, v46
	s_waitcnt lgkmcnt(0)
	; wave barrier
	s_waitcnt lgkmcnt(0)
	s_and_saveexec_b64 s[10:11], s[6:7]
	s_cbranch_execz .LBB81_56
; %bb.47:
	s_andn2_b64 vcc, exec, s[8:9]
	s_cbranch_vccnz .LBB81_49
; %bb.48:
	buffer_load_dword v46, v39, s[0:3], 0 offen
	ds_read_b32 v47, v38
	s_waitcnt vmcnt(0) lgkmcnt(0)
	v_mul_f32_e32 v46, v46, v47
	s_cbranch_execz .LBB81_50
	s_branch .LBB81_51
.LBB81_49:
                                        ; implicit-def: $vgpr46
.LBB81_50:
	ds_read_b32 v46, v38
.LBB81_51:
	s_and_saveexec_b64 s[12:13], s[4:5]
	s_cbranch_execz .LBB81_55
; %bb.52:
	v_add_u32_e32 v47, -12, v0
	s_movk_i32 s14, 0x80
	s_mov_b64 s[4:5], 0
.LBB81_53:                              ; =>This Inner Loop Header: Depth=1
	buffer_load_dword v48, v45, s[0:3], 0 offen
	v_mov_b32_e32 v49, s14
	ds_read_b32 v49, v49
	v_add_u32_e32 v47, -1, v47
	s_add_i32 s14, s14, 4
	v_cmp_eq_u32_e32 vcc, 0, v47
	v_add_u32_e32 v45, 4, v45
	s_or_b64 s[4:5], vcc, s[4:5]
	s_waitcnt vmcnt(0) lgkmcnt(0)
	v_fmac_f32_e32 v46, v48, v49
	s_andn2_b64 exec, exec, s[4:5]
	s_cbranch_execnz .LBB81_53
; %bb.54:
	s_or_b64 exec, exec, s[4:5]
.LBB81_55:
	s_or_b64 exec, exec, s[12:13]
	v_mov_b32_e32 v45, 0
	ds_read_b32 v45, v45 offset:44
	s_waitcnt lgkmcnt(0)
	v_mul_f32_e32 v45, v46, v45
	buffer_store_dword v45, off, s[0:3], 0 offset:44
.LBB81_56:
	s_or_b64 exec, exec, s[10:11]
	buffer_load_dword v45, off, s[0:3], 0 offset:40
	v_cmp_lt_u32_e64 s[4:5], 10, v0
	s_waitcnt vmcnt(0)
	ds_write_b32 v38, v45
	s_waitcnt lgkmcnt(0)
	; wave barrier
	s_waitcnt lgkmcnt(0)
	s_and_saveexec_b64 s[10:11], s[4:5]
	s_cbranch_execz .LBB81_66
; %bb.57:
	s_andn2_b64 vcc, exec, s[8:9]
	s_cbranch_vccnz .LBB81_59
; %bb.58:
	buffer_load_dword v45, v39, s[0:3], 0 offen
	ds_read_b32 v46, v38
	s_waitcnt vmcnt(0) lgkmcnt(0)
	v_mul_f32_e32 v45, v45, v46
	s_cbranch_execz .LBB81_60
	s_branch .LBB81_61
.LBB81_59:
                                        ; implicit-def: $vgpr45
.LBB81_60:
	ds_read_b32 v45, v38
.LBB81_61:
	s_and_saveexec_b64 s[12:13], s[6:7]
	s_cbranch_execz .LBB81_65
; %bb.62:
	v_mov_b32_e32 v46, 0
	v_add_u32_e32 v46, 44, v46
	v_add_u32_e32 v47, -11, v0
	s_movk_i32 s14, 0x7c
	s_mov_b64 s[6:7], 0
.LBB81_63:                              ; =>This Inner Loop Header: Depth=1
	buffer_load_dword v48, v46, s[0:3], 0 offen
	v_mov_b32_e32 v49, s14
	ds_read_b32 v49, v49
	v_add_u32_e32 v47, -1, v47
	s_add_i32 s14, s14, 4
	v_cmp_eq_u32_e32 vcc, 0, v47
	v_add_u32_e32 v46, 4, v46
	s_or_b64 s[6:7], vcc, s[6:7]
	s_waitcnt vmcnt(0) lgkmcnt(0)
	v_fmac_f32_e32 v45, v48, v49
	s_andn2_b64 exec, exec, s[6:7]
	s_cbranch_execnz .LBB81_63
; %bb.64:
	s_or_b64 exec, exec, s[6:7]
.LBB81_65:
	s_or_b64 exec, exec, s[12:13]
	v_mov_b32_e32 v46, 0
	ds_read_b32 v46, v46 offset:40
	s_waitcnt lgkmcnt(0)
	v_mul_f32_e32 v45, v45, v46
	buffer_store_dword v45, off, s[0:3], 0 offset:40
.LBB81_66:
	s_or_b64 exec, exec, s[10:11]
	buffer_load_dword v45, off, s[0:3], 0 offset:36
	v_cmp_lt_u32_e64 s[6:7], 9, v0
	s_waitcnt vmcnt(0)
	ds_write_b32 v38, v45
	s_waitcnt lgkmcnt(0)
	; wave barrier
	s_waitcnt lgkmcnt(0)
	s_and_saveexec_b64 s[10:11], s[6:7]
	s_cbranch_execz .LBB81_76
; %bb.67:
	s_andn2_b64 vcc, exec, s[8:9]
	s_cbranch_vccnz .LBB81_69
; %bb.68:
	buffer_load_dword v45, v39, s[0:3], 0 offen
	ds_read_b32 v46, v38
	s_waitcnt vmcnt(0) lgkmcnt(0)
	v_mul_f32_e32 v45, v45, v46
	s_cbranch_execz .LBB81_70
	s_branch .LBB81_71
.LBB81_69:
                                        ; implicit-def: $vgpr45
.LBB81_70:
	ds_read_b32 v45, v38
.LBB81_71:
	s_and_saveexec_b64 s[12:13], s[4:5]
	s_cbranch_execz .LBB81_75
; %bb.72:
	v_add_u32_e32 v46, -10, v0
	s_movk_i32 s14, 0x78
	s_mov_b64 s[4:5], 0
.LBB81_73:                              ; =>This Inner Loop Header: Depth=1
	buffer_load_dword v47, v44, s[0:3], 0 offen
	v_mov_b32_e32 v48, s14
	ds_read_b32 v48, v48
	v_add_u32_e32 v46, -1, v46
	s_add_i32 s14, s14, 4
	v_cmp_eq_u32_e32 vcc, 0, v46
	v_add_u32_e32 v44, 4, v44
	s_or_b64 s[4:5], vcc, s[4:5]
	s_waitcnt vmcnt(0) lgkmcnt(0)
	v_fmac_f32_e32 v45, v47, v48
	s_andn2_b64 exec, exec, s[4:5]
	s_cbranch_execnz .LBB81_73
; %bb.74:
	s_or_b64 exec, exec, s[4:5]
.LBB81_75:
	s_or_b64 exec, exec, s[12:13]
	v_mov_b32_e32 v44, 0
	ds_read_b32 v44, v44 offset:36
	s_waitcnt lgkmcnt(0)
	v_mul_f32_e32 v44, v45, v44
	buffer_store_dword v44, off, s[0:3], 0 offset:36
.LBB81_76:
	s_or_b64 exec, exec, s[10:11]
	buffer_load_dword v44, off, s[0:3], 0 offset:32
	v_cmp_lt_u32_e64 s[4:5], 8, v0
	s_waitcnt vmcnt(0)
	ds_write_b32 v38, v44
	s_waitcnt lgkmcnt(0)
	; wave barrier
	s_waitcnt lgkmcnt(0)
	s_and_saveexec_b64 s[10:11], s[4:5]
	s_cbranch_execz .LBB81_86
; %bb.77:
	s_andn2_b64 vcc, exec, s[8:9]
	s_cbranch_vccnz .LBB81_79
; %bb.78:
	buffer_load_dword v44, v39, s[0:3], 0 offen
	ds_read_b32 v45, v38
	s_waitcnt vmcnt(0) lgkmcnt(0)
	v_mul_f32_e32 v44, v44, v45
	s_cbranch_execz .LBB81_80
	s_branch .LBB81_81
.LBB81_79:
                                        ; implicit-def: $vgpr44
.LBB81_80:
	ds_read_b32 v44, v38
.LBB81_81:
	s_and_saveexec_b64 s[12:13], s[6:7]
	s_cbranch_execz .LBB81_85
; %bb.82:
	v_mov_b32_e32 v45, 0
	v_add_u32_e32 v45, 36, v45
	v_add_u32_e32 v46, -9, v0
	s_movk_i32 s14, 0x74
	s_mov_b64 s[6:7], 0
.LBB81_83:                              ; =>This Inner Loop Header: Depth=1
	buffer_load_dword v47, v45, s[0:3], 0 offen
	v_mov_b32_e32 v48, s14
	ds_read_b32 v48, v48
	v_add_u32_e32 v46, -1, v46
	s_add_i32 s14, s14, 4
	v_cmp_eq_u32_e32 vcc, 0, v46
	v_add_u32_e32 v45, 4, v45
	s_or_b64 s[6:7], vcc, s[6:7]
	s_waitcnt vmcnt(0) lgkmcnt(0)
	v_fmac_f32_e32 v44, v47, v48
	s_andn2_b64 exec, exec, s[6:7]
	s_cbranch_execnz .LBB81_83
; %bb.84:
	s_or_b64 exec, exec, s[6:7]
.LBB81_85:
	s_or_b64 exec, exec, s[12:13]
	v_mov_b32_e32 v45, 0
	ds_read_b32 v45, v45 offset:32
	s_waitcnt lgkmcnt(0)
	v_mul_f32_e32 v44, v44, v45
	buffer_store_dword v44, off, s[0:3], 0 offset:32
.LBB81_86:
	s_or_b64 exec, exec, s[10:11]
	buffer_load_dword v44, off, s[0:3], 0 offset:28
	v_cmp_lt_u32_e64 s[6:7], 7, v0
	s_waitcnt vmcnt(0)
	ds_write_b32 v38, v44
	s_waitcnt lgkmcnt(0)
	; wave barrier
	s_waitcnt lgkmcnt(0)
	s_and_saveexec_b64 s[10:11], s[6:7]
	s_cbranch_execz .LBB81_96
; %bb.87:
	s_andn2_b64 vcc, exec, s[8:9]
	s_cbranch_vccnz .LBB81_89
; %bb.88:
	buffer_load_dword v44, v39, s[0:3], 0 offen
	ds_read_b32 v45, v38
	s_waitcnt vmcnt(0) lgkmcnt(0)
	v_mul_f32_e32 v44, v44, v45
	s_cbranch_execz .LBB81_90
	s_branch .LBB81_91
.LBB81_89:
                                        ; implicit-def: $vgpr44
.LBB81_90:
	ds_read_b32 v44, v38
.LBB81_91:
	s_and_saveexec_b64 s[12:13], s[4:5]
	s_cbranch_execz .LBB81_95
; %bb.92:
	v_add_u32_e32 v45, -8, v0
	s_movk_i32 s14, 0x70
	s_mov_b64 s[4:5], 0
.LBB81_93:                              ; =>This Inner Loop Header: Depth=1
	buffer_load_dword v46, v43, s[0:3], 0 offen
	v_mov_b32_e32 v47, s14
	ds_read_b32 v47, v47
	v_add_u32_e32 v45, -1, v45
	s_add_i32 s14, s14, 4
	v_cmp_eq_u32_e32 vcc, 0, v45
	v_add_u32_e32 v43, 4, v43
	s_or_b64 s[4:5], vcc, s[4:5]
	s_waitcnt vmcnt(0) lgkmcnt(0)
	v_fmac_f32_e32 v44, v46, v47
	s_andn2_b64 exec, exec, s[4:5]
	s_cbranch_execnz .LBB81_93
; %bb.94:
	s_or_b64 exec, exec, s[4:5]
.LBB81_95:
	s_or_b64 exec, exec, s[12:13]
	v_mov_b32_e32 v43, 0
	ds_read_b32 v43, v43 offset:28
	s_waitcnt lgkmcnt(0)
	v_mul_f32_e32 v43, v44, v43
	buffer_store_dword v43, off, s[0:3], 0 offset:28
.LBB81_96:
	s_or_b64 exec, exec, s[10:11]
	buffer_load_dword v43, off, s[0:3], 0 offset:24
	v_cmp_lt_u32_e64 s[4:5], 6, v0
	s_waitcnt vmcnt(0)
	ds_write_b32 v38, v43
	s_waitcnt lgkmcnt(0)
	; wave barrier
	s_waitcnt lgkmcnt(0)
	s_and_saveexec_b64 s[10:11], s[4:5]
	s_cbranch_execz .LBB81_106
; %bb.97:
	s_andn2_b64 vcc, exec, s[8:9]
	s_cbranch_vccnz .LBB81_99
; %bb.98:
	buffer_load_dword v43, v39, s[0:3], 0 offen
	ds_read_b32 v44, v38
	s_waitcnt vmcnt(0) lgkmcnt(0)
	v_mul_f32_e32 v43, v43, v44
	s_cbranch_execz .LBB81_100
	s_branch .LBB81_101
.LBB81_99:
                                        ; implicit-def: $vgpr43
.LBB81_100:
	ds_read_b32 v43, v38
.LBB81_101:
	s_and_saveexec_b64 s[12:13], s[6:7]
	s_cbranch_execz .LBB81_105
; %bb.102:
	v_mov_b32_e32 v44, 0
	v_add_u32_e32 v44, 28, v44
	v_add_u32_e32 v45, -7, v0
	s_movk_i32 s14, 0x6c
	s_mov_b64 s[6:7], 0
.LBB81_103:                             ; =>This Inner Loop Header: Depth=1
	buffer_load_dword v46, v44, s[0:3], 0 offen
	v_mov_b32_e32 v47, s14
	ds_read_b32 v47, v47
	v_add_u32_e32 v45, -1, v45
	s_add_i32 s14, s14, 4
	v_cmp_eq_u32_e32 vcc, 0, v45
	v_add_u32_e32 v44, 4, v44
	s_or_b64 s[6:7], vcc, s[6:7]
	s_waitcnt vmcnt(0) lgkmcnt(0)
	v_fmac_f32_e32 v43, v46, v47
	s_andn2_b64 exec, exec, s[6:7]
	s_cbranch_execnz .LBB81_103
; %bb.104:
	s_or_b64 exec, exec, s[6:7]
.LBB81_105:
	s_or_b64 exec, exec, s[12:13]
	v_mov_b32_e32 v44, 0
	ds_read_b32 v44, v44 offset:24
	s_waitcnt lgkmcnt(0)
	v_mul_f32_e32 v43, v43, v44
	buffer_store_dword v43, off, s[0:3], 0 offset:24
.LBB81_106:
	s_or_b64 exec, exec, s[10:11]
	buffer_load_dword v43, off, s[0:3], 0 offset:20
	v_cmp_lt_u32_e64 s[6:7], 5, v0
	s_waitcnt vmcnt(0)
	ds_write_b32 v38, v43
	s_waitcnt lgkmcnt(0)
	; wave barrier
	s_waitcnt lgkmcnt(0)
	s_and_saveexec_b64 s[10:11], s[6:7]
	s_cbranch_execz .LBB81_116
; %bb.107:
	s_andn2_b64 vcc, exec, s[8:9]
	s_cbranch_vccnz .LBB81_109
; %bb.108:
	buffer_load_dword v43, v39, s[0:3], 0 offen
	ds_read_b32 v44, v38
	s_waitcnt vmcnt(0) lgkmcnt(0)
	v_mul_f32_e32 v43, v43, v44
	s_cbranch_execz .LBB81_110
	s_branch .LBB81_111
.LBB81_109:
                                        ; implicit-def: $vgpr43
.LBB81_110:
	ds_read_b32 v43, v38
.LBB81_111:
	s_and_saveexec_b64 s[12:13], s[4:5]
	s_cbranch_execz .LBB81_115
; %bb.112:
	v_add_u32_e32 v44, -6, v0
	s_movk_i32 s14, 0x68
	s_mov_b64 s[4:5], 0
.LBB81_113:                             ; =>This Inner Loop Header: Depth=1
	buffer_load_dword v45, v42, s[0:3], 0 offen
	v_mov_b32_e32 v46, s14
	ds_read_b32 v46, v46
	v_add_u32_e32 v44, -1, v44
	s_add_i32 s14, s14, 4
	v_cmp_eq_u32_e32 vcc, 0, v44
	v_add_u32_e32 v42, 4, v42
	s_or_b64 s[4:5], vcc, s[4:5]
	s_waitcnt vmcnt(0) lgkmcnt(0)
	v_fmac_f32_e32 v43, v45, v46
	s_andn2_b64 exec, exec, s[4:5]
	s_cbranch_execnz .LBB81_113
; %bb.114:
	s_or_b64 exec, exec, s[4:5]
.LBB81_115:
	s_or_b64 exec, exec, s[12:13]
	v_mov_b32_e32 v42, 0
	ds_read_b32 v42, v42 offset:20
	s_waitcnt lgkmcnt(0)
	v_mul_f32_e32 v42, v43, v42
	buffer_store_dword v42, off, s[0:3], 0 offset:20
.LBB81_116:
	s_or_b64 exec, exec, s[10:11]
	buffer_load_dword v42, off, s[0:3], 0 offset:16
	v_cmp_lt_u32_e64 s[4:5], 4, v0
	s_waitcnt vmcnt(0)
	ds_write_b32 v38, v42
	s_waitcnt lgkmcnt(0)
	; wave barrier
	s_waitcnt lgkmcnt(0)
	s_and_saveexec_b64 s[10:11], s[4:5]
	s_cbranch_execz .LBB81_126
; %bb.117:
	s_andn2_b64 vcc, exec, s[8:9]
	s_cbranch_vccnz .LBB81_119
; %bb.118:
	buffer_load_dword v42, v39, s[0:3], 0 offen
	ds_read_b32 v43, v38
	s_waitcnt vmcnt(0) lgkmcnt(0)
	v_mul_f32_e32 v42, v42, v43
	s_cbranch_execz .LBB81_120
	s_branch .LBB81_121
.LBB81_119:
                                        ; implicit-def: $vgpr42
.LBB81_120:
	ds_read_b32 v42, v38
.LBB81_121:
	s_and_saveexec_b64 s[12:13], s[6:7]
	s_cbranch_execz .LBB81_125
; %bb.122:
	v_mov_b32_e32 v43, 0
	v_add_u32_e32 v43, 20, v43
	v_add_u32_e32 v44, -5, v0
	s_movk_i32 s14, 0x64
	s_mov_b64 s[6:7], 0
.LBB81_123:                             ; =>This Inner Loop Header: Depth=1
	buffer_load_dword v45, v43, s[0:3], 0 offen
	v_mov_b32_e32 v46, s14
	ds_read_b32 v46, v46
	v_add_u32_e32 v44, -1, v44
	s_add_i32 s14, s14, 4
	v_cmp_eq_u32_e32 vcc, 0, v44
	v_add_u32_e32 v43, 4, v43
	s_or_b64 s[6:7], vcc, s[6:7]
	s_waitcnt vmcnt(0) lgkmcnt(0)
	v_fmac_f32_e32 v42, v45, v46
	s_andn2_b64 exec, exec, s[6:7]
	s_cbranch_execnz .LBB81_123
; %bb.124:
	s_or_b64 exec, exec, s[6:7]
.LBB81_125:
	s_or_b64 exec, exec, s[12:13]
	v_mov_b32_e32 v43, 0
	ds_read_b32 v43, v43 offset:16
	s_waitcnt lgkmcnt(0)
	v_mul_f32_e32 v42, v42, v43
	buffer_store_dword v42, off, s[0:3], 0 offset:16
.LBB81_126:
	s_or_b64 exec, exec, s[10:11]
	buffer_load_dword v42, off, s[0:3], 0 offset:12
	v_cmp_lt_u32_e64 s[6:7], 3, v0
	s_waitcnt vmcnt(0)
	ds_write_b32 v38, v42
	s_waitcnt lgkmcnt(0)
	; wave barrier
	s_waitcnt lgkmcnt(0)
	s_and_saveexec_b64 s[10:11], s[6:7]
	s_cbranch_execz .LBB81_136
; %bb.127:
	s_andn2_b64 vcc, exec, s[8:9]
	s_cbranch_vccnz .LBB81_129
; %bb.128:
	buffer_load_dword v42, v39, s[0:3], 0 offen
	ds_read_b32 v43, v38
	s_waitcnt vmcnt(0) lgkmcnt(0)
	v_mul_f32_e32 v42, v42, v43
	s_cbranch_execz .LBB81_130
	s_branch .LBB81_131
.LBB81_129:
                                        ; implicit-def: $vgpr42
.LBB81_130:
	ds_read_b32 v42, v38
.LBB81_131:
	s_and_saveexec_b64 s[12:13], s[4:5]
	s_cbranch_execz .LBB81_135
; %bb.132:
	v_add_u32_e32 v43, -4, v0
	s_movk_i32 s14, 0x60
	s_mov_b64 s[4:5], 0
.LBB81_133:                             ; =>This Inner Loop Header: Depth=1
	buffer_load_dword v44, v41, s[0:3], 0 offen
	v_mov_b32_e32 v45, s14
	ds_read_b32 v45, v45
	v_add_u32_e32 v43, -1, v43
	s_add_i32 s14, s14, 4
	v_cmp_eq_u32_e32 vcc, 0, v43
	v_add_u32_e32 v41, 4, v41
	s_or_b64 s[4:5], vcc, s[4:5]
	s_waitcnt vmcnt(0) lgkmcnt(0)
	v_fmac_f32_e32 v42, v44, v45
	s_andn2_b64 exec, exec, s[4:5]
	s_cbranch_execnz .LBB81_133
; %bb.134:
	s_or_b64 exec, exec, s[4:5]
.LBB81_135:
	s_or_b64 exec, exec, s[12:13]
	v_mov_b32_e32 v41, 0
	ds_read_b32 v41, v41 offset:12
	s_waitcnt lgkmcnt(0)
	v_mul_f32_e32 v41, v42, v41
	buffer_store_dword v41, off, s[0:3], 0 offset:12
.LBB81_136:
	s_or_b64 exec, exec, s[10:11]
	buffer_load_dword v41, off, s[0:3], 0 offset:8
	v_cmp_lt_u32_e64 s[4:5], 2, v0
	s_waitcnt vmcnt(0)
	ds_write_b32 v38, v41
	s_waitcnt lgkmcnt(0)
	; wave barrier
	s_waitcnt lgkmcnt(0)
	s_and_saveexec_b64 s[10:11], s[4:5]
	s_cbranch_execz .LBB81_146
; %bb.137:
	s_andn2_b64 vcc, exec, s[8:9]
	s_cbranch_vccnz .LBB81_139
; %bb.138:
	buffer_load_dword v41, v39, s[0:3], 0 offen
	ds_read_b32 v42, v38
	s_waitcnt vmcnt(0) lgkmcnt(0)
	v_mul_f32_e32 v41, v41, v42
	s_cbranch_execz .LBB81_140
	s_branch .LBB81_141
.LBB81_139:
                                        ; implicit-def: $vgpr41
.LBB81_140:
	ds_read_b32 v41, v38
.LBB81_141:
	s_and_saveexec_b64 s[12:13], s[6:7]
	s_cbranch_execz .LBB81_145
; %bb.142:
	v_mov_b32_e32 v42, 0
	v_or_b32_e32 v42, 12, v42
	v_add_u32_e32 v43, -3, v0
	s_movk_i32 s14, 0x5c
	s_mov_b64 s[6:7], 0
.LBB81_143:                             ; =>This Inner Loop Header: Depth=1
	buffer_load_dword v44, v42, s[0:3], 0 offen
	v_mov_b32_e32 v45, s14
	ds_read_b32 v45, v45
	v_add_u32_e32 v43, -1, v43
	s_add_i32 s14, s14, 4
	v_cmp_eq_u32_e32 vcc, 0, v43
	v_add_u32_e32 v42, 4, v42
	s_or_b64 s[6:7], vcc, s[6:7]
	s_waitcnt vmcnt(0) lgkmcnt(0)
	v_fmac_f32_e32 v41, v44, v45
	s_andn2_b64 exec, exec, s[6:7]
	s_cbranch_execnz .LBB81_143
; %bb.144:
	s_or_b64 exec, exec, s[6:7]
.LBB81_145:
	s_or_b64 exec, exec, s[12:13]
	v_mov_b32_e32 v42, 0
	ds_read_b32 v42, v42 offset:8
	s_waitcnt lgkmcnt(0)
	v_mul_f32_e32 v41, v41, v42
	buffer_store_dword v41, off, s[0:3], 0 offset:8
.LBB81_146:
	s_or_b64 exec, exec, s[10:11]
	buffer_load_dword v41, off, s[0:3], 0 offset:4
	v_cmp_lt_u32_e64 s[6:7], 1, v0
	s_waitcnt vmcnt(0)
	ds_write_b32 v38, v41
	s_waitcnt lgkmcnt(0)
	; wave barrier
	s_waitcnt lgkmcnt(0)
	s_and_saveexec_b64 s[10:11], s[6:7]
	s_cbranch_execz .LBB81_156
; %bb.147:
	s_andn2_b64 vcc, exec, s[8:9]
	s_cbranch_vccnz .LBB81_149
; %bb.148:
	buffer_load_dword v41, v39, s[0:3], 0 offen
	ds_read_b32 v42, v38
	s_waitcnt vmcnt(0) lgkmcnt(0)
	v_mul_f32_e32 v41, v41, v42
	s_cbranch_execz .LBB81_150
	s_branch .LBB81_151
.LBB81_149:
                                        ; implicit-def: $vgpr41
.LBB81_150:
	ds_read_b32 v41, v38
.LBB81_151:
	s_and_saveexec_b64 s[12:13], s[4:5]
	s_cbranch_execz .LBB81_155
; %bb.152:
	v_add_u32_e32 v42, -2, v0
	s_movk_i32 s14, 0x58
	s_mov_b64 s[4:5], 0
.LBB81_153:                             ; =>This Inner Loop Header: Depth=1
	buffer_load_dword v43, v40, s[0:3], 0 offen
	v_mov_b32_e32 v44, s14
	ds_read_b32 v44, v44
	v_add_u32_e32 v42, -1, v42
	s_add_i32 s14, s14, 4
	v_cmp_eq_u32_e32 vcc, 0, v42
	v_add_u32_e32 v40, 4, v40
	s_or_b64 s[4:5], vcc, s[4:5]
	s_waitcnt vmcnt(0) lgkmcnt(0)
	v_fmac_f32_e32 v41, v43, v44
	s_andn2_b64 exec, exec, s[4:5]
	s_cbranch_execnz .LBB81_153
; %bb.154:
	s_or_b64 exec, exec, s[4:5]
.LBB81_155:
	s_or_b64 exec, exec, s[12:13]
	v_mov_b32_e32 v40, 0
	ds_read_b32 v40, v40 offset:4
	s_waitcnt lgkmcnt(0)
	v_mul_f32_e32 v40, v41, v40
	buffer_store_dword v40, off, s[0:3], 0 offset:4
.LBB81_156:
	s_or_b64 exec, exec, s[10:11]
	buffer_load_dword v40, off, s[0:3], 0
	v_cmp_ne_u32_e32 vcc, 0, v0
	s_waitcnt vmcnt(0)
	ds_write_b32 v38, v40
	s_waitcnt lgkmcnt(0)
	; wave barrier
	s_waitcnt lgkmcnt(0)
	s_and_saveexec_b64 s[4:5], vcc
	s_cbranch_execz .LBB81_166
; %bb.157:
	s_andn2_b64 vcc, exec, s[8:9]
	s_cbranch_vccnz .LBB81_159
; %bb.158:
	buffer_load_dword v40, v39, s[0:3], 0 offen
	ds_read_b32 v41, v38
	s_waitcnt vmcnt(0) lgkmcnt(0)
	v_mul_f32_e32 v40, v40, v41
	s_cbranch_execz .LBB81_160
	s_branch .LBB81_161
.LBB81_159:
                                        ; implicit-def: $vgpr40
.LBB81_160:
	ds_read_b32 v40, v38
.LBB81_161:
	s_and_saveexec_b64 s[10:11], s[6:7]
	s_cbranch_execz .LBB81_165
; %bb.162:
	v_mov_b32_e32 v41, 0
	v_or_b32_e32 v41, 4, v41
	v_add_u32_e32 v42, -1, v0
	s_movk_i32 s12, 0x54
	s_mov_b64 s[6:7], 0
.LBB81_163:                             ; =>This Inner Loop Header: Depth=1
	buffer_load_dword v43, v41, s[0:3], 0 offen
	v_mov_b32_e32 v44, s12
	ds_read_b32 v44, v44
	v_add_u32_e32 v42, -1, v42
	s_add_i32 s12, s12, 4
	v_cmp_eq_u32_e32 vcc, 0, v42
	v_add_u32_e32 v41, 4, v41
	s_or_b64 s[6:7], vcc, s[6:7]
	s_waitcnt vmcnt(0) lgkmcnt(0)
	v_fmac_f32_e32 v40, v43, v44
	s_andn2_b64 exec, exec, s[6:7]
	s_cbranch_execnz .LBB81_163
; %bb.164:
	s_or_b64 exec, exec, s[6:7]
.LBB81_165:
	s_or_b64 exec, exec, s[10:11]
	v_mov_b32_e32 v41, 0
	ds_read_b32 v41, v41
	s_waitcnt lgkmcnt(0)
	v_mul_f32_e32 v40, v40, v41
	buffer_store_dword v40, off, s[0:3], 0
.LBB81_166:
	s_or_b64 exec, exec, s[4:5]
	s_mov_b64 s[4:5], 0
.LBB81_167:
	s_and_b64 vcc, exec, s[4:5]
	s_cbranch_vccz .LBB81_331
; %bb.168:
	buffer_load_dword v40, off, s[0:3], 0 offset:4
	v_cmp_eq_u32_e64 s[6:7], 0, v0
	s_waitcnt vmcnt(0)
	ds_write_b32 v38, v40
	s_waitcnt lgkmcnt(0)
	; wave barrier
	s_waitcnt lgkmcnt(0)
	s_and_saveexec_b64 s[4:5], s[6:7]
	s_cbranch_execz .LBB81_174
; %bb.169:
	s_and_b64 vcc, exec, s[8:9]
	s_cbranch_vccz .LBB81_171
; %bb.170:
	buffer_load_dword v40, v39, s[0:3], 0 offen
	ds_read_b32 v41, v38
	s_waitcnt vmcnt(0) lgkmcnt(0)
	v_mul_f32_e32 v40, v40, v41
	s_cbranch_execz .LBB81_172
	s_branch .LBB81_173
.LBB81_171:
                                        ; implicit-def: $vgpr40
.LBB81_172:
	ds_read_b32 v40, v38
.LBB81_173:
	v_mov_b32_e32 v41, 0
	ds_read_b32 v41, v41 offset:4
	s_waitcnt lgkmcnt(0)
	v_mul_f32_e32 v40, v40, v41
	buffer_store_dword v40, off, s[0:3], 0 offset:4
.LBB81_174:
	s_or_b64 exec, exec, s[4:5]
	buffer_load_dword v40, off, s[0:3], 0 offset:8
	v_cndmask_b32_e64 v41, 0, 1, s[8:9]
	v_cmp_gt_u32_e32 vcc, 2, v0
	v_cmp_ne_u32_e64 s[4:5], 1, v41
	s_waitcnt vmcnt(0)
	ds_write_b32 v38, v40
	s_waitcnt lgkmcnt(0)
	; wave barrier
	s_waitcnt lgkmcnt(0)
	s_and_saveexec_b64 s[8:9], vcc
	s_cbranch_execz .LBB81_182
; %bb.175:
	s_and_b64 vcc, exec, s[4:5]
	s_cbranch_vccnz .LBB81_177
; %bb.176:
	buffer_load_dword v40, v39, s[0:3], 0 offen
	ds_read_b32 v41, v38
	s_waitcnt vmcnt(0) lgkmcnt(0)
	v_mul_f32_e32 v40, v40, v41
	s_cbranch_execz .LBB81_178
	s_branch .LBB81_179
.LBB81_177:
                                        ; implicit-def: $vgpr40
.LBB81_178:
	ds_read_b32 v40, v38
.LBB81_179:
	s_and_saveexec_b64 s[10:11], s[6:7]
	s_cbranch_execz .LBB81_181
; %bb.180:
	buffer_load_dword v41, v39, s[0:3], 0 offen offset:4
	ds_read_b32 v42, v38 offset:4
	s_waitcnt vmcnt(0) lgkmcnt(0)
	v_fmac_f32_e32 v40, v41, v42
.LBB81_181:
	s_or_b64 exec, exec, s[10:11]
	v_mov_b32_e32 v41, 0
	ds_read_b32 v41, v41 offset:8
	s_waitcnt lgkmcnt(0)
	v_mul_f32_e32 v40, v40, v41
	buffer_store_dword v40, off, s[0:3], 0 offset:8
.LBB81_182:
	s_or_b64 exec, exec, s[8:9]
	buffer_load_dword v40, off, s[0:3], 0 offset:12
	v_cmp_gt_u32_e32 vcc, 3, v0
	s_waitcnt vmcnt(0)
	ds_write_b32 v38, v40
	s_waitcnt lgkmcnt(0)
	; wave barrier
	s_waitcnt lgkmcnt(0)
	s_and_saveexec_b64 s[8:9], vcc
	s_cbranch_execz .LBB81_190
; %bb.183:
	s_and_b64 vcc, exec, s[4:5]
	s_cbranch_vccnz .LBB81_185
; %bb.184:
	buffer_load_dword v40, v39, s[0:3], 0 offen
	ds_read_b32 v41, v38
	s_waitcnt vmcnt(0) lgkmcnt(0)
	v_mul_f32_e32 v40, v40, v41
	s_cbranch_execz .LBB81_186
	s_branch .LBB81_187
.LBB81_185:
                                        ; implicit-def: $vgpr40
.LBB81_186:
	ds_read_b32 v40, v38
.LBB81_187:
	v_cmp_ne_u32_e32 vcc, 2, v0
	s_and_saveexec_b64 s[10:11], vcc
	s_cbranch_execz .LBB81_189
; %bb.188:
	buffer_load_dword v41, v39, s[0:3], 0 offen offset:4
	buffer_load_dword v42, off, s[0:3], 0 offset:8
	v_mov_b32_e32 v43, 0
	ds_read_b32 v44, v38 offset:4
	ds_read_b32 v43, v43 offset:88
	s_waitcnt vmcnt(1) lgkmcnt(1)
	v_fmac_f32_e32 v40, v41, v44
	s_waitcnt vmcnt(0) lgkmcnt(0)
	v_fma_f32 v41, v42, v43, v40
	v_cndmask_b32_e64 v40, v40, v41, s[6:7]
.LBB81_189:
	s_or_b64 exec, exec, s[10:11]
	v_mov_b32_e32 v41, 0
	ds_read_b32 v41, v41 offset:12
	s_waitcnt lgkmcnt(0)
	v_mul_f32_e32 v40, v40, v41
	buffer_store_dword v40, off, s[0:3], 0 offset:12
.LBB81_190:
	s_or_b64 exec, exec, s[8:9]
	buffer_load_dword v40, off, s[0:3], 0 offset:16
	v_cmp_gt_u32_e32 vcc, 4, v0
	s_waitcnt vmcnt(0)
	ds_write_b32 v38, v40
	s_waitcnt lgkmcnt(0)
	; wave barrier
	s_waitcnt lgkmcnt(0)
	s_and_saveexec_b64 s[6:7], vcc
	s_cbranch_execz .LBB81_200
; %bb.191:
	s_and_b64 vcc, exec, s[4:5]
	s_cbranch_vccnz .LBB81_193
; %bb.192:
	buffer_load_dword v40, v39, s[0:3], 0 offen
	ds_read_b32 v41, v38
	s_waitcnt vmcnt(0) lgkmcnt(0)
	v_mul_f32_e32 v40, v40, v41
	s_cbranch_execz .LBB81_194
	s_branch .LBB81_195
.LBB81_193:
                                        ; implicit-def: $vgpr40
.LBB81_194:
	ds_read_b32 v40, v38
.LBB81_195:
	v_cmp_ne_u32_e32 vcc, 3, v0
	s_and_saveexec_b64 s[8:9], vcc
	s_cbranch_execz .LBB81_199
; %bb.196:
	v_mov_b32_e32 v42, 0
	v_add_u32_e32 v41, 0x54, v1
	v_add3_u32 v42, v1, v42, 4
	s_mov_b64 s[10:11], 0
	v_mov_b32_e32 v43, v0
.LBB81_197:                             ; =>This Inner Loop Header: Depth=1
	buffer_load_dword v44, v42, s[0:3], 0 offen
	ds_read_b32 v45, v41
	v_add_u32_e32 v43, 1, v43
	v_cmp_lt_u32_e32 vcc, 2, v43
	v_add_u32_e32 v41, 4, v41
	v_add_u32_e32 v42, 4, v42
	s_or_b64 s[10:11], vcc, s[10:11]
	s_waitcnt vmcnt(0) lgkmcnt(0)
	v_fmac_f32_e32 v40, v44, v45
	s_andn2_b64 exec, exec, s[10:11]
	s_cbranch_execnz .LBB81_197
; %bb.198:
	s_or_b64 exec, exec, s[10:11]
.LBB81_199:
	s_or_b64 exec, exec, s[8:9]
	v_mov_b32_e32 v41, 0
	ds_read_b32 v41, v41 offset:16
	s_waitcnt lgkmcnt(0)
	v_mul_f32_e32 v40, v40, v41
	buffer_store_dword v40, off, s[0:3], 0 offset:16
.LBB81_200:
	s_or_b64 exec, exec, s[6:7]
	buffer_load_dword v40, off, s[0:3], 0 offset:20
	v_cmp_gt_u32_e32 vcc, 5, v0
	s_waitcnt vmcnt(0)
	ds_write_b32 v38, v40
	s_waitcnt lgkmcnt(0)
	; wave barrier
	s_waitcnt lgkmcnt(0)
	s_and_saveexec_b64 s[6:7], vcc
	s_cbranch_execz .LBB81_210
; %bb.201:
	s_and_b64 vcc, exec, s[4:5]
	s_cbranch_vccnz .LBB81_203
; %bb.202:
	buffer_load_dword v40, v39, s[0:3], 0 offen
	ds_read_b32 v41, v38
	s_waitcnt vmcnt(0) lgkmcnt(0)
	v_mul_f32_e32 v40, v40, v41
	s_cbranch_execz .LBB81_204
	s_branch .LBB81_205
.LBB81_203:
                                        ; implicit-def: $vgpr40
.LBB81_204:
	ds_read_b32 v40, v38
.LBB81_205:
	v_cmp_ne_u32_e32 vcc, 4, v0
	s_and_saveexec_b64 s[8:9], vcc
	s_cbranch_execz .LBB81_209
; %bb.206:
	v_mov_b32_e32 v42, 0
	v_add_u32_e32 v41, 0x54, v1
	v_add3_u32 v42, v1, v42, 4
	s_mov_b64 s[10:11], 0
	v_mov_b32_e32 v43, v0
.LBB81_207:                             ; =>This Inner Loop Header: Depth=1
	buffer_load_dword v44, v42, s[0:3], 0 offen
	ds_read_b32 v45, v41
	v_add_u32_e32 v43, 1, v43
	v_cmp_lt_u32_e32 vcc, 3, v43
	v_add_u32_e32 v41, 4, v41
	v_add_u32_e32 v42, 4, v42
	s_or_b64 s[10:11], vcc, s[10:11]
	s_waitcnt vmcnt(0) lgkmcnt(0)
	v_fmac_f32_e32 v40, v44, v45
	s_andn2_b64 exec, exec, s[10:11]
	s_cbranch_execnz .LBB81_207
; %bb.208:
	s_or_b64 exec, exec, s[10:11]
.LBB81_209:
	s_or_b64 exec, exec, s[8:9]
	v_mov_b32_e32 v41, 0
	ds_read_b32 v41, v41 offset:20
	s_waitcnt lgkmcnt(0)
	v_mul_f32_e32 v40, v40, v41
	buffer_store_dword v40, off, s[0:3], 0 offset:20
.LBB81_210:
	;; [unrolled: 56-line block ×12, first 2 shown]
	s_or_b64 exec, exec, s[6:7]
	buffer_load_dword v40, off, s[0:3], 0 offset:64
	v_cmp_gt_u32_e64 s[6:7], 16, v0
	s_waitcnt vmcnt(0)
	ds_write_b32 v38, v40
	s_waitcnt lgkmcnt(0)
	; wave barrier
	s_waitcnt lgkmcnt(0)
	s_and_saveexec_b64 s[8:9], s[6:7]
	s_cbranch_execz .LBB81_320
; %bb.311:
	s_and_b64 vcc, exec, s[4:5]
	s_cbranch_vccnz .LBB81_313
; %bb.312:
	buffer_load_dword v40, v39, s[0:3], 0 offen
	ds_read_b32 v41, v38
	s_waitcnt vmcnt(0) lgkmcnt(0)
	v_mul_f32_e32 v40, v40, v41
	s_cbranch_execz .LBB81_314
	s_branch .LBB81_315
.LBB81_313:
                                        ; implicit-def: $vgpr40
.LBB81_314:
	ds_read_b32 v40, v38
.LBB81_315:
	v_cmp_ne_u32_e32 vcc, 15, v0
	s_and_saveexec_b64 s[10:11], vcc
	s_cbranch_execz .LBB81_319
; %bb.316:
	v_mov_b32_e32 v42, 0
	v_add_u32_e32 v41, 0x54, v1
	v_add3_u32 v42, v1, v42, 4
	s_mov_b64 s[12:13], 0
	v_mov_b32_e32 v43, v0
.LBB81_317:                             ; =>This Inner Loop Header: Depth=1
	buffer_load_dword v44, v42, s[0:3], 0 offen
	ds_read_b32 v45, v41
	v_add_u32_e32 v43, 1, v43
	v_cmp_lt_u32_e32 vcc, 14, v43
	v_add_u32_e32 v41, 4, v41
	v_add_u32_e32 v42, 4, v42
	s_or_b64 s[12:13], vcc, s[12:13]
	s_waitcnt vmcnt(0) lgkmcnt(0)
	v_fmac_f32_e32 v40, v44, v45
	s_andn2_b64 exec, exec, s[12:13]
	s_cbranch_execnz .LBB81_317
; %bb.318:
	s_or_b64 exec, exec, s[12:13]
.LBB81_319:
	s_or_b64 exec, exec, s[10:11]
	v_mov_b32_e32 v41, 0
	ds_read_b32 v41, v41 offset:64
	s_waitcnt lgkmcnt(0)
	v_mul_f32_e32 v40, v40, v41
	buffer_store_dword v40, off, s[0:3], 0 offset:64
.LBB81_320:
	s_or_b64 exec, exec, s[8:9]
	buffer_load_dword v40, off, s[0:3], 0 offset:68
	v_cmp_ne_u32_e32 vcc, 17, v0
	s_waitcnt vmcnt(0)
	ds_write_b32 v38, v40
	s_waitcnt lgkmcnt(0)
	; wave barrier
	s_waitcnt lgkmcnt(0)
	s_and_saveexec_b64 s[8:9], vcc
	s_cbranch_execz .LBB81_330
; %bb.321:
	s_and_b64 vcc, exec, s[4:5]
	s_cbranch_vccnz .LBB81_323
; %bb.322:
	buffer_load_dword v39, v39, s[0:3], 0 offen
	ds_read_b32 v40, v38
	s_waitcnt vmcnt(0) lgkmcnt(0)
	v_mul_f32_e32 v39, v39, v40
	s_cbranch_execz .LBB81_324
	s_branch .LBB81_325
.LBB81_323:
                                        ; implicit-def: $vgpr39
.LBB81_324:
	ds_read_b32 v39, v38
.LBB81_325:
	s_and_saveexec_b64 s[4:5], s[6:7]
	s_cbranch_execz .LBB81_329
; %bb.326:
	v_mov_b32_e32 v40, 0
	v_add_u32_e32 v38, 0x54, v1
	v_add3_u32 v1, v1, v40, 4
	s_mov_b64 s[6:7], 0
.LBB81_327:                             ; =>This Inner Loop Header: Depth=1
	buffer_load_dword v40, v1, s[0:3], 0 offen
	ds_read_b32 v41, v38
	v_add_u32_e32 v0, 1, v0
	v_cmp_lt_u32_e32 vcc, 15, v0
	v_add_u32_e32 v38, 4, v38
	v_add_u32_e32 v1, 4, v1
	s_or_b64 s[6:7], vcc, s[6:7]
	s_waitcnt vmcnt(0) lgkmcnt(0)
	v_fmac_f32_e32 v39, v40, v41
	s_andn2_b64 exec, exec, s[6:7]
	s_cbranch_execnz .LBB81_327
; %bb.328:
	s_or_b64 exec, exec, s[6:7]
.LBB81_329:
	s_or_b64 exec, exec, s[4:5]
	v_mov_b32_e32 v0, 0
	ds_read_b32 v0, v0 offset:68
	s_waitcnt lgkmcnt(0)
	v_mul_f32_e32 v0, v39, v0
	buffer_store_dword v0, off, s[0:3], 0 offset:68
.LBB81_330:
	s_or_b64 exec, exec, s[8:9]
.LBB81_331:
	buffer_load_dword v0, off, s[0:3], 0
	buffer_load_dword v1, off, s[0:3], 0 offset:4
	buffer_load_dword v38, off, s[0:3], 0 offset:8
	;; [unrolled: 1-line block ×17, first 2 shown]
	s_waitcnt vmcnt(17)
	global_store_dword v[2:3], v0, off
	s_waitcnt vmcnt(17)
	global_store_dword v[4:5], v1, off
	;; [unrolled: 2-line block ×18, first 2 shown]
.LBB81_332:
	s_endpgm
	.section	.rodata,"a",@progbits
	.p2align	6, 0x0
	.amdhsa_kernel _ZN9rocsolver6v33100L18trti2_kernel_smallILi18EfPKPfEEv13rocblas_fill_17rocblas_diagonal_T1_iil
		.amdhsa_group_segment_fixed_size 152
		.amdhsa_private_segment_fixed_size 80
		.amdhsa_kernarg_size 32
		.amdhsa_user_sgpr_count 8
		.amdhsa_user_sgpr_private_segment_buffer 1
		.amdhsa_user_sgpr_dispatch_ptr 0
		.amdhsa_user_sgpr_queue_ptr 0
		.amdhsa_user_sgpr_kernarg_segment_ptr 1
		.amdhsa_user_sgpr_dispatch_id 0
		.amdhsa_user_sgpr_flat_scratch_init 1
		.amdhsa_user_sgpr_kernarg_preload_length 0
		.amdhsa_user_sgpr_kernarg_preload_offset 0
		.amdhsa_user_sgpr_private_segment_size 0
		.amdhsa_uses_dynamic_stack 0
		.amdhsa_system_sgpr_private_segment_wavefront_offset 1
		.amdhsa_system_sgpr_workgroup_id_x 1
		.amdhsa_system_sgpr_workgroup_id_y 0
		.amdhsa_system_sgpr_workgroup_id_z 0
		.amdhsa_system_sgpr_workgroup_info 0
		.amdhsa_system_vgpr_workitem_id 0
		.amdhsa_next_free_vgpr 57
		.amdhsa_next_free_sgpr 16
		.amdhsa_accum_offset 60
		.amdhsa_reserve_vcc 1
		.amdhsa_reserve_flat_scratch 0
		.amdhsa_float_round_mode_32 0
		.amdhsa_float_round_mode_16_64 0
		.amdhsa_float_denorm_mode_32 3
		.amdhsa_float_denorm_mode_16_64 3
		.amdhsa_dx10_clamp 1
		.amdhsa_ieee_mode 1
		.amdhsa_fp16_overflow 0
		.amdhsa_tg_split 0
		.amdhsa_exception_fp_ieee_invalid_op 0
		.amdhsa_exception_fp_denorm_src 0
		.amdhsa_exception_fp_ieee_div_zero 0
		.amdhsa_exception_fp_ieee_overflow 0
		.amdhsa_exception_fp_ieee_underflow 0
		.amdhsa_exception_fp_ieee_inexact 0
		.amdhsa_exception_int_div_zero 0
	.end_amdhsa_kernel
	.section	.text._ZN9rocsolver6v33100L18trti2_kernel_smallILi18EfPKPfEEv13rocblas_fill_17rocblas_diagonal_T1_iil,"axG",@progbits,_ZN9rocsolver6v33100L18trti2_kernel_smallILi18EfPKPfEEv13rocblas_fill_17rocblas_diagonal_T1_iil,comdat
.Lfunc_end81:
	.size	_ZN9rocsolver6v33100L18trti2_kernel_smallILi18EfPKPfEEv13rocblas_fill_17rocblas_diagonal_T1_iil, .Lfunc_end81-_ZN9rocsolver6v33100L18trti2_kernel_smallILi18EfPKPfEEv13rocblas_fill_17rocblas_diagonal_T1_iil
                                        ; -- End function
	.section	.AMDGPU.csdata,"",@progbits
; Kernel info:
; codeLenInByte = 8528
; NumSgprs: 20
; NumVgprs: 57
; NumAgprs: 0
; TotalNumVgprs: 57
; ScratchSize: 80
; MemoryBound: 0
; FloatMode: 240
; IeeeMode: 1
; LDSByteSize: 152 bytes/workgroup (compile time only)
; SGPRBlocks: 2
; VGPRBlocks: 7
; NumSGPRsForWavesPerEU: 20
; NumVGPRsForWavesPerEU: 57
; AccumOffset: 60
; Occupancy: 8
; WaveLimiterHint : 1
; COMPUTE_PGM_RSRC2:SCRATCH_EN: 1
; COMPUTE_PGM_RSRC2:USER_SGPR: 8
; COMPUTE_PGM_RSRC2:TRAP_HANDLER: 0
; COMPUTE_PGM_RSRC2:TGID_X_EN: 1
; COMPUTE_PGM_RSRC2:TGID_Y_EN: 0
; COMPUTE_PGM_RSRC2:TGID_Z_EN: 0
; COMPUTE_PGM_RSRC2:TIDIG_COMP_CNT: 0
; COMPUTE_PGM_RSRC3_GFX90A:ACCUM_OFFSET: 14
; COMPUTE_PGM_RSRC3_GFX90A:TG_SPLIT: 0
	.section	.text._ZN9rocsolver6v33100L18trti2_kernel_smallILi19EfPKPfEEv13rocblas_fill_17rocblas_diagonal_T1_iil,"axG",@progbits,_ZN9rocsolver6v33100L18trti2_kernel_smallILi19EfPKPfEEv13rocblas_fill_17rocblas_diagonal_T1_iil,comdat
	.globl	_ZN9rocsolver6v33100L18trti2_kernel_smallILi19EfPKPfEEv13rocblas_fill_17rocblas_diagonal_T1_iil ; -- Begin function _ZN9rocsolver6v33100L18trti2_kernel_smallILi19EfPKPfEEv13rocblas_fill_17rocblas_diagonal_T1_iil
	.p2align	8
	.type	_ZN9rocsolver6v33100L18trti2_kernel_smallILi19EfPKPfEEv13rocblas_fill_17rocblas_diagonal_T1_iil,@function
_ZN9rocsolver6v33100L18trti2_kernel_smallILi19EfPKPfEEv13rocblas_fill_17rocblas_diagonal_T1_iil: ; @_ZN9rocsolver6v33100L18trti2_kernel_smallILi19EfPKPfEEv13rocblas_fill_17rocblas_diagonal_T1_iil
; %bb.0:
	s_add_u32 s0, s0, s9
	s_addc_u32 s1, s1, 0
	v_cmp_gt_u32_e32 vcc, 19, v0
	s_and_saveexec_b64 s[6:7], vcc
	s_cbranch_execz .LBB82_352
; %bb.1:
	s_load_dwordx2 s[6:7], s[4:5], 0x10
	s_load_dwordx4 s[12:15], s[4:5], 0x0
	s_ashr_i32 s9, s8, 31
	s_lshl_b64 s[4:5], s[8:9], 3
	v_lshlrev_b32_e32 v1, 2, v0
	s_waitcnt lgkmcnt(0)
	s_ashr_i32 s9, s6, 31
	s_add_u32 s4, s14, s4
	s_addc_u32 s5, s15, s5
	s_load_dwordx2 s[4:5], s[4:5], 0x0
	s_mov_b32 s8, s6
	s_lshl_b64 s[8:9], s[8:9], 2
	s_waitcnt lgkmcnt(0)
	s_add_u32 s4, s4, s8
	s_addc_u32 s5, s5, s9
	v_mov_b32_e32 v3, s5
	v_add_co_u32_e32 v2, vcc, s4, v1
	s_ashr_i32 s9, s7, 31
	s_mov_b32 s8, s7
	s_add_i32 s6, s7, s7
	v_addc_co_u32_e32 v3, vcc, 0, v3, vcc
	s_lshl_b64 s[8:9], s[8:9], 2
	v_add_u32_e32 v8, s6, v0
	v_mov_b32_e32 v5, s9
	v_add_co_u32_e32 v4, vcc, s8, v2
	v_ashrrev_i32_e32 v9, 31, v8
	v_addc_co_u32_e32 v5, vcc, v3, v5, vcc
	v_lshlrev_b64 v[6:7], 2, v[8:9]
	v_add_u32_e32 v10, s7, v8
	v_mov_b32_e32 v9, s5
	v_add_co_u32_e32 v6, vcc, s4, v6
	v_ashrrev_i32_e32 v11, 31, v10
	v_addc_co_u32_e32 v7, vcc, v9, v7, vcc
	v_lshlrev_b64 v[8:9], 2, v[10:11]
	;; [unrolled: 6-line block ×16, first 2 shown]
	v_mov_b32_e32 v39, s5
	v_add_co_u32_e32 v36, vcc, s4, v36
	v_add_u32_e32 v38, s7, v38
	v_addc_co_u32_e32 v37, vcc, v39, v37, vcc
	v_ashrrev_i32_e32 v39, 31, v38
	v_lshlrev_b64 v[38:39], 2, v[38:39]
	global_load_dword v40, v1, s[4:5]
	v_mov_b32_e32 v49, s5
	v_add_co_u32_e32 v38, vcc, s4, v38
	global_load_dword v41, v[4:5], off
	global_load_dword v42, v[6:7], off
	;; [unrolled: 1-line block ×16, first 2 shown]
	v_addc_co_u32_e32 v39, vcc, v49, v39, vcc
	global_load_dword v58, v[36:37], off
	global_load_dword v59, v[38:39], off
	s_cmpk_lg_i32 s13, 0x84
	s_waitcnt vmcnt(18)
	buffer_store_dword v40, off, s[0:3], 0
	s_waitcnt vmcnt(18)
	buffer_store_dword v41, off, s[0:3], 0 offset:4
	v_mov_b32_e32 v49, 0
	s_cselect_b64 s[10:11], -1, 0
	s_cmpk_eq_i32 s13, 0x84
	v_mov_b32_e32 v40, -1.0
	s_waitcnt vmcnt(18)
	buffer_store_dword v42, off, s[0:3], 0 offset:8
	s_waitcnt vmcnt(18)
	buffer_store_dword v43, off, s[0:3], 0 offset:12
	;; [unrolled: 2-line block ×9, first 2 shown]
	buffer_store_dword v51, off, s[0:3], 0 offset:40
	s_waitcnt vmcnt(18)
	buffer_store_dword v53, off, s[0:3], 0 offset:48
	s_waitcnt vmcnt(18)
	;; [unrolled: 2-line block ×7, first 2 shown]
	buffer_store_dword v59, off, s[0:3], 0 offset:72
	s_cbranch_scc1 .LBB82_3
; %bb.2:
	v_lshl_add_u32 v40, v0, 2, v49
	buffer_load_dword v41, v40, s[0:3], 0 offen
	s_waitcnt vmcnt(0)
	v_div_scale_f32 v42, s[4:5], v41, v41, 1.0
	v_rcp_f32_e32 v43, v42
	v_div_scale_f32 v44, vcc, 1.0, v41, 1.0
	v_fma_f32 v45, -v42, v43, 1.0
	v_fmac_f32_e32 v43, v45, v43
	v_mul_f32_e32 v45, v44, v43
	v_fma_f32 v46, -v42, v45, v44
	v_fmac_f32_e32 v45, v46, v43
	v_fma_f32 v42, -v42, v45, v44
	v_div_fmas_f32 v42, v42, v43, v45
	v_div_fixup_f32 v41, v42, v41, 1.0
	buffer_store_dword v41, v40, s[0:3], 0 offen
	v_xor_b32_e32 v40, 0x80000000, v41
.LBB82_3:
	ds_write_b32 v1, v40
	s_cmpk_eq_i32 s12, 0x79
	v_add_u32_e32 v40, 0x50, v1
	v_add_u32_e32 v41, 0, v1
	s_mov_b64 s[4:5], -1
	s_cbranch_scc1 .LBB82_177
; %bb.4:
	buffer_load_dword v42, off, s[0:3], 0 offset:68
	v_cmp_eq_u32_e64 s[4:5], 18, v0
	s_waitcnt vmcnt(0)
	ds_write_b32 v40, v42
	s_waitcnt lgkmcnt(0)
	; wave barrier
	s_waitcnt lgkmcnt(0)
	s_and_saveexec_b64 s[6:7], s[4:5]
	s_cbranch_execz .LBB82_10
; %bb.5:
	s_and_b64 vcc, exec, s[10:11]
	s_cbranch_vccz .LBB82_7
; %bb.6:
	buffer_load_dword v42, v41, s[0:3], 0 offen
	ds_read_b32 v43, v40
	s_waitcnt vmcnt(0) lgkmcnt(0)
	v_mul_f32_e32 v42, v42, v43
	s_cbranch_execz .LBB82_8
	s_branch .LBB82_9
.LBB82_7:
                                        ; implicit-def: $vgpr42
.LBB82_8:
	ds_read_b32 v42, v40
.LBB82_9:
	v_mov_b32_e32 v43, 0
	ds_read_b32 v43, v43 offset:68
	s_waitcnt lgkmcnt(0)
	v_mul_f32_e32 v42, v42, v43
	buffer_store_dword v42, off, s[0:3], 0 offset:68
.LBB82_10:
	s_or_b64 exec, exec, s[6:7]
	buffer_load_dword v50, off, s[0:3], 0 offset:64
	v_or_b32_e32 v42, 8, v49
	v_add_u32_e32 v43, 16, v49
	v_add_u32_e32 v44, 24, v49
	;; [unrolled: 1-line block ×7, first 2 shown]
	v_cmp_lt_u32_e64 s[8:9], 16, v0
	s_waitcnt vmcnt(0)
	ds_write_b32 v40, v50
	s_waitcnt lgkmcnt(0)
	; wave barrier
	s_waitcnt lgkmcnt(0)
	s_and_saveexec_b64 s[6:7], s[8:9]
	s_cbranch_execz .LBB82_16
; %bb.11:
	s_andn2_b64 vcc, exec, s[10:11]
	s_cbranch_vccnz .LBB82_13
; %bb.12:
	buffer_load_dword v50, v41, s[0:3], 0 offen
	ds_read_b32 v51, v40
	s_waitcnt vmcnt(0) lgkmcnt(0)
	v_mul_f32_e32 v50, v50, v51
	s_cbranch_execz .LBB82_14
	s_branch .LBB82_15
.LBB82_13:
                                        ; implicit-def: $vgpr50
.LBB82_14:
	ds_read_b32 v50, v40
.LBB82_15:
	buffer_load_dword v51, off, s[0:3], 0 offset:68
	v_mov_b32_e32 v52, 0
	ds_read2_b32 v[52:53], v52 offset0:16 offset1:37
	s_waitcnt vmcnt(0) lgkmcnt(0)
	v_fma_f32 v51, v51, v53, v50
	v_cndmask_b32_e64 v50, v50, v51, s[4:5]
	v_mul_f32_e32 v50, v50, v52
	buffer_store_dword v50, off, s[0:3], 0 offset:64
.LBB82_16:
	s_or_b64 exec, exec, s[6:7]
	buffer_load_dword v50, off, s[0:3], 0 offset:60
	v_cmp_lt_u32_e64 s[6:7], 15, v0
	s_waitcnt vmcnt(0)
	ds_write_b32 v40, v50
	s_waitcnt lgkmcnt(0)
	; wave barrier
	s_waitcnt lgkmcnt(0)
	s_and_saveexec_b64 s[4:5], s[6:7]
	s_cbranch_execz .LBB82_26
; %bb.17:
	s_andn2_b64 vcc, exec, s[10:11]
	s_cbranch_vccnz .LBB82_19
; %bb.18:
	buffer_load_dword v50, v41, s[0:3], 0 offen
	ds_read_b32 v51, v40
	s_waitcnt vmcnt(0) lgkmcnt(0)
	v_mul_f32_e32 v50, v50, v51
	s_cbranch_execz .LBB82_20
	s_branch .LBB82_21
.LBB82_19:
                                        ; implicit-def: $vgpr50
.LBB82_20:
	ds_read_b32 v50, v40
.LBB82_21:
	s_and_saveexec_b64 s[12:13], s[8:9]
	s_cbranch_execz .LBB82_25
; %bb.22:
	v_add_u32_e32 v51, -16, v0
	s_movk_i32 s14, 0x90
	s_mov_b64 s[8:9], 0
.LBB82_23:                              ; =>This Inner Loop Header: Depth=1
	buffer_load_dword v52, v49, s[0:3], 0 offen
	v_mov_b32_e32 v53, s14
	ds_read_b32 v53, v53
	v_add_u32_e32 v51, -1, v51
	s_add_i32 s14, s14, 4
	v_cmp_eq_u32_e32 vcc, 0, v51
	v_add_u32_e32 v49, 4, v49
	s_or_b64 s[8:9], vcc, s[8:9]
	s_waitcnt vmcnt(0) lgkmcnt(0)
	v_fmac_f32_e32 v50, v52, v53
	s_andn2_b64 exec, exec, s[8:9]
	s_cbranch_execnz .LBB82_23
; %bb.24:
	s_or_b64 exec, exec, s[8:9]
.LBB82_25:
	s_or_b64 exec, exec, s[12:13]
	v_mov_b32_e32 v49, 0
	ds_read_b32 v49, v49 offset:60
	s_waitcnt lgkmcnt(0)
	v_mul_f32_e32 v49, v50, v49
	buffer_store_dword v49, off, s[0:3], 0 offset:60
.LBB82_26:
	s_or_b64 exec, exec, s[4:5]
	buffer_load_dword v49, off, s[0:3], 0 offset:56
	v_cmp_lt_u32_e64 s[4:5], 14, v0
	s_waitcnt vmcnt(0)
	ds_write_b32 v40, v49
	s_waitcnt lgkmcnt(0)
	; wave barrier
	s_waitcnt lgkmcnt(0)
	s_and_saveexec_b64 s[8:9], s[4:5]
	s_cbranch_execz .LBB82_36
; %bb.27:
	s_andn2_b64 vcc, exec, s[10:11]
	s_cbranch_vccnz .LBB82_29
; %bb.28:
	buffer_load_dword v49, v41, s[0:3], 0 offen
	ds_read_b32 v50, v40
	s_waitcnt vmcnt(0) lgkmcnt(0)
	v_mul_f32_e32 v49, v49, v50
	s_cbranch_execz .LBB82_30
	s_branch .LBB82_31
.LBB82_29:
                                        ; implicit-def: $vgpr49
.LBB82_30:
	ds_read_b32 v49, v40
.LBB82_31:
	s_and_saveexec_b64 s[12:13], s[6:7]
	s_cbranch_execz .LBB82_35
; %bb.32:
	v_mov_b32_e32 v50, 0
	v_add_u32_e32 v50, 60, v50
	v_add_u32_e32 v51, -15, v0
	s_movk_i32 s14, 0x8c
	s_mov_b64 s[6:7], 0
.LBB82_33:                              ; =>This Inner Loop Header: Depth=1
	buffer_load_dword v52, v50, s[0:3], 0 offen
	v_mov_b32_e32 v53, s14
	ds_read_b32 v53, v53
	v_add_u32_e32 v51, -1, v51
	s_add_i32 s14, s14, 4
	v_cmp_eq_u32_e32 vcc, 0, v51
	v_add_u32_e32 v50, 4, v50
	s_or_b64 s[6:7], vcc, s[6:7]
	s_waitcnt vmcnt(0) lgkmcnt(0)
	v_fmac_f32_e32 v49, v52, v53
	s_andn2_b64 exec, exec, s[6:7]
	s_cbranch_execnz .LBB82_33
; %bb.34:
	s_or_b64 exec, exec, s[6:7]
.LBB82_35:
	s_or_b64 exec, exec, s[12:13]
	v_mov_b32_e32 v50, 0
	ds_read_b32 v50, v50 offset:56
	s_waitcnt lgkmcnt(0)
	v_mul_f32_e32 v49, v49, v50
	buffer_store_dword v49, off, s[0:3], 0 offset:56
.LBB82_36:
	s_or_b64 exec, exec, s[8:9]
	buffer_load_dword v49, off, s[0:3], 0 offset:52
	v_cmp_lt_u32_e64 s[6:7], 13, v0
	s_waitcnt vmcnt(0)
	ds_write_b32 v40, v49
	s_waitcnt lgkmcnt(0)
	; wave barrier
	s_waitcnt lgkmcnt(0)
	s_and_saveexec_b64 s[8:9], s[6:7]
	s_cbranch_execz .LBB82_46
; %bb.37:
	s_andn2_b64 vcc, exec, s[10:11]
	s_cbranch_vccnz .LBB82_39
; %bb.38:
	buffer_load_dword v49, v41, s[0:3], 0 offen
	ds_read_b32 v50, v40
	s_waitcnt vmcnt(0) lgkmcnt(0)
	v_mul_f32_e32 v49, v49, v50
	s_cbranch_execz .LBB82_40
	s_branch .LBB82_41
.LBB82_39:
                                        ; implicit-def: $vgpr49
.LBB82_40:
	ds_read_b32 v49, v40
.LBB82_41:
	s_and_saveexec_b64 s[12:13], s[4:5]
	s_cbranch_execz .LBB82_45
; %bb.42:
	v_add_u32_e32 v50, -14, v0
	s_movk_i32 s14, 0x88
	s_mov_b64 s[4:5], 0
.LBB82_43:                              ; =>This Inner Loop Header: Depth=1
	buffer_load_dword v51, v48, s[0:3], 0 offen
	v_mov_b32_e32 v52, s14
	ds_read_b32 v52, v52
	v_add_u32_e32 v50, -1, v50
	s_add_i32 s14, s14, 4
	v_cmp_eq_u32_e32 vcc, 0, v50
	v_add_u32_e32 v48, 4, v48
	s_or_b64 s[4:5], vcc, s[4:5]
	s_waitcnt vmcnt(0) lgkmcnt(0)
	v_fmac_f32_e32 v49, v51, v52
	s_andn2_b64 exec, exec, s[4:5]
	s_cbranch_execnz .LBB82_43
; %bb.44:
	s_or_b64 exec, exec, s[4:5]
.LBB82_45:
	s_or_b64 exec, exec, s[12:13]
	v_mov_b32_e32 v48, 0
	ds_read_b32 v48, v48 offset:52
	s_waitcnt lgkmcnt(0)
	v_mul_f32_e32 v48, v49, v48
	buffer_store_dword v48, off, s[0:3], 0 offset:52
.LBB82_46:
	s_or_b64 exec, exec, s[8:9]
	buffer_load_dword v48, off, s[0:3], 0 offset:48
	v_cmp_lt_u32_e64 s[4:5], 12, v0
	s_waitcnt vmcnt(0)
	ds_write_b32 v40, v48
	s_waitcnt lgkmcnt(0)
	; wave barrier
	s_waitcnt lgkmcnt(0)
	s_and_saveexec_b64 s[8:9], s[4:5]
	s_cbranch_execz .LBB82_56
; %bb.47:
	s_andn2_b64 vcc, exec, s[10:11]
	s_cbranch_vccnz .LBB82_49
; %bb.48:
	buffer_load_dword v48, v41, s[0:3], 0 offen
	ds_read_b32 v49, v40
	s_waitcnt vmcnt(0) lgkmcnt(0)
	v_mul_f32_e32 v48, v48, v49
	s_cbranch_execz .LBB82_50
	s_branch .LBB82_51
.LBB82_49:
                                        ; implicit-def: $vgpr48
.LBB82_50:
	ds_read_b32 v48, v40
.LBB82_51:
	s_and_saveexec_b64 s[12:13], s[6:7]
	s_cbranch_execz .LBB82_55
; %bb.52:
	v_mov_b32_e32 v49, 0
	v_add_u32_e32 v49, 52, v49
	v_add_u32_e32 v50, -13, v0
	s_movk_i32 s14, 0x84
	s_mov_b64 s[6:7], 0
.LBB82_53:                              ; =>This Inner Loop Header: Depth=1
	buffer_load_dword v51, v49, s[0:3], 0 offen
	v_mov_b32_e32 v52, s14
	ds_read_b32 v52, v52
	v_add_u32_e32 v50, -1, v50
	s_add_i32 s14, s14, 4
	v_cmp_eq_u32_e32 vcc, 0, v50
	v_add_u32_e32 v49, 4, v49
	s_or_b64 s[6:7], vcc, s[6:7]
	s_waitcnt vmcnt(0) lgkmcnt(0)
	v_fmac_f32_e32 v48, v51, v52
	s_andn2_b64 exec, exec, s[6:7]
	s_cbranch_execnz .LBB82_53
; %bb.54:
	s_or_b64 exec, exec, s[6:7]
.LBB82_55:
	s_or_b64 exec, exec, s[12:13]
	v_mov_b32_e32 v49, 0
	ds_read_b32 v49, v49 offset:48
	s_waitcnt lgkmcnt(0)
	v_mul_f32_e32 v48, v48, v49
	buffer_store_dword v48, off, s[0:3], 0 offset:48
.LBB82_56:
	s_or_b64 exec, exec, s[8:9]
	buffer_load_dword v48, off, s[0:3], 0 offset:44
	v_cmp_lt_u32_e64 s[6:7], 11, v0
	s_waitcnt vmcnt(0)
	ds_write_b32 v40, v48
	s_waitcnt lgkmcnt(0)
	; wave barrier
	s_waitcnt lgkmcnt(0)
	s_and_saveexec_b64 s[8:9], s[6:7]
	s_cbranch_execz .LBB82_66
; %bb.57:
	s_andn2_b64 vcc, exec, s[10:11]
	s_cbranch_vccnz .LBB82_59
; %bb.58:
	buffer_load_dword v48, v41, s[0:3], 0 offen
	ds_read_b32 v49, v40
	s_waitcnt vmcnt(0) lgkmcnt(0)
	v_mul_f32_e32 v48, v48, v49
	s_cbranch_execz .LBB82_60
	s_branch .LBB82_61
.LBB82_59:
                                        ; implicit-def: $vgpr48
.LBB82_60:
	ds_read_b32 v48, v40
.LBB82_61:
	s_and_saveexec_b64 s[12:13], s[4:5]
	s_cbranch_execz .LBB82_65
; %bb.62:
	v_add_u32_e32 v49, -12, v0
	s_movk_i32 s14, 0x80
	s_mov_b64 s[4:5], 0
.LBB82_63:                              ; =>This Inner Loop Header: Depth=1
	buffer_load_dword v50, v47, s[0:3], 0 offen
	v_mov_b32_e32 v51, s14
	ds_read_b32 v51, v51
	v_add_u32_e32 v49, -1, v49
	s_add_i32 s14, s14, 4
	v_cmp_eq_u32_e32 vcc, 0, v49
	v_add_u32_e32 v47, 4, v47
	s_or_b64 s[4:5], vcc, s[4:5]
	s_waitcnt vmcnt(0) lgkmcnt(0)
	v_fmac_f32_e32 v48, v50, v51
	s_andn2_b64 exec, exec, s[4:5]
	s_cbranch_execnz .LBB82_63
; %bb.64:
	s_or_b64 exec, exec, s[4:5]
.LBB82_65:
	s_or_b64 exec, exec, s[12:13]
	v_mov_b32_e32 v47, 0
	ds_read_b32 v47, v47 offset:44
	s_waitcnt lgkmcnt(0)
	v_mul_f32_e32 v47, v48, v47
	buffer_store_dword v47, off, s[0:3], 0 offset:44
.LBB82_66:
	s_or_b64 exec, exec, s[8:9]
	buffer_load_dword v47, off, s[0:3], 0 offset:40
	v_cmp_lt_u32_e64 s[4:5], 10, v0
	s_waitcnt vmcnt(0)
	ds_write_b32 v40, v47
	s_waitcnt lgkmcnt(0)
	; wave barrier
	s_waitcnt lgkmcnt(0)
	s_and_saveexec_b64 s[8:9], s[4:5]
	s_cbranch_execz .LBB82_76
; %bb.67:
	s_andn2_b64 vcc, exec, s[10:11]
	s_cbranch_vccnz .LBB82_69
; %bb.68:
	buffer_load_dword v47, v41, s[0:3], 0 offen
	ds_read_b32 v48, v40
	s_waitcnt vmcnt(0) lgkmcnt(0)
	v_mul_f32_e32 v47, v47, v48
	s_cbranch_execz .LBB82_70
	s_branch .LBB82_71
.LBB82_69:
                                        ; implicit-def: $vgpr47
.LBB82_70:
	ds_read_b32 v47, v40
.LBB82_71:
	s_and_saveexec_b64 s[12:13], s[6:7]
	s_cbranch_execz .LBB82_75
; %bb.72:
	v_mov_b32_e32 v48, 0
	v_add_u32_e32 v48, 44, v48
	v_add_u32_e32 v49, -11, v0
	s_movk_i32 s14, 0x7c
	s_mov_b64 s[6:7], 0
.LBB82_73:                              ; =>This Inner Loop Header: Depth=1
	buffer_load_dword v50, v48, s[0:3], 0 offen
	v_mov_b32_e32 v51, s14
	ds_read_b32 v51, v51
	v_add_u32_e32 v49, -1, v49
	s_add_i32 s14, s14, 4
	v_cmp_eq_u32_e32 vcc, 0, v49
	v_add_u32_e32 v48, 4, v48
	s_or_b64 s[6:7], vcc, s[6:7]
	s_waitcnt vmcnt(0) lgkmcnt(0)
	v_fmac_f32_e32 v47, v50, v51
	s_andn2_b64 exec, exec, s[6:7]
	s_cbranch_execnz .LBB82_73
; %bb.74:
	s_or_b64 exec, exec, s[6:7]
.LBB82_75:
	s_or_b64 exec, exec, s[12:13]
	v_mov_b32_e32 v48, 0
	ds_read_b32 v48, v48 offset:40
	s_waitcnt lgkmcnt(0)
	v_mul_f32_e32 v47, v47, v48
	buffer_store_dword v47, off, s[0:3], 0 offset:40
.LBB82_76:
	s_or_b64 exec, exec, s[8:9]
	buffer_load_dword v47, off, s[0:3], 0 offset:36
	v_cmp_lt_u32_e64 s[6:7], 9, v0
	s_waitcnt vmcnt(0)
	ds_write_b32 v40, v47
	s_waitcnt lgkmcnt(0)
	; wave barrier
	s_waitcnt lgkmcnt(0)
	s_and_saveexec_b64 s[8:9], s[6:7]
	s_cbranch_execz .LBB82_86
; %bb.77:
	s_andn2_b64 vcc, exec, s[10:11]
	s_cbranch_vccnz .LBB82_79
; %bb.78:
	buffer_load_dword v47, v41, s[0:3], 0 offen
	ds_read_b32 v48, v40
	s_waitcnt vmcnt(0) lgkmcnt(0)
	v_mul_f32_e32 v47, v47, v48
	s_cbranch_execz .LBB82_80
	s_branch .LBB82_81
.LBB82_79:
                                        ; implicit-def: $vgpr47
.LBB82_80:
	ds_read_b32 v47, v40
.LBB82_81:
	s_and_saveexec_b64 s[12:13], s[4:5]
	s_cbranch_execz .LBB82_85
; %bb.82:
	v_add_u32_e32 v48, -10, v0
	s_movk_i32 s14, 0x78
	s_mov_b64 s[4:5], 0
.LBB82_83:                              ; =>This Inner Loop Header: Depth=1
	buffer_load_dword v49, v46, s[0:3], 0 offen
	v_mov_b32_e32 v50, s14
	ds_read_b32 v50, v50
	v_add_u32_e32 v48, -1, v48
	s_add_i32 s14, s14, 4
	v_cmp_eq_u32_e32 vcc, 0, v48
	v_add_u32_e32 v46, 4, v46
	s_or_b64 s[4:5], vcc, s[4:5]
	s_waitcnt vmcnt(0) lgkmcnt(0)
	v_fmac_f32_e32 v47, v49, v50
	s_andn2_b64 exec, exec, s[4:5]
	s_cbranch_execnz .LBB82_83
; %bb.84:
	s_or_b64 exec, exec, s[4:5]
.LBB82_85:
	s_or_b64 exec, exec, s[12:13]
	v_mov_b32_e32 v46, 0
	ds_read_b32 v46, v46 offset:36
	s_waitcnt lgkmcnt(0)
	v_mul_f32_e32 v46, v47, v46
	buffer_store_dword v46, off, s[0:3], 0 offset:36
.LBB82_86:
	s_or_b64 exec, exec, s[8:9]
	buffer_load_dword v46, off, s[0:3], 0 offset:32
	v_cmp_lt_u32_e64 s[4:5], 8, v0
	s_waitcnt vmcnt(0)
	ds_write_b32 v40, v46
	s_waitcnt lgkmcnt(0)
	; wave barrier
	s_waitcnt lgkmcnt(0)
	s_and_saveexec_b64 s[8:9], s[4:5]
	s_cbranch_execz .LBB82_96
; %bb.87:
	s_andn2_b64 vcc, exec, s[10:11]
	s_cbranch_vccnz .LBB82_89
; %bb.88:
	buffer_load_dword v46, v41, s[0:3], 0 offen
	ds_read_b32 v47, v40
	s_waitcnt vmcnt(0) lgkmcnt(0)
	v_mul_f32_e32 v46, v46, v47
	s_cbranch_execz .LBB82_90
	s_branch .LBB82_91
.LBB82_89:
                                        ; implicit-def: $vgpr46
.LBB82_90:
	ds_read_b32 v46, v40
.LBB82_91:
	s_and_saveexec_b64 s[12:13], s[6:7]
	s_cbranch_execz .LBB82_95
; %bb.92:
	v_mov_b32_e32 v47, 0
	v_add_u32_e32 v47, 36, v47
	v_add_u32_e32 v48, -9, v0
	s_movk_i32 s14, 0x74
	s_mov_b64 s[6:7], 0
.LBB82_93:                              ; =>This Inner Loop Header: Depth=1
	buffer_load_dword v49, v47, s[0:3], 0 offen
	v_mov_b32_e32 v50, s14
	ds_read_b32 v50, v50
	v_add_u32_e32 v48, -1, v48
	s_add_i32 s14, s14, 4
	v_cmp_eq_u32_e32 vcc, 0, v48
	v_add_u32_e32 v47, 4, v47
	s_or_b64 s[6:7], vcc, s[6:7]
	s_waitcnt vmcnt(0) lgkmcnt(0)
	v_fmac_f32_e32 v46, v49, v50
	s_andn2_b64 exec, exec, s[6:7]
	s_cbranch_execnz .LBB82_93
; %bb.94:
	s_or_b64 exec, exec, s[6:7]
.LBB82_95:
	s_or_b64 exec, exec, s[12:13]
	v_mov_b32_e32 v47, 0
	ds_read_b32 v47, v47 offset:32
	s_waitcnt lgkmcnt(0)
	v_mul_f32_e32 v46, v46, v47
	buffer_store_dword v46, off, s[0:3], 0 offset:32
.LBB82_96:
	s_or_b64 exec, exec, s[8:9]
	buffer_load_dword v46, off, s[0:3], 0 offset:28
	v_cmp_lt_u32_e64 s[6:7], 7, v0
	s_waitcnt vmcnt(0)
	ds_write_b32 v40, v46
	s_waitcnt lgkmcnt(0)
	; wave barrier
	s_waitcnt lgkmcnt(0)
	s_and_saveexec_b64 s[8:9], s[6:7]
	s_cbranch_execz .LBB82_106
; %bb.97:
	s_andn2_b64 vcc, exec, s[10:11]
	s_cbranch_vccnz .LBB82_99
; %bb.98:
	buffer_load_dword v46, v41, s[0:3], 0 offen
	ds_read_b32 v47, v40
	s_waitcnt vmcnt(0) lgkmcnt(0)
	v_mul_f32_e32 v46, v46, v47
	s_cbranch_execz .LBB82_100
	s_branch .LBB82_101
.LBB82_99:
                                        ; implicit-def: $vgpr46
.LBB82_100:
	ds_read_b32 v46, v40
.LBB82_101:
	s_and_saveexec_b64 s[12:13], s[4:5]
	s_cbranch_execz .LBB82_105
; %bb.102:
	v_add_u32_e32 v47, -8, v0
	s_movk_i32 s14, 0x70
	s_mov_b64 s[4:5], 0
.LBB82_103:                             ; =>This Inner Loop Header: Depth=1
	buffer_load_dword v48, v45, s[0:3], 0 offen
	v_mov_b32_e32 v49, s14
	ds_read_b32 v49, v49
	v_add_u32_e32 v47, -1, v47
	s_add_i32 s14, s14, 4
	v_cmp_eq_u32_e32 vcc, 0, v47
	v_add_u32_e32 v45, 4, v45
	s_or_b64 s[4:5], vcc, s[4:5]
	s_waitcnt vmcnt(0) lgkmcnt(0)
	v_fmac_f32_e32 v46, v48, v49
	s_andn2_b64 exec, exec, s[4:5]
	s_cbranch_execnz .LBB82_103
; %bb.104:
	s_or_b64 exec, exec, s[4:5]
.LBB82_105:
	s_or_b64 exec, exec, s[12:13]
	v_mov_b32_e32 v45, 0
	ds_read_b32 v45, v45 offset:28
	s_waitcnt lgkmcnt(0)
	v_mul_f32_e32 v45, v46, v45
	buffer_store_dword v45, off, s[0:3], 0 offset:28
.LBB82_106:
	s_or_b64 exec, exec, s[8:9]
	buffer_load_dword v45, off, s[0:3], 0 offset:24
	v_cmp_lt_u32_e64 s[4:5], 6, v0
	s_waitcnt vmcnt(0)
	ds_write_b32 v40, v45
	s_waitcnt lgkmcnt(0)
	; wave barrier
	s_waitcnt lgkmcnt(0)
	s_and_saveexec_b64 s[8:9], s[4:5]
	s_cbranch_execz .LBB82_116
; %bb.107:
	s_andn2_b64 vcc, exec, s[10:11]
	s_cbranch_vccnz .LBB82_109
; %bb.108:
	buffer_load_dword v45, v41, s[0:3], 0 offen
	ds_read_b32 v46, v40
	s_waitcnt vmcnt(0) lgkmcnt(0)
	v_mul_f32_e32 v45, v45, v46
	s_cbranch_execz .LBB82_110
	s_branch .LBB82_111
.LBB82_109:
                                        ; implicit-def: $vgpr45
.LBB82_110:
	ds_read_b32 v45, v40
.LBB82_111:
	s_and_saveexec_b64 s[12:13], s[6:7]
	s_cbranch_execz .LBB82_115
; %bb.112:
	v_mov_b32_e32 v46, 0
	v_add_u32_e32 v46, 28, v46
	v_add_u32_e32 v47, -7, v0
	s_movk_i32 s14, 0x6c
	s_mov_b64 s[6:7], 0
.LBB82_113:                             ; =>This Inner Loop Header: Depth=1
	buffer_load_dword v48, v46, s[0:3], 0 offen
	v_mov_b32_e32 v49, s14
	ds_read_b32 v49, v49
	v_add_u32_e32 v47, -1, v47
	s_add_i32 s14, s14, 4
	v_cmp_eq_u32_e32 vcc, 0, v47
	v_add_u32_e32 v46, 4, v46
	s_or_b64 s[6:7], vcc, s[6:7]
	s_waitcnt vmcnt(0) lgkmcnt(0)
	v_fmac_f32_e32 v45, v48, v49
	s_andn2_b64 exec, exec, s[6:7]
	s_cbranch_execnz .LBB82_113
; %bb.114:
	s_or_b64 exec, exec, s[6:7]
.LBB82_115:
	s_or_b64 exec, exec, s[12:13]
	v_mov_b32_e32 v46, 0
	ds_read_b32 v46, v46 offset:24
	s_waitcnt lgkmcnt(0)
	v_mul_f32_e32 v45, v45, v46
	buffer_store_dword v45, off, s[0:3], 0 offset:24
.LBB82_116:
	s_or_b64 exec, exec, s[8:9]
	buffer_load_dword v45, off, s[0:3], 0 offset:20
	v_cmp_lt_u32_e64 s[6:7], 5, v0
	s_waitcnt vmcnt(0)
	ds_write_b32 v40, v45
	s_waitcnt lgkmcnt(0)
	; wave barrier
	s_waitcnt lgkmcnt(0)
	s_and_saveexec_b64 s[8:9], s[6:7]
	s_cbranch_execz .LBB82_126
; %bb.117:
	s_andn2_b64 vcc, exec, s[10:11]
	s_cbranch_vccnz .LBB82_119
; %bb.118:
	buffer_load_dword v45, v41, s[0:3], 0 offen
	ds_read_b32 v46, v40
	s_waitcnt vmcnt(0) lgkmcnt(0)
	v_mul_f32_e32 v45, v45, v46
	s_cbranch_execz .LBB82_120
	s_branch .LBB82_121
.LBB82_119:
                                        ; implicit-def: $vgpr45
.LBB82_120:
	ds_read_b32 v45, v40
.LBB82_121:
	s_and_saveexec_b64 s[12:13], s[4:5]
	s_cbranch_execz .LBB82_125
; %bb.122:
	v_add_u32_e32 v46, -6, v0
	s_movk_i32 s14, 0x68
	s_mov_b64 s[4:5], 0
.LBB82_123:                             ; =>This Inner Loop Header: Depth=1
	buffer_load_dword v47, v44, s[0:3], 0 offen
	v_mov_b32_e32 v48, s14
	ds_read_b32 v48, v48
	v_add_u32_e32 v46, -1, v46
	s_add_i32 s14, s14, 4
	v_cmp_eq_u32_e32 vcc, 0, v46
	v_add_u32_e32 v44, 4, v44
	s_or_b64 s[4:5], vcc, s[4:5]
	s_waitcnt vmcnt(0) lgkmcnt(0)
	v_fmac_f32_e32 v45, v47, v48
	s_andn2_b64 exec, exec, s[4:5]
	s_cbranch_execnz .LBB82_123
; %bb.124:
	s_or_b64 exec, exec, s[4:5]
.LBB82_125:
	s_or_b64 exec, exec, s[12:13]
	v_mov_b32_e32 v44, 0
	ds_read_b32 v44, v44 offset:20
	s_waitcnt lgkmcnt(0)
	v_mul_f32_e32 v44, v45, v44
	buffer_store_dword v44, off, s[0:3], 0 offset:20
.LBB82_126:
	s_or_b64 exec, exec, s[8:9]
	buffer_load_dword v44, off, s[0:3], 0 offset:16
	v_cmp_lt_u32_e64 s[4:5], 4, v0
	s_waitcnt vmcnt(0)
	ds_write_b32 v40, v44
	s_waitcnt lgkmcnt(0)
	; wave barrier
	s_waitcnt lgkmcnt(0)
	s_and_saveexec_b64 s[8:9], s[4:5]
	s_cbranch_execz .LBB82_136
; %bb.127:
	s_andn2_b64 vcc, exec, s[10:11]
	s_cbranch_vccnz .LBB82_129
; %bb.128:
	buffer_load_dword v44, v41, s[0:3], 0 offen
	ds_read_b32 v45, v40
	s_waitcnt vmcnt(0) lgkmcnt(0)
	v_mul_f32_e32 v44, v44, v45
	s_cbranch_execz .LBB82_130
	s_branch .LBB82_131
.LBB82_129:
                                        ; implicit-def: $vgpr44
.LBB82_130:
	ds_read_b32 v44, v40
.LBB82_131:
	s_and_saveexec_b64 s[12:13], s[6:7]
	s_cbranch_execz .LBB82_135
; %bb.132:
	v_mov_b32_e32 v45, 0
	v_add_u32_e32 v45, 20, v45
	v_add_u32_e32 v46, -5, v0
	s_movk_i32 s14, 0x64
	s_mov_b64 s[6:7], 0
.LBB82_133:                             ; =>This Inner Loop Header: Depth=1
	buffer_load_dword v47, v45, s[0:3], 0 offen
	v_mov_b32_e32 v48, s14
	ds_read_b32 v48, v48
	v_add_u32_e32 v46, -1, v46
	s_add_i32 s14, s14, 4
	v_cmp_eq_u32_e32 vcc, 0, v46
	v_add_u32_e32 v45, 4, v45
	s_or_b64 s[6:7], vcc, s[6:7]
	s_waitcnt vmcnt(0) lgkmcnt(0)
	v_fmac_f32_e32 v44, v47, v48
	s_andn2_b64 exec, exec, s[6:7]
	s_cbranch_execnz .LBB82_133
; %bb.134:
	s_or_b64 exec, exec, s[6:7]
.LBB82_135:
	s_or_b64 exec, exec, s[12:13]
	v_mov_b32_e32 v45, 0
	ds_read_b32 v45, v45 offset:16
	s_waitcnt lgkmcnt(0)
	v_mul_f32_e32 v44, v44, v45
	buffer_store_dword v44, off, s[0:3], 0 offset:16
.LBB82_136:
	s_or_b64 exec, exec, s[8:9]
	buffer_load_dword v44, off, s[0:3], 0 offset:12
	v_cmp_lt_u32_e64 s[6:7], 3, v0
	s_waitcnt vmcnt(0)
	ds_write_b32 v40, v44
	s_waitcnt lgkmcnt(0)
	; wave barrier
	s_waitcnt lgkmcnt(0)
	s_and_saveexec_b64 s[8:9], s[6:7]
	s_cbranch_execz .LBB82_146
; %bb.137:
	s_andn2_b64 vcc, exec, s[10:11]
	s_cbranch_vccnz .LBB82_139
; %bb.138:
	buffer_load_dword v44, v41, s[0:3], 0 offen
	ds_read_b32 v45, v40
	s_waitcnt vmcnt(0) lgkmcnt(0)
	v_mul_f32_e32 v44, v44, v45
	s_cbranch_execz .LBB82_140
	s_branch .LBB82_141
.LBB82_139:
                                        ; implicit-def: $vgpr44
.LBB82_140:
	ds_read_b32 v44, v40
.LBB82_141:
	s_and_saveexec_b64 s[12:13], s[4:5]
	s_cbranch_execz .LBB82_145
; %bb.142:
	v_add_u32_e32 v45, -4, v0
	s_movk_i32 s14, 0x60
	s_mov_b64 s[4:5], 0
.LBB82_143:                             ; =>This Inner Loop Header: Depth=1
	buffer_load_dword v46, v43, s[0:3], 0 offen
	v_mov_b32_e32 v47, s14
	ds_read_b32 v47, v47
	v_add_u32_e32 v45, -1, v45
	s_add_i32 s14, s14, 4
	v_cmp_eq_u32_e32 vcc, 0, v45
	v_add_u32_e32 v43, 4, v43
	s_or_b64 s[4:5], vcc, s[4:5]
	s_waitcnt vmcnt(0) lgkmcnt(0)
	v_fmac_f32_e32 v44, v46, v47
	s_andn2_b64 exec, exec, s[4:5]
	s_cbranch_execnz .LBB82_143
; %bb.144:
	s_or_b64 exec, exec, s[4:5]
.LBB82_145:
	s_or_b64 exec, exec, s[12:13]
	v_mov_b32_e32 v43, 0
	ds_read_b32 v43, v43 offset:12
	s_waitcnt lgkmcnt(0)
	v_mul_f32_e32 v43, v44, v43
	buffer_store_dword v43, off, s[0:3], 0 offset:12
.LBB82_146:
	s_or_b64 exec, exec, s[8:9]
	buffer_load_dword v43, off, s[0:3], 0 offset:8
	v_cmp_lt_u32_e64 s[4:5], 2, v0
	s_waitcnt vmcnt(0)
	ds_write_b32 v40, v43
	s_waitcnt lgkmcnt(0)
	; wave barrier
	s_waitcnt lgkmcnt(0)
	s_and_saveexec_b64 s[8:9], s[4:5]
	s_cbranch_execz .LBB82_156
; %bb.147:
	s_andn2_b64 vcc, exec, s[10:11]
	s_cbranch_vccnz .LBB82_149
; %bb.148:
	buffer_load_dword v43, v41, s[0:3], 0 offen
	ds_read_b32 v44, v40
	s_waitcnt vmcnt(0) lgkmcnt(0)
	v_mul_f32_e32 v43, v43, v44
	s_cbranch_execz .LBB82_150
	s_branch .LBB82_151
.LBB82_149:
                                        ; implicit-def: $vgpr43
.LBB82_150:
	ds_read_b32 v43, v40
.LBB82_151:
	s_and_saveexec_b64 s[12:13], s[6:7]
	s_cbranch_execz .LBB82_155
; %bb.152:
	v_mov_b32_e32 v44, 0
	v_or_b32_e32 v44, 12, v44
	v_add_u32_e32 v45, -3, v0
	s_movk_i32 s14, 0x5c
	s_mov_b64 s[6:7], 0
.LBB82_153:                             ; =>This Inner Loop Header: Depth=1
	buffer_load_dword v46, v44, s[0:3], 0 offen
	v_mov_b32_e32 v47, s14
	ds_read_b32 v47, v47
	v_add_u32_e32 v45, -1, v45
	s_add_i32 s14, s14, 4
	v_cmp_eq_u32_e32 vcc, 0, v45
	v_add_u32_e32 v44, 4, v44
	s_or_b64 s[6:7], vcc, s[6:7]
	s_waitcnt vmcnt(0) lgkmcnt(0)
	v_fmac_f32_e32 v43, v46, v47
	s_andn2_b64 exec, exec, s[6:7]
	s_cbranch_execnz .LBB82_153
; %bb.154:
	s_or_b64 exec, exec, s[6:7]
.LBB82_155:
	s_or_b64 exec, exec, s[12:13]
	v_mov_b32_e32 v44, 0
	ds_read_b32 v44, v44 offset:8
	s_waitcnt lgkmcnt(0)
	v_mul_f32_e32 v43, v43, v44
	buffer_store_dword v43, off, s[0:3], 0 offset:8
.LBB82_156:
	s_or_b64 exec, exec, s[8:9]
	buffer_load_dword v43, off, s[0:3], 0 offset:4
	v_cmp_lt_u32_e64 s[6:7], 1, v0
	s_waitcnt vmcnt(0)
	ds_write_b32 v40, v43
	s_waitcnt lgkmcnt(0)
	; wave barrier
	s_waitcnt lgkmcnt(0)
	s_and_saveexec_b64 s[8:9], s[6:7]
	s_cbranch_execz .LBB82_166
; %bb.157:
	s_andn2_b64 vcc, exec, s[10:11]
	s_cbranch_vccnz .LBB82_159
; %bb.158:
	buffer_load_dword v43, v41, s[0:3], 0 offen
	ds_read_b32 v44, v40
	s_waitcnt vmcnt(0) lgkmcnt(0)
	v_mul_f32_e32 v43, v43, v44
	s_cbranch_execz .LBB82_160
	s_branch .LBB82_161
.LBB82_159:
                                        ; implicit-def: $vgpr43
.LBB82_160:
	ds_read_b32 v43, v40
.LBB82_161:
	s_and_saveexec_b64 s[12:13], s[4:5]
	s_cbranch_execz .LBB82_165
; %bb.162:
	v_add_u32_e32 v44, -2, v0
	s_movk_i32 s14, 0x58
	s_mov_b64 s[4:5], 0
.LBB82_163:                             ; =>This Inner Loop Header: Depth=1
	buffer_load_dword v45, v42, s[0:3], 0 offen
	v_mov_b32_e32 v46, s14
	ds_read_b32 v46, v46
	v_add_u32_e32 v44, -1, v44
	s_add_i32 s14, s14, 4
	v_cmp_eq_u32_e32 vcc, 0, v44
	v_add_u32_e32 v42, 4, v42
	s_or_b64 s[4:5], vcc, s[4:5]
	s_waitcnt vmcnt(0) lgkmcnt(0)
	v_fmac_f32_e32 v43, v45, v46
	s_andn2_b64 exec, exec, s[4:5]
	s_cbranch_execnz .LBB82_163
; %bb.164:
	s_or_b64 exec, exec, s[4:5]
.LBB82_165:
	s_or_b64 exec, exec, s[12:13]
	v_mov_b32_e32 v42, 0
	ds_read_b32 v42, v42 offset:4
	s_waitcnt lgkmcnt(0)
	v_mul_f32_e32 v42, v43, v42
	buffer_store_dword v42, off, s[0:3], 0 offset:4
.LBB82_166:
	s_or_b64 exec, exec, s[8:9]
	buffer_load_dword v42, off, s[0:3], 0
	v_cmp_ne_u32_e32 vcc, 0, v0
	s_waitcnt vmcnt(0)
	ds_write_b32 v40, v42
	s_waitcnt lgkmcnt(0)
	; wave barrier
	s_waitcnt lgkmcnt(0)
	s_and_saveexec_b64 s[4:5], vcc
	s_cbranch_execz .LBB82_176
; %bb.167:
	s_andn2_b64 vcc, exec, s[10:11]
	s_cbranch_vccnz .LBB82_169
; %bb.168:
	buffer_load_dword v42, v41, s[0:3], 0 offen
	ds_read_b32 v43, v40
	s_waitcnt vmcnt(0) lgkmcnt(0)
	v_mul_f32_e32 v42, v42, v43
	s_cbranch_execz .LBB82_170
	s_branch .LBB82_171
.LBB82_169:
                                        ; implicit-def: $vgpr42
.LBB82_170:
	ds_read_b32 v42, v40
.LBB82_171:
	s_and_saveexec_b64 s[8:9], s[6:7]
	s_cbranch_execz .LBB82_175
; %bb.172:
	v_mov_b32_e32 v43, 0
	v_or_b32_e32 v43, 4, v43
	v_add_u32_e32 v44, -1, v0
	s_movk_i32 s12, 0x54
	s_mov_b64 s[6:7], 0
.LBB82_173:                             ; =>This Inner Loop Header: Depth=1
	buffer_load_dword v45, v43, s[0:3], 0 offen
	v_mov_b32_e32 v46, s12
	ds_read_b32 v46, v46
	v_add_u32_e32 v44, -1, v44
	s_add_i32 s12, s12, 4
	v_cmp_eq_u32_e32 vcc, 0, v44
	v_add_u32_e32 v43, 4, v43
	s_or_b64 s[6:7], vcc, s[6:7]
	s_waitcnt vmcnt(0) lgkmcnt(0)
	v_fmac_f32_e32 v42, v45, v46
	s_andn2_b64 exec, exec, s[6:7]
	s_cbranch_execnz .LBB82_173
; %bb.174:
	s_or_b64 exec, exec, s[6:7]
.LBB82_175:
	s_or_b64 exec, exec, s[8:9]
	v_mov_b32_e32 v43, 0
	ds_read_b32 v43, v43
	s_waitcnt lgkmcnt(0)
	v_mul_f32_e32 v42, v42, v43
	buffer_store_dword v42, off, s[0:3], 0
.LBB82_176:
	s_or_b64 exec, exec, s[4:5]
	s_mov_b64 s[4:5], 0
.LBB82_177:
	s_and_b64 vcc, exec, s[4:5]
	s_cbranch_vccz .LBB82_351
; %bb.178:
	buffer_load_dword v42, off, s[0:3], 0 offset:4
	v_cmp_eq_u32_e64 s[6:7], 0, v0
	s_waitcnt vmcnt(0)
	ds_write_b32 v40, v42
	s_waitcnt lgkmcnt(0)
	; wave barrier
	s_waitcnt lgkmcnt(0)
	s_and_saveexec_b64 s[4:5], s[6:7]
	s_cbranch_execz .LBB82_184
; %bb.179:
	s_and_b64 vcc, exec, s[10:11]
	s_cbranch_vccz .LBB82_181
; %bb.180:
	buffer_load_dword v42, v41, s[0:3], 0 offen
	ds_read_b32 v43, v40
	s_waitcnt vmcnt(0) lgkmcnt(0)
	v_mul_f32_e32 v42, v42, v43
	s_cbranch_execz .LBB82_182
	s_branch .LBB82_183
.LBB82_181:
                                        ; implicit-def: $vgpr42
.LBB82_182:
	ds_read_b32 v42, v40
.LBB82_183:
	v_mov_b32_e32 v43, 0
	ds_read_b32 v43, v43 offset:4
	s_waitcnt lgkmcnt(0)
	v_mul_f32_e32 v42, v42, v43
	buffer_store_dword v42, off, s[0:3], 0 offset:4
.LBB82_184:
	s_or_b64 exec, exec, s[4:5]
	buffer_load_dword v42, off, s[0:3], 0 offset:8
	v_cndmask_b32_e64 v43, 0, 1, s[10:11]
	v_cmp_gt_u32_e32 vcc, 2, v0
	v_cmp_ne_u32_e64 s[4:5], 1, v43
	s_waitcnt vmcnt(0)
	ds_write_b32 v40, v42
	s_waitcnt lgkmcnt(0)
	; wave barrier
	s_waitcnt lgkmcnt(0)
	s_and_saveexec_b64 s[8:9], vcc
	s_cbranch_execz .LBB82_192
; %bb.185:
	s_and_b64 vcc, exec, s[4:5]
	s_cbranch_vccnz .LBB82_187
; %bb.186:
	buffer_load_dword v42, v41, s[0:3], 0 offen
	ds_read_b32 v43, v40
	s_waitcnt vmcnt(0) lgkmcnt(0)
	v_mul_f32_e32 v42, v42, v43
	s_cbranch_execz .LBB82_188
	s_branch .LBB82_189
.LBB82_187:
                                        ; implicit-def: $vgpr42
.LBB82_188:
	ds_read_b32 v42, v40
.LBB82_189:
	s_and_saveexec_b64 s[10:11], s[6:7]
	s_cbranch_execz .LBB82_191
; %bb.190:
	buffer_load_dword v43, v41, s[0:3], 0 offen offset:4
	ds_read_b32 v44, v40 offset:4
	s_waitcnt vmcnt(0) lgkmcnt(0)
	v_fmac_f32_e32 v42, v43, v44
.LBB82_191:
	s_or_b64 exec, exec, s[10:11]
	v_mov_b32_e32 v43, 0
	ds_read_b32 v43, v43 offset:8
	s_waitcnt lgkmcnt(0)
	v_mul_f32_e32 v42, v42, v43
	buffer_store_dword v42, off, s[0:3], 0 offset:8
.LBB82_192:
	s_or_b64 exec, exec, s[8:9]
	buffer_load_dword v42, off, s[0:3], 0 offset:12
	v_cmp_gt_u32_e32 vcc, 3, v0
	s_waitcnt vmcnt(0)
	ds_write_b32 v40, v42
	s_waitcnt lgkmcnt(0)
	; wave barrier
	s_waitcnt lgkmcnt(0)
	s_and_saveexec_b64 s[8:9], vcc
	s_cbranch_execz .LBB82_200
; %bb.193:
	s_and_b64 vcc, exec, s[4:5]
	s_cbranch_vccnz .LBB82_195
; %bb.194:
	buffer_load_dword v42, v41, s[0:3], 0 offen
	ds_read_b32 v43, v40
	s_waitcnt vmcnt(0) lgkmcnt(0)
	v_mul_f32_e32 v42, v42, v43
	s_cbranch_execz .LBB82_196
	s_branch .LBB82_197
.LBB82_195:
                                        ; implicit-def: $vgpr42
.LBB82_196:
	ds_read_b32 v42, v40
.LBB82_197:
	v_cmp_ne_u32_e32 vcc, 2, v0
	s_and_saveexec_b64 s[10:11], vcc
	s_cbranch_execz .LBB82_199
; %bb.198:
	buffer_load_dword v43, v41, s[0:3], 0 offen offset:4
	buffer_load_dword v44, off, s[0:3], 0 offset:8
	v_mov_b32_e32 v45, 0
	ds_read_b32 v46, v40 offset:4
	ds_read_b32 v45, v45 offset:88
	s_waitcnt vmcnt(1) lgkmcnt(1)
	v_fmac_f32_e32 v42, v43, v46
	s_waitcnt vmcnt(0) lgkmcnt(0)
	v_fma_f32 v43, v44, v45, v42
	v_cndmask_b32_e64 v42, v42, v43, s[6:7]
.LBB82_199:
	s_or_b64 exec, exec, s[10:11]
	v_mov_b32_e32 v43, 0
	ds_read_b32 v43, v43 offset:12
	s_waitcnt lgkmcnt(0)
	v_mul_f32_e32 v42, v42, v43
	buffer_store_dword v42, off, s[0:3], 0 offset:12
.LBB82_200:
	s_or_b64 exec, exec, s[8:9]
	buffer_load_dword v42, off, s[0:3], 0 offset:16
	v_cmp_gt_u32_e32 vcc, 4, v0
	s_waitcnt vmcnt(0)
	ds_write_b32 v40, v42
	s_waitcnt lgkmcnt(0)
	; wave barrier
	s_waitcnt lgkmcnt(0)
	s_and_saveexec_b64 s[6:7], vcc
	s_cbranch_execz .LBB82_210
; %bb.201:
	s_and_b64 vcc, exec, s[4:5]
	s_cbranch_vccnz .LBB82_203
; %bb.202:
	buffer_load_dword v42, v41, s[0:3], 0 offen
	ds_read_b32 v43, v40
	s_waitcnt vmcnt(0) lgkmcnt(0)
	v_mul_f32_e32 v42, v42, v43
	s_cbranch_execz .LBB82_204
	s_branch .LBB82_205
.LBB82_203:
                                        ; implicit-def: $vgpr42
.LBB82_204:
	ds_read_b32 v42, v40
.LBB82_205:
	v_cmp_ne_u32_e32 vcc, 3, v0
	s_and_saveexec_b64 s[8:9], vcc
	s_cbranch_execz .LBB82_209
; %bb.206:
	v_mov_b32_e32 v44, 0
	v_add_u32_e32 v43, 0x54, v1
	v_add3_u32 v44, v1, v44, 4
	s_mov_b64 s[10:11], 0
	v_mov_b32_e32 v45, v0
.LBB82_207:                             ; =>This Inner Loop Header: Depth=1
	buffer_load_dword v46, v44, s[0:3], 0 offen
	ds_read_b32 v47, v43
	v_add_u32_e32 v45, 1, v45
	v_cmp_lt_u32_e32 vcc, 2, v45
	v_add_u32_e32 v43, 4, v43
	v_add_u32_e32 v44, 4, v44
	s_or_b64 s[10:11], vcc, s[10:11]
	s_waitcnt vmcnt(0) lgkmcnt(0)
	v_fmac_f32_e32 v42, v46, v47
	s_andn2_b64 exec, exec, s[10:11]
	s_cbranch_execnz .LBB82_207
; %bb.208:
	s_or_b64 exec, exec, s[10:11]
.LBB82_209:
	s_or_b64 exec, exec, s[8:9]
	v_mov_b32_e32 v43, 0
	ds_read_b32 v43, v43 offset:16
	s_waitcnt lgkmcnt(0)
	v_mul_f32_e32 v42, v42, v43
	buffer_store_dword v42, off, s[0:3], 0 offset:16
.LBB82_210:
	s_or_b64 exec, exec, s[6:7]
	buffer_load_dword v42, off, s[0:3], 0 offset:20
	v_cmp_gt_u32_e32 vcc, 5, v0
	s_waitcnt vmcnt(0)
	ds_write_b32 v40, v42
	s_waitcnt lgkmcnt(0)
	; wave barrier
	s_waitcnt lgkmcnt(0)
	s_and_saveexec_b64 s[6:7], vcc
	s_cbranch_execz .LBB82_220
; %bb.211:
	s_and_b64 vcc, exec, s[4:5]
	s_cbranch_vccnz .LBB82_213
; %bb.212:
	buffer_load_dword v42, v41, s[0:3], 0 offen
	ds_read_b32 v43, v40
	s_waitcnt vmcnt(0) lgkmcnt(0)
	v_mul_f32_e32 v42, v42, v43
	s_cbranch_execz .LBB82_214
	s_branch .LBB82_215
.LBB82_213:
                                        ; implicit-def: $vgpr42
.LBB82_214:
	ds_read_b32 v42, v40
.LBB82_215:
	v_cmp_ne_u32_e32 vcc, 4, v0
	s_and_saveexec_b64 s[8:9], vcc
	s_cbranch_execz .LBB82_219
; %bb.216:
	v_mov_b32_e32 v44, 0
	v_add_u32_e32 v43, 0x54, v1
	v_add3_u32 v44, v1, v44, 4
	s_mov_b64 s[10:11], 0
	v_mov_b32_e32 v45, v0
.LBB82_217:                             ; =>This Inner Loop Header: Depth=1
	buffer_load_dword v46, v44, s[0:3], 0 offen
	ds_read_b32 v47, v43
	v_add_u32_e32 v45, 1, v45
	v_cmp_lt_u32_e32 vcc, 3, v45
	v_add_u32_e32 v43, 4, v43
	v_add_u32_e32 v44, 4, v44
	s_or_b64 s[10:11], vcc, s[10:11]
	s_waitcnt vmcnt(0) lgkmcnt(0)
	v_fmac_f32_e32 v42, v46, v47
	s_andn2_b64 exec, exec, s[10:11]
	s_cbranch_execnz .LBB82_217
; %bb.218:
	s_or_b64 exec, exec, s[10:11]
.LBB82_219:
	s_or_b64 exec, exec, s[8:9]
	v_mov_b32_e32 v43, 0
	ds_read_b32 v43, v43 offset:20
	s_waitcnt lgkmcnt(0)
	v_mul_f32_e32 v42, v42, v43
	buffer_store_dword v42, off, s[0:3], 0 offset:20
.LBB82_220:
	;; [unrolled: 56-line block ×13, first 2 shown]
	s_or_b64 exec, exec, s[6:7]
	buffer_load_dword v42, off, s[0:3], 0 offset:68
	v_cmp_gt_u32_e64 s[6:7], 17, v0
	s_waitcnt vmcnt(0)
	ds_write_b32 v40, v42
	s_waitcnt lgkmcnt(0)
	; wave barrier
	s_waitcnt lgkmcnt(0)
	s_and_saveexec_b64 s[8:9], s[6:7]
	s_cbranch_execz .LBB82_340
; %bb.331:
	s_and_b64 vcc, exec, s[4:5]
	s_cbranch_vccnz .LBB82_333
; %bb.332:
	buffer_load_dword v42, v41, s[0:3], 0 offen
	ds_read_b32 v43, v40
	s_waitcnt vmcnt(0) lgkmcnt(0)
	v_mul_f32_e32 v42, v42, v43
	s_cbranch_execz .LBB82_334
	s_branch .LBB82_335
.LBB82_333:
                                        ; implicit-def: $vgpr42
.LBB82_334:
	ds_read_b32 v42, v40
.LBB82_335:
	v_cmp_ne_u32_e32 vcc, 16, v0
	s_and_saveexec_b64 s[10:11], vcc
	s_cbranch_execz .LBB82_339
; %bb.336:
	v_mov_b32_e32 v44, 0
	v_add_u32_e32 v43, 0x54, v1
	v_add3_u32 v44, v1, v44, 4
	s_mov_b64 s[12:13], 0
	v_mov_b32_e32 v45, v0
.LBB82_337:                             ; =>This Inner Loop Header: Depth=1
	buffer_load_dword v46, v44, s[0:3], 0 offen
	ds_read_b32 v47, v43
	v_add_u32_e32 v45, 1, v45
	v_cmp_lt_u32_e32 vcc, 15, v45
	v_add_u32_e32 v43, 4, v43
	v_add_u32_e32 v44, 4, v44
	s_or_b64 s[12:13], vcc, s[12:13]
	s_waitcnt vmcnt(0) lgkmcnt(0)
	v_fmac_f32_e32 v42, v46, v47
	s_andn2_b64 exec, exec, s[12:13]
	s_cbranch_execnz .LBB82_337
; %bb.338:
	s_or_b64 exec, exec, s[12:13]
.LBB82_339:
	s_or_b64 exec, exec, s[10:11]
	v_mov_b32_e32 v43, 0
	ds_read_b32 v43, v43 offset:68
	s_waitcnt lgkmcnt(0)
	v_mul_f32_e32 v42, v42, v43
	buffer_store_dword v42, off, s[0:3], 0 offset:68
.LBB82_340:
	s_or_b64 exec, exec, s[8:9]
	buffer_load_dword v42, off, s[0:3], 0 offset:72
	v_cmp_ne_u32_e32 vcc, 18, v0
	s_waitcnt vmcnt(0)
	ds_write_b32 v40, v42
	s_waitcnt lgkmcnt(0)
	; wave barrier
	s_waitcnt lgkmcnt(0)
	s_and_saveexec_b64 s[8:9], vcc
	s_cbranch_execz .LBB82_350
; %bb.341:
	s_and_b64 vcc, exec, s[4:5]
	s_cbranch_vccnz .LBB82_343
; %bb.342:
	buffer_load_dword v41, v41, s[0:3], 0 offen
	ds_read_b32 v42, v40
	s_waitcnt vmcnt(0) lgkmcnt(0)
	v_mul_f32_e32 v41, v41, v42
	s_cbranch_execz .LBB82_344
	s_branch .LBB82_345
.LBB82_343:
                                        ; implicit-def: $vgpr41
.LBB82_344:
	ds_read_b32 v41, v40
.LBB82_345:
	s_and_saveexec_b64 s[4:5], s[6:7]
	s_cbranch_execz .LBB82_349
; %bb.346:
	v_mov_b32_e32 v42, 0
	v_add_u32_e32 v40, 0x54, v1
	v_add3_u32 v1, v1, v42, 4
	s_mov_b64 s[6:7], 0
.LBB82_347:                             ; =>This Inner Loop Header: Depth=1
	buffer_load_dword v42, v1, s[0:3], 0 offen
	ds_read_b32 v43, v40
	v_add_u32_e32 v0, 1, v0
	v_cmp_lt_u32_e32 vcc, 16, v0
	v_add_u32_e32 v40, 4, v40
	v_add_u32_e32 v1, 4, v1
	s_or_b64 s[6:7], vcc, s[6:7]
	s_waitcnt vmcnt(0) lgkmcnt(0)
	v_fmac_f32_e32 v41, v42, v43
	s_andn2_b64 exec, exec, s[6:7]
	s_cbranch_execnz .LBB82_347
; %bb.348:
	s_or_b64 exec, exec, s[6:7]
.LBB82_349:
	s_or_b64 exec, exec, s[4:5]
	v_mov_b32_e32 v0, 0
	ds_read_b32 v0, v0 offset:72
	s_waitcnt lgkmcnt(0)
	v_mul_f32_e32 v0, v41, v0
	buffer_store_dword v0, off, s[0:3], 0 offset:72
.LBB82_350:
	s_or_b64 exec, exec, s[8:9]
.LBB82_351:
	buffer_load_dword v0, off, s[0:3], 0
	buffer_load_dword v1, off, s[0:3], 0 offset:4
	buffer_load_dword v40, off, s[0:3], 0 offset:8
	;; [unrolled: 1-line block ×18, first 2 shown]
	s_waitcnt vmcnt(18)
	global_store_dword v[2:3], v0, off
	s_waitcnt vmcnt(18)
	global_store_dword v[4:5], v1, off
	;; [unrolled: 2-line block ×19, first 2 shown]
.LBB82_352:
	s_endpgm
	.section	.rodata,"a",@progbits
	.p2align	6, 0x0
	.amdhsa_kernel _ZN9rocsolver6v33100L18trti2_kernel_smallILi19EfPKPfEEv13rocblas_fill_17rocblas_diagonal_T1_iil
		.amdhsa_group_segment_fixed_size 156
		.amdhsa_private_segment_fixed_size 80
		.amdhsa_kernarg_size 32
		.amdhsa_user_sgpr_count 8
		.amdhsa_user_sgpr_private_segment_buffer 1
		.amdhsa_user_sgpr_dispatch_ptr 0
		.amdhsa_user_sgpr_queue_ptr 0
		.amdhsa_user_sgpr_kernarg_segment_ptr 1
		.amdhsa_user_sgpr_dispatch_id 0
		.amdhsa_user_sgpr_flat_scratch_init 1
		.amdhsa_user_sgpr_kernarg_preload_length 0
		.amdhsa_user_sgpr_kernarg_preload_offset 0
		.amdhsa_user_sgpr_private_segment_size 0
		.amdhsa_uses_dynamic_stack 0
		.amdhsa_system_sgpr_private_segment_wavefront_offset 1
		.amdhsa_system_sgpr_workgroup_id_x 1
		.amdhsa_system_sgpr_workgroup_id_y 0
		.amdhsa_system_sgpr_workgroup_id_z 0
		.amdhsa_system_sgpr_workgroup_info 0
		.amdhsa_system_vgpr_workitem_id 0
		.amdhsa_next_free_vgpr 60
		.amdhsa_next_free_sgpr 16
		.amdhsa_accum_offset 60
		.amdhsa_reserve_vcc 1
		.amdhsa_reserve_flat_scratch 0
		.amdhsa_float_round_mode_32 0
		.amdhsa_float_round_mode_16_64 0
		.amdhsa_float_denorm_mode_32 3
		.amdhsa_float_denorm_mode_16_64 3
		.amdhsa_dx10_clamp 1
		.amdhsa_ieee_mode 1
		.amdhsa_fp16_overflow 0
		.amdhsa_tg_split 0
		.amdhsa_exception_fp_ieee_invalid_op 0
		.amdhsa_exception_fp_denorm_src 0
		.amdhsa_exception_fp_ieee_div_zero 0
		.amdhsa_exception_fp_ieee_overflow 0
		.amdhsa_exception_fp_ieee_underflow 0
		.amdhsa_exception_fp_ieee_inexact 0
		.amdhsa_exception_int_div_zero 0
	.end_amdhsa_kernel
	.section	.text._ZN9rocsolver6v33100L18trti2_kernel_smallILi19EfPKPfEEv13rocblas_fill_17rocblas_diagonal_T1_iil,"axG",@progbits,_ZN9rocsolver6v33100L18trti2_kernel_smallILi19EfPKPfEEv13rocblas_fill_17rocblas_diagonal_T1_iil,comdat
.Lfunc_end82:
	.size	_ZN9rocsolver6v33100L18trti2_kernel_smallILi19EfPKPfEEv13rocblas_fill_17rocblas_diagonal_T1_iil, .Lfunc_end82-_ZN9rocsolver6v33100L18trti2_kernel_smallILi19EfPKPfEEv13rocblas_fill_17rocblas_diagonal_T1_iil
                                        ; -- End function
	.section	.AMDGPU.csdata,"",@progbits
; Kernel info:
; codeLenInByte = 9028
; NumSgprs: 20
; NumVgprs: 60
; NumAgprs: 0
; TotalNumVgprs: 60
; ScratchSize: 80
; MemoryBound: 0
; FloatMode: 240
; IeeeMode: 1
; LDSByteSize: 156 bytes/workgroup (compile time only)
; SGPRBlocks: 2
; VGPRBlocks: 7
; NumSGPRsForWavesPerEU: 20
; NumVGPRsForWavesPerEU: 60
; AccumOffset: 60
; Occupancy: 8
; WaveLimiterHint : 1
; COMPUTE_PGM_RSRC2:SCRATCH_EN: 1
; COMPUTE_PGM_RSRC2:USER_SGPR: 8
; COMPUTE_PGM_RSRC2:TRAP_HANDLER: 0
; COMPUTE_PGM_RSRC2:TGID_X_EN: 1
; COMPUTE_PGM_RSRC2:TGID_Y_EN: 0
; COMPUTE_PGM_RSRC2:TGID_Z_EN: 0
; COMPUTE_PGM_RSRC2:TIDIG_COMP_CNT: 0
; COMPUTE_PGM_RSRC3_GFX90A:ACCUM_OFFSET: 14
; COMPUTE_PGM_RSRC3_GFX90A:TG_SPLIT: 0
	.section	.text._ZN9rocsolver6v33100L18trti2_kernel_smallILi20EfPKPfEEv13rocblas_fill_17rocblas_diagonal_T1_iil,"axG",@progbits,_ZN9rocsolver6v33100L18trti2_kernel_smallILi20EfPKPfEEv13rocblas_fill_17rocblas_diagonal_T1_iil,comdat
	.globl	_ZN9rocsolver6v33100L18trti2_kernel_smallILi20EfPKPfEEv13rocblas_fill_17rocblas_diagonal_T1_iil ; -- Begin function _ZN9rocsolver6v33100L18trti2_kernel_smallILi20EfPKPfEEv13rocblas_fill_17rocblas_diagonal_T1_iil
	.p2align	8
	.type	_ZN9rocsolver6v33100L18trti2_kernel_smallILi20EfPKPfEEv13rocblas_fill_17rocblas_diagonal_T1_iil,@function
_ZN9rocsolver6v33100L18trti2_kernel_smallILi20EfPKPfEEv13rocblas_fill_17rocblas_diagonal_T1_iil: ; @_ZN9rocsolver6v33100L18trti2_kernel_smallILi20EfPKPfEEv13rocblas_fill_17rocblas_diagonal_T1_iil
; %bb.0:
	s_add_u32 s0, s0, s9
	s_addc_u32 s1, s1, 0
	v_cmp_gt_u32_e32 vcc, 20, v0
	s_and_saveexec_b64 s[6:7], vcc
	s_cbranch_execz .LBB83_372
; %bb.1:
	s_load_dwordx2 s[6:7], s[4:5], 0x10
	s_load_dwordx4 s[12:15], s[4:5], 0x0
	s_ashr_i32 s9, s8, 31
	s_lshl_b64 s[4:5], s[8:9], 3
	v_lshlrev_b32_e32 v1, 2, v0
	s_waitcnt lgkmcnt(0)
	s_ashr_i32 s9, s6, 31
	s_add_u32 s4, s14, s4
	s_addc_u32 s5, s15, s5
	s_load_dwordx2 s[4:5], s[4:5], 0x0
	s_mov_b32 s8, s6
	s_lshl_b64 s[8:9], s[8:9], 2
	s_waitcnt lgkmcnt(0)
	s_add_u32 s4, s4, s8
	s_addc_u32 s5, s5, s9
	s_mov_b32 s8, s7
	s_ashr_i32 s9, s7, 31
	v_mov_b32_e32 v3, s5
	v_add_co_u32_e32 v2, vcc, s4, v1
	global_load_dword v21, v1, s[4:5]
	s_lshl_b64 s[8:9], s[8:9], 2
	v_addc_co_u32_e32 v3, vcc, 0, v3, vcc
	v_mov_b32_e32 v5, s9
	v_add_co_u32_e32 v4, vcc, s8, v2
	v_addc_co_u32_e32 v5, vcc, v3, v5, vcc
	global_load_dword v23, v[4:5], off
	s_add_i32 s6, s7, s7
	v_add_u32_e32 v6, s6, v0
	v_add_u32_e32 v8, s7, v6
	;; [unrolled: 1-line block ×6, first 2 shown]
	v_ashrrev_i32_e32 v7, 31, v6
	v_add_u32_e32 v20, s7, v16
	v_lshlrev_b64 v[6:7], 2, v[6:7]
	v_add_u32_e32 v22, s7, v20
	v_mov_b32_e32 v11, s5
	v_ashrrev_i32_e32 v9, 31, v8
	v_add_co_u32_e32 v6, vcc, s4, v6
	v_add_u32_e32 v24, s7, v22
	v_addc_co_u32_e32 v7, vcc, v11, v7, vcc
	v_lshlrev_b64 v[8:9], 2, v[8:9]
	v_add_u32_e32 v26, s7, v24
	v_mov_b32_e32 v13, s5
	v_ashrrev_i32_e32 v11, 31, v10
	v_add_co_u32_e32 v8, vcc, s4, v8
	v_add_u32_e32 v28, s7, v26
	v_addc_co_u32_e32 v9, vcc, v13, v9, vcc
	;; [unrolled: 7-line block ×5, first 2 shown]
	v_lshlrev_b64 v[18:19], 2, v[16:17]
	v_add_u32_e32 v16, s7, v40
	v_ashrrev_i32_e32 v17, 31, v16
	v_lshlrev_b64 v[16:17], 2, v[16:17]
	v_mov_b32_e32 v27, s5
	v_add_co_u32_e32 v16, vcc, s4, v16
	v_addc_co_u32_e32 v17, vcc, v27, v17, vcc
	global_load_dword v42, v[16:17], off
	v_mov_b32_e32 v25, s5
	v_add_co_u32_e32 v18, vcc, s4, v18
	v_addc_co_u32_e32 v19, vcc, v25, v19, vcc
	v_mov_b32_e32 v29, s5
	s_waitcnt vmcnt(2)
	buffer_store_dword v21, off, s[0:3], 0
	v_ashrrev_i32_e32 v21, 31, v20
	v_lshlrev_b64 v[20:21], 2, v[20:21]
	v_add_co_u32_e32 v20, vcc, s4, v20
	v_addc_co_u32_e32 v21, vcc, v25, v21, vcc
	global_load_dword v43, v[6:7], off
	global_load_dword v44, v[8:9], off
	;; [unrolled: 1-line block ×7, first 2 shown]
	v_mov_b32_e32 v31, s5
	s_waitcnt vmcnt(9)
	buffer_store_dword v23, off, s[0:3], 0 offset:4
	v_ashrrev_i32_e32 v23, 31, v22
	v_lshlrev_b64 v[22:23], 2, v[22:23]
	v_add_co_u32_e32 v22, vcc, s4, v22
	v_addc_co_u32_e32 v23, vcc, v25, v23, vcc
	v_ashrrev_i32_e32 v25, 31, v24
	v_lshlrev_b64 v[24:25], 2, v[24:25]
	v_add_co_u32_e32 v24, vcc, s4, v24
	v_addc_co_u32_e32 v25, vcc, v27, v25, vcc
	;; [unrolled: 4-line block ×4, first 2 shown]
	v_ashrrev_i32_e32 v31, 31, v30
	v_lshlrev_b64 v[30:31], 2, v[30:31]
	v_mov_b32_e32 v33, s5
	v_add_co_u32_e32 v30, vcc, s4, v30
	v_addc_co_u32_e32 v31, vcc, v33, v31, vcc
	v_ashrrev_i32_e32 v33, 31, v32
	v_lshlrev_b64 v[32:33], 2, v[32:33]
	v_mov_b32_e32 v35, s5
	v_add_co_u32_e32 v32, vcc, s4, v32
	v_addc_co_u32_e32 v33, vcc, v35, v33, vcc
	;; [unrolled: 5-line block ×5, first 2 shown]
	v_ashrrev_i32_e32 v41, 31, v40
	v_lshlrev_b64 v[40:41], 2, v[40:41]
	v_mov_b32_e32 v51, s5
	v_add_co_u32_e32 v40, vcc, s4, v40
	global_load_dword v50, v[22:23], off
	global_load_dword v52, v[24:25], off
	;; [unrolled: 1-line block ×3, first 2 shown]
	v_addc_co_u32_e32 v41, vcc, v51, v41, vcc
	global_load_dword v54, v[28:29], off
	global_load_dword v55, v[30:31], off
	;; [unrolled: 1-line block ×7, first 2 shown]
	s_cmpk_lg_i32 s13, 0x84
	v_mov_b32_e32 v51, 0
	s_cselect_b64 s[8:9], -1, 0
	s_waitcnt vmcnt(17)
	buffer_store_dword v43, off, s[0:3], 0 offset:8
	s_cmpk_eq_i32 s13, 0x84
	s_waitcnt vmcnt(17)
	buffer_store_dword v44, off, s[0:3], 0 offset:12
	s_waitcnt vmcnt(17)
	buffer_store_dword v45, off, s[0:3], 0 offset:16
	;; [unrolled: 2-line block ×8, first 2 shown]
	buffer_store_dword v52, off, s[0:3], 0 offset:40
	s_waitcnt vmcnt(16)
	buffer_store_dword v54, off, s[0:3], 0 offset:48
	s_waitcnt vmcnt(16)
	;; [unrolled: 2-line block ×7, first 2 shown]
	buffer_store_dword v60, off, s[0:3], 0 offset:72
	buffer_store_dword v42, off, s[0:3], 0 offset:76
	v_mov_b32_e32 v42, -1.0
	s_cbranch_scc1 .LBB83_3
; %bb.2:
	v_lshl_add_u32 v42, v0, 2, v51
	buffer_load_dword v43, v42, s[0:3], 0 offen
	s_waitcnt vmcnt(0)
	v_div_scale_f32 v44, s[4:5], v43, v43, 1.0
	v_rcp_f32_e32 v45, v44
	v_div_scale_f32 v46, vcc, 1.0, v43, 1.0
	v_fma_f32 v47, -v44, v45, 1.0
	v_fmac_f32_e32 v45, v47, v45
	v_mul_f32_e32 v47, v46, v45
	v_fma_f32 v48, -v44, v47, v46
	v_fmac_f32_e32 v47, v48, v45
	v_fma_f32 v44, -v44, v47, v46
	v_div_fmas_f32 v44, v44, v45, v47
	v_div_fixup_f32 v43, v44, v43, 1.0
	buffer_store_dword v43, v42, s[0:3], 0 offen
	v_xor_b32_e32 v42, 0x80000000, v43
.LBB83_3:
	ds_write_b32 v1, v42
	s_cmpk_eq_i32 s12, 0x79
	v_add_u32_e32 v42, 0x50, v1
	v_add_u32_e32 v43, 0, v1
	s_mov_b64 s[4:5], -1
	s_cbranch_scc1 .LBB83_187
; %bb.4:
	buffer_load_dword v44, off, s[0:3], 0 offset:72
	v_cmp_eq_u32_e64 s[4:5], 19, v0
	s_waitcnt vmcnt(0)
	ds_write_b32 v42, v44
	s_waitcnt lgkmcnt(0)
	; wave barrier
	s_waitcnt lgkmcnt(0)
	s_and_saveexec_b64 s[6:7], s[4:5]
	s_cbranch_execz .LBB83_10
; %bb.5:
	s_and_b64 vcc, exec, s[8:9]
	s_cbranch_vccz .LBB83_7
; %bb.6:
	buffer_load_dword v44, v43, s[0:3], 0 offen
	ds_read_b32 v45, v42
	s_waitcnt vmcnt(0) lgkmcnt(0)
	v_mul_f32_e32 v44, v44, v45
	s_cbranch_execz .LBB83_8
	s_branch .LBB83_9
.LBB83_7:
                                        ; implicit-def: $vgpr44
.LBB83_8:
	ds_read_b32 v44, v42
.LBB83_9:
	v_mov_b32_e32 v45, 0
	ds_read_b32 v45, v45 offset:72
	s_waitcnt lgkmcnt(0)
	v_mul_f32_e32 v44, v44, v45
	buffer_store_dword v44, off, s[0:3], 0 offset:72
.LBB83_10:
	s_or_b64 exec, exec, s[6:7]
	buffer_load_dword v52, off, s[0:3], 0 offset:68
	v_or_b32_e32 v44, 8, v51
	v_add_u32_e32 v45, 16, v51
	v_add_u32_e32 v46, 24, v51
	;; [unrolled: 1-line block ×7, first 2 shown]
	v_cmp_lt_u32_e64 s[6:7], 17, v0
	s_waitcnt vmcnt(0)
	ds_write_b32 v42, v52
	s_waitcnt lgkmcnt(0)
	; wave barrier
	s_waitcnt lgkmcnt(0)
	s_and_saveexec_b64 s[10:11], s[6:7]
	s_cbranch_execz .LBB83_16
; %bb.11:
	s_andn2_b64 vcc, exec, s[8:9]
	s_cbranch_vccnz .LBB83_13
; %bb.12:
	buffer_load_dword v52, v43, s[0:3], 0 offen
	ds_read_b32 v53, v42
	s_waitcnt vmcnt(0) lgkmcnt(0)
	v_mul_f32_e32 v52, v52, v53
	s_cbranch_execz .LBB83_14
	s_branch .LBB83_15
.LBB83_13:
                                        ; implicit-def: $vgpr52
.LBB83_14:
	ds_read_b32 v52, v42
.LBB83_15:
	buffer_load_dword v53, off, s[0:3], 0 offset:72
	v_mov_b32_e32 v54, 0
	ds_read2_b32 v[54:55], v54 offset0:17 offset1:38
	s_waitcnt vmcnt(0) lgkmcnt(0)
	v_fma_f32 v53, v53, v55, v52
	v_cndmask_b32_e64 v52, v52, v53, s[4:5]
	v_mul_f32_e32 v52, v52, v54
	buffer_store_dword v52, off, s[0:3], 0 offset:68
.LBB83_16:
	s_or_b64 exec, exec, s[10:11]
	buffer_load_dword v52, off, s[0:3], 0 offset:64
	v_cmp_lt_u32_e64 s[4:5], 16, v0
	s_waitcnt vmcnt(0)
	ds_write_b32 v42, v52
	s_waitcnt lgkmcnt(0)
	; wave barrier
	s_waitcnt lgkmcnt(0)
	s_and_saveexec_b64 s[10:11], s[4:5]
	s_cbranch_execz .LBB83_26
; %bb.17:
	s_andn2_b64 vcc, exec, s[8:9]
	s_cbranch_vccnz .LBB83_19
; %bb.18:
	buffer_load_dword v52, v43, s[0:3], 0 offen
	ds_read_b32 v53, v42
	s_waitcnt vmcnt(0) lgkmcnt(0)
	v_mul_f32_e32 v52, v52, v53
	s_cbranch_execz .LBB83_20
	s_branch .LBB83_21
.LBB83_19:
                                        ; implicit-def: $vgpr52
.LBB83_20:
	ds_read_b32 v52, v42
.LBB83_21:
	s_and_saveexec_b64 s[12:13], s[6:7]
	s_cbranch_execz .LBB83_25
; %bb.22:
	v_mov_b32_e32 v53, 0
	v_add_u32_e32 v53, 0x44, v53
	v_subrev_u32_e32 v54, 17, v0
	s_movk_i32 s14, 0x94
	s_mov_b64 s[6:7], 0
.LBB83_23:                              ; =>This Inner Loop Header: Depth=1
	buffer_load_dword v55, v53, s[0:3], 0 offen
	v_mov_b32_e32 v56, s14
	ds_read_b32 v56, v56
	v_add_u32_e32 v54, -1, v54
	s_add_i32 s14, s14, 4
	v_cmp_eq_u32_e32 vcc, 0, v54
	v_add_u32_e32 v53, 4, v53
	s_or_b64 s[6:7], vcc, s[6:7]
	s_waitcnt vmcnt(0) lgkmcnt(0)
	v_fmac_f32_e32 v52, v55, v56
	s_andn2_b64 exec, exec, s[6:7]
	s_cbranch_execnz .LBB83_23
; %bb.24:
	s_or_b64 exec, exec, s[6:7]
.LBB83_25:
	s_or_b64 exec, exec, s[12:13]
	v_mov_b32_e32 v53, 0
	ds_read_b32 v53, v53 offset:64
	s_waitcnt lgkmcnt(0)
	v_mul_f32_e32 v52, v52, v53
	buffer_store_dword v52, off, s[0:3], 0 offset:64
.LBB83_26:
	s_or_b64 exec, exec, s[10:11]
	buffer_load_dword v52, off, s[0:3], 0 offset:60
	v_cmp_lt_u32_e64 s[6:7], 15, v0
	s_waitcnt vmcnt(0)
	ds_write_b32 v42, v52
	s_waitcnt lgkmcnt(0)
	; wave barrier
	s_waitcnt lgkmcnt(0)
	s_and_saveexec_b64 s[10:11], s[6:7]
	s_cbranch_execz .LBB83_36
; %bb.27:
	s_andn2_b64 vcc, exec, s[8:9]
	s_cbranch_vccnz .LBB83_29
; %bb.28:
	buffer_load_dword v52, v43, s[0:3], 0 offen
	ds_read_b32 v53, v42
	s_waitcnt vmcnt(0) lgkmcnt(0)
	v_mul_f32_e32 v52, v52, v53
	s_cbranch_execz .LBB83_30
	s_branch .LBB83_31
.LBB83_29:
                                        ; implicit-def: $vgpr52
.LBB83_30:
	ds_read_b32 v52, v42
.LBB83_31:
	s_and_saveexec_b64 s[12:13], s[4:5]
	s_cbranch_execz .LBB83_35
; %bb.32:
	v_add_u32_e32 v53, -16, v0
	s_movk_i32 s14, 0x90
	s_mov_b64 s[4:5], 0
.LBB83_33:                              ; =>This Inner Loop Header: Depth=1
	buffer_load_dword v54, v51, s[0:3], 0 offen
	v_mov_b32_e32 v55, s14
	ds_read_b32 v55, v55
	v_add_u32_e32 v53, -1, v53
	s_add_i32 s14, s14, 4
	v_cmp_eq_u32_e32 vcc, 0, v53
	v_add_u32_e32 v51, 4, v51
	s_or_b64 s[4:5], vcc, s[4:5]
	s_waitcnt vmcnt(0) lgkmcnt(0)
	v_fmac_f32_e32 v52, v54, v55
	s_andn2_b64 exec, exec, s[4:5]
	s_cbranch_execnz .LBB83_33
; %bb.34:
	s_or_b64 exec, exec, s[4:5]
.LBB83_35:
	s_or_b64 exec, exec, s[12:13]
	v_mov_b32_e32 v51, 0
	ds_read_b32 v51, v51 offset:60
	s_waitcnt lgkmcnt(0)
	v_mul_f32_e32 v51, v52, v51
	buffer_store_dword v51, off, s[0:3], 0 offset:60
.LBB83_36:
	s_or_b64 exec, exec, s[10:11]
	buffer_load_dword v51, off, s[0:3], 0 offset:56
	v_cmp_lt_u32_e64 s[4:5], 14, v0
	s_waitcnt vmcnt(0)
	ds_write_b32 v42, v51
	s_waitcnt lgkmcnt(0)
	; wave barrier
	s_waitcnt lgkmcnt(0)
	s_and_saveexec_b64 s[10:11], s[4:5]
	s_cbranch_execz .LBB83_46
; %bb.37:
	s_andn2_b64 vcc, exec, s[8:9]
	s_cbranch_vccnz .LBB83_39
; %bb.38:
	buffer_load_dword v51, v43, s[0:3], 0 offen
	ds_read_b32 v52, v42
	s_waitcnt vmcnt(0) lgkmcnt(0)
	v_mul_f32_e32 v51, v51, v52
	s_cbranch_execz .LBB83_40
	s_branch .LBB83_41
.LBB83_39:
                                        ; implicit-def: $vgpr51
.LBB83_40:
	ds_read_b32 v51, v42
.LBB83_41:
	s_and_saveexec_b64 s[12:13], s[6:7]
	s_cbranch_execz .LBB83_45
; %bb.42:
	v_mov_b32_e32 v52, 0
	v_add_u32_e32 v52, 60, v52
	v_add_u32_e32 v53, -15, v0
	s_movk_i32 s14, 0x8c
	s_mov_b64 s[6:7], 0
.LBB83_43:                              ; =>This Inner Loop Header: Depth=1
	buffer_load_dword v54, v52, s[0:3], 0 offen
	v_mov_b32_e32 v55, s14
	ds_read_b32 v55, v55
	v_add_u32_e32 v53, -1, v53
	s_add_i32 s14, s14, 4
	v_cmp_eq_u32_e32 vcc, 0, v53
	v_add_u32_e32 v52, 4, v52
	s_or_b64 s[6:7], vcc, s[6:7]
	s_waitcnt vmcnt(0) lgkmcnt(0)
	v_fmac_f32_e32 v51, v54, v55
	s_andn2_b64 exec, exec, s[6:7]
	s_cbranch_execnz .LBB83_43
; %bb.44:
	s_or_b64 exec, exec, s[6:7]
.LBB83_45:
	s_or_b64 exec, exec, s[12:13]
	v_mov_b32_e32 v52, 0
	ds_read_b32 v52, v52 offset:56
	s_waitcnt lgkmcnt(0)
	v_mul_f32_e32 v51, v51, v52
	buffer_store_dword v51, off, s[0:3], 0 offset:56
.LBB83_46:
	s_or_b64 exec, exec, s[10:11]
	buffer_load_dword v51, off, s[0:3], 0 offset:52
	v_cmp_lt_u32_e64 s[6:7], 13, v0
	s_waitcnt vmcnt(0)
	ds_write_b32 v42, v51
	s_waitcnt lgkmcnt(0)
	; wave barrier
	s_waitcnt lgkmcnt(0)
	s_and_saveexec_b64 s[10:11], s[6:7]
	s_cbranch_execz .LBB83_56
; %bb.47:
	s_andn2_b64 vcc, exec, s[8:9]
	s_cbranch_vccnz .LBB83_49
; %bb.48:
	buffer_load_dword v51, v43, s[0:3], 0 offen
	ds_read_b32 v52, v42
	s_waitcnt vmcnt(0) lgkmcnt(0)
	v_mul_f32_e32 v51, v51, v52
	s_cbranch_execz .LBB83_50
	s_branch .LBB83_51
.LBB83_49:
                                        ; implicit-def: $vgpr51
.LBB83_50:
	ds_read_b32 v51, v42
.LBB83_51:
	s_and_saveexec_b64 s[12:13], s[4:5]
	s_cbranch_execz .LBB83_55
; %bb.52:
	v_add_u32_e32 v52, -14, v0
	s_movk_i32 s14, 0x88
	s_mov_b64 s[4:5], 0
.LBB83_53:                              ; =>This Inner Loop Header: Depth=1
	buffer_load_dword v53, v50, s[0:3], 0 offen
	v_mov_b32_e32 v54, s14
	ds_read_b32 v54, v54
	v_add_u32_e32 v52, -1, v52
	s_add_i32 s14, s14, 4
	v_cmp_eq_u32_e32 vcc, 0, v52
	v_add_u32_e32 v50, 4, v50
	s_or_b64 s[4:5], vcc, s[4:5]
	s_waitcnt vmcnt(0) lgkmcnt(0)
	v_fmac_f32_e32 v51, v53, v54
	s_andn2_b64 exec, exec, s[4:5]
	s_cbranch_execnz .LBB83_53
; %bb.54:
	s_or_b64 exec, exec, s[4:5]
.LBB83_55:
	s_or_b64 exec, exec, s[12:13]
	v_mov_b32_e32 v50, 0
	ds_read_b32 v50, v50 offset:52
	s_waitcnt lgkmcnt(0)
	v_mul_f32_e32 v50, v51, v50
	buffer_store_dword v50, off, s[0:3], 0 offset:52
.LBB83_56:
	s_or_b64 exec, exec, s[10:11]
	buffer_load_dword v50, off, s[0:3], 0 offset:48
	v_cmp_lt_u32_e64 s[4:5], 12, v0
	s_waitcnt vmcnt(0)
	ds_write_b32 v42, v50
	s_waitcnt lgkmcnt(0)
	; wave barrier
	s_waitcnt lgkmcnt(0)
	s_and_saveexec_b64 s[10:11], s[4:5]
	s_cbranch_execz .LBB83_66
; %bb.57:
	s_andn2_b64 vcc, exec, s[8:9]
	s_cbranch_vccnz .LBB83_59
; %bb.58:
	buffer_load_dword v50, v43, s[0:3], 0 offen
	ds_read_b32 v51, v42
	s_waitcnt vmcnt(0) lgkmcnt(0)
	v_mul_f32_e32 v50, v50, v51
	s_cbranch_execz .LBB83_60
	s_branch .LBB83_61
.LBB83_59:
                                        ; implicit-def: $vgpr50
.LBB83_60:
	ds_read_b32 v50, v42
.LBB83_61:
	s_and_saveexec_b64 s[12:13], s[6:7]
	s_cbranch_execz .LBB83_65
; %bb.62:
	v_mov_b32_e32 v51, 0
	v_add_u32_e32 v51, 52, v51
	v_add_u32_e32 v52, -13, v0
	s_movk_i32 s14, 0x84
	s_mov_b64 s[6:7], 0
.LBB83_63:                              ; =>This Inner Loop Header: Depth=1
	buffer_load_dword v53, v51, s[0:3], 0 offen
	v_mov_b32_e32 v54, s14
	ds_read_b32 v54, v54
	v_add_u32_e32 v52, -1, v52
	s_add_i32 s14, s14, 4
	v_cmp_eq_u32_e32 vcc, 0, v52
	v_add_u32_e32 v51, 4, v51
	s_or_b64 s[6:7], vcc, s[6:7]
	s_waitcnt vmcnt(0) lgkmcnt(0)
	v_fmac_f32_e32 v50, v53, v54
	s_andn2_b64 exec, exec, s[6:7]
	s_cbranch_execnz .LBB83_63
; %bb.64:
	s_or_b64 exec, exec, s[6:7]
.LBB83_65:
	s_or_b64 exec, exec, s[12:13]
	v_mov_b32_e32 v51, 0
	ds_read_b32 v51, v51 offset:48
	s_waitcnt lgkmcnt(0)
	v_mul_f32_e32 v50, v50, v51
	buffer_store_dword v50, off, s[0:3], 0 offset:48
.LBB83_66:
	s_or_b64 exec, exec, s[10:11]
	buffer_load_dword v50, off, s[0:3], 0 offset:44
	v_cmp_lt_u32_e64 s[6:7], 11, v0
	s_waitcnt vmcnt(0)
	ds_write_b32 v42, v50
	s_waitcnt lgkmcnt(0)
	; wave barrier
	s_waitcnt lgkmcnt(0)
	s_and_saveexec_b64 s[10:11], s[6:7]
	s_cbranch_execz .LBB83_76
; %bb.67:
	s_andn2_b64 vcc, exec, s[8:9]
	s_cbranch_vccnz .LBB83_69
; %bb.68:
	buffer_load_dword v50, v43, s[0:3], 0 offen
	ds_read_b32 v51, v42
	s_waitcnt vmcnt(0) lgkmcnt(0)
	v_mul_f32_e32 v50, v50, v51
	s_cbranch_execz .LBB83_70
	s_branch .LBB83_71
.LBB83_69:
                                        ; implicit-def: $vgpr50
.LBB83_70:
	ds_read_b32 v50, v42
.LBB83_71:
	s_and_saveexec_b64 s[12:13], s[4:5]
	s_cbranch_execz .LBB83_75
; %bb.72:
	v_add_u32_e32 v51, -12, v0
	s_movk_i32 s14, 0x80
	s_mov_b64 s[4:5], 0
.LBB83_73:                              ; =>This Inner Loop Header: Depth=1
	buffer_load_dword v52, v49, s[0:3], 0 offen
	v_mov_b32_e32 v53, s14
	ds_read_b32 v53, v53
	v_add_u32_e32 v51, -1, v51
	s_add_i32 s14, s14, 4
	v_cmp_eq_u32_e32 vcc, 0, v51
	v_add_u32_e32 v49, 4, v49
	s_or_b64 s[4:5], vcc, s[4:5]
	s_waitcnt vmcnt(0) lgkmcnt(0)
	v_fmac_f32_e32 v50, v52, v53
	s_andn2_b64 exec, exec, s[4:5]
	s_cbranch_execnz .LBB83_73
; %bb.74:
	s_or_b64 exec, exec, s[4:5]
.LBB83_75:
	s_or_b64 exec, exec, s[12:13]
	v_mov_b32_e32 v49, 0
	ds_read_b32 v49, v49 offset:44
	s_waitcnt lgkmcnt(0)
	v_mul_f32_e32 v49, v50, v49
	buffer_store_dword v49, off, s[0:3], 0 offset:44
.LBB83_76:
	s_or_b64 exec, exec, s[10:11]
	buffer_load_dword v49, off, s[0:3], 0 offset:40
	v_cmp_lt_u32_e64 s[4:5], 10, v0
	s_waitcnt vmcnt(0)
	ds_write_b32 v42, v49
	s_waitcnt lgkmcnt(0)
	; wave barrier
	s_waitcnt lgkmcnt(0)
	s_and_saveexec_b64 s[10:11], s[4:5]
	s_cbranch_execz .LBB83_86
; %bb.77:
	s_andn2_b64 vcc, exec, s[8:9]
	s_cbranch_vccnz .LBB83_79
; %bb.78:
	buffer_load_dword v49, v43, s[0:3], 0 offen
	ds_read_b32 v50, v42
	s_waitcnt vmcnt(0) lgkmcnt(0)
	v_mul_f32_e32 v49, v49, v50
	s_cbranch_execz .LBB83_80
	s_branch .LBB83_81
.LBB83_79:
                                        ; implicit-def: $vgpr49
.LBB83_80:
	ds_read_b32 v49, v42
.LBB83_81:
	s_and_saveexec_b64 s[12:13], s[6:7]
	s_cbranch_execz .LBB83_85
; %bb.82:
	v_mov_b32_e32 v50, 0
	v_add_u32_e32 v50, 44, v50
	v_add_u32_e32 v51, -11, v0
	s_movk_i32 s14, 0x7c
	s_mov_b64 s[6:7], 0
.LBB83_83:                              ; =>This Inner Loop Header: Depth=1
	buffer_load_dword v52, v50, s[0:3], 0 offen
	v_mov_b32_e32 v53, s14
	ds_read_b32 v53, v53
	v_add_u32_e32 v51, -1, v51
	s_add_i32 s14, s14, 4
	v_cmp_eq_u32_e32 vcc, 0, v51
	v_add_u32_e32 v50, 4, v50
	s_or_b64 s[6:7], vcc, s[6:7]
	s_waitcnt vmcnt(0) lgkmcnt(0)
	v_fmac_f32_e32 v49, v52, v53
	s_andn2_b64 exec, exec, s[6:7]
	s_cbranch_execnz .LBB83_83
; %bb.84:
	s_or_b64 exec, exec, s[6:7]
.LBB83_85:
	s_or_b64 exec, exec, s[12:13]
	v_mov_b32_e32 v50, 0
	ds_read_b32 v50, v50 offset:40
	s_waitcnt lgkmcnt(0)
	v_mul_f32_e32 v49, v49, v50
	buffer_store_dword v49, off, s[0:3], 0 offset:40
.LBB83_86:
	s_or_b64 exec, exec, s[10:11]
	buffer_load_dword v49, off, s[0:3], 0 offset:36
	v_cmp_lt_u32_e64 s[6:7], 9, v0
	s_waitcnt vmcnt(0)
	ds_write_b32 v42, v49
	s_waitcnt lgkmcnt(0)
	; wave barrier
	s_waitcnt lgkmcnt(0)
	s_and_saveexec_b64 s[10:11], s[6:7]
	s_cbranch_execz .LBB83_96
; %bb.87:
	s_andn2_b64 vcc, exec, s[8:9]
	s_cbranch_vccnz .LBB83_89
; %bb.88:
	buffer_load_dword v49, v43, s[0:3], 0 offen
	ds_read_b32 v50, v42
	s_waitcnt vmcnt(0) lgkmcnt(0)
	v_mul_f32_e32 v49, v49, v50
	s_cbranch_execz .LBB83_90
	s_branch .LBB83_91
.LBB83_89:
                                        ; implicit-def: $vgpr49
.LBB83_90:
	ds_read_b32 v49, v42
.LBB83_91:
	s_and_saveexec_b64 s[12:13], s[4:5]
	s_cbranch_execz .LBB83_95
; %bb.92:
	v_add_u32_e32 v50, -10, v0
	s_movk_i32 s14, 0x78
	s_mov_b64 s[4:5], 0
.LBB83_93:                              ; =>This Inner Loop Header: Depth=1
	buffer_load_dword v51, v48, s[0:3], 0 offen
	v_mov_b32_e32 v52, s14
	ds_read_b32 v52, v52
	v_add_u32_e32 v50, -1, v50
	s_add_i32 s14, s14, 4
	v_cmp_eq_u32_e32 vcc, 0, v50
	v_add_u32_e32 v48, 4, v48
	s_or_b64 s[4:5], vcc, s[4:5]
	s_waitcnt vmcnt(0) lgkmcnt(0)
	v_fmac_f32_e32 v49, v51, v52
	s_andn2_b64 exec, exec, s[4:5]
	s_cbranch_execnz .LBB83_93
; %bb.94:
	s_or_b64 exec, exec, s[4:5]
.LBB83_95:
	s_or_b64 exec, exec, s[12:13]
	v_mov_b32_e32 v48, 0
	ds_read_b32 v48, v48 offset:36
	s_waitcnt lgkmcnt(0)
	v_mul_f32_e32 v48, v49, v48
	buffer_store_dword v48, off, s[0:3], 0 offset:36
.LBB83_96:
	s_or_b64 exec, exec, s[10:11]
	buffer_load_dword v48, off, s[0:3], 0 offset:32
	v_cmp_lt_u32_e64 s[4:5], 8, v0
	s_waitcnt vmcnt(0)
	ds_write_b32 v42, v48
	s_waitcnt lgkmcnt(0)
	; wave barrier
	s_waitcnt lgkmcnt(0)
	s_and_saveexec_b64 s[10:11], s[4:5]
	s_cbranch_execz .LBB83_106
; %bb.97:
	s_andn2_b64 vcc, exec, s[8:9]
	s_cbranch_vccnz .LBB83_99
; %bb.98:
	buffer_load_dword v48, v43, s[0:3], 0 offen
	ds_read_b32 v49, v42
	s_waitcnt vmcnt(0) lgkmcnt(0)
	v_mul_f32_e32 v48, v48, v49
	s_cbranch_execz .LBB83_100
	s_branch .LBB83_101
.LBB83_99:
                                        ; implicit-def: $vgpr48
.LBB83_100:
	ds_read_b32 v48, v42
.LBB83_101:
	s_and_saveexec_b64 s[12:13], s[6:7]
	s_cbranch_execz .LBB83_105
; %bb.102:
	v_mov_b32_e32 v49, 0
	v_add_u32_e32 v49, 36, v49
	v_add_u32_e32 v50, -9, v0
	s_movk_i32 s14, 0x74
	s_mov_b64 s[6:7], 0
.LBB83_103:                             ; =>This Inner Loop Header: Depth=1
	buffer_load_dword v51, v49, s[0:3], 0 offen
	v_mov_b32_e32 v52, s14
	ds_read_b32 v52, v52
	v_add_u32_e32 v50, -1, v50
	s_add_i32 s14, s14, 4
	v_cmp_eq_u32_e32 vcc, 0, v50
	v_add_u32_e32 v49, 4, v49
	s_or_b64 s[6:7], vcc, s[6:7]
	s_waitcnt vmcnt(0) lgkmcnt(0)
	v_fmac_f32_e32 v48, v51, v52
	s_andn2_b64 exec, exec, s[6:7]
	s_cbranch_execnz .LBB83_103
; %bb.104:
	s_or_b64 exec, exec, s[6:7]
.LBB83_105:
	s_or_b64 exec, exec, s[12:13]
	v_mov_b32_e32 v49, 0
	ds_read_b32 v49, v49 offset:32
	s_waitcnt lgkmcnt(0)
	v_mul_f32_e32 v48, v48, v49
	buffer_store_dword v48, off, s[0:3], 0 offset:32
.LBB83_106:
	s_or_b64 exec, exec, s[10:11]
	buffer_load_dword v48, off, s[0:3], 0 offset:28
	v_cmp_lt_u32_e64 s[6:7], 7, v0
	s_waitcnt vmcnt(0)
	ds_write_b32 v42, v48
	s_waitcnt lgkmcnt(0)
	; wave barrier
	s_waitcnt lgkmcnt(0)
	s_and_saveexec_b64 s[10:11], s[6:7]
	s_cbranch_execz .LBB83_116
; %bb.107:
	s_andn2_b64 vcc, exec, s[8:9]
	s_cbranch_vccnz .LBB83_109
; %bb.108:
	buffer_load_dword v48, v43, s[0:3], 0 offen
	ds_read_b32 v49, v42
	s_waitcnt vmcnt(0) lgkmcnt(0)
	v_mul_f32_e32 v48, v48, v49
	s_cbranch_execz .LBB83_110
	s_branch .LBB83_111
.LBB83_109:
                                        ; implicit-def: $vgpr48
.LBB83_110:
	ds_read_b32 v48, v42
.LBB83_111:
	s_and_saveexec_b64 s[12:13], s[4:5]
	s_cbranch_execz .LBB83_115
; %bb.112:
	v_add_u32_e32 v49, -8, v0
	s_movk_i32 s14, 0x70
	s_mov_b64 s[4:5], 0
.LBB83_113:                             ; =>This Inner Loop Header: Depth=1
	buffer_load_dword v50, v47, s[0:3], 0 offen
	v_mov_b32_e32 v51, s14
	ds_read_b32 v51, v51
	v_add_u32_e32 v49, -1, v49
	s_add_i32 s14, s14, 4
	v_cmp_eq_u32_e32 vcc, 0, v49
	v_add_u32_e32 v47, 4, v47
	s_or_b64 s[4:5], vcc, s[4:5]
	s_waitcnt vmcnt(0) lgkmcnt(0)
	v_fmac_f32_e32 v48, v50, v51
	s_andn2_b64 exec, exec, s[4:5]
	s_cbranch_execnz .LBB83_113
; %bb.114:
	s_or_b64 exec, exec, s[4:5]
.LBB83_115:
	s_or_b64 exec, exec, s[12:13]
	v_mov_b32_e32 v47, 0
	ds_read_b32 v47, v47 offset:28
	s_waitcnt lgkmcnt(0)
	v_mul_f32_e32 v47, v48, v47
	buffer_store_dword v47, off, s[0:3], 0 offset:28
.LBB83_116:
	s_or_b64 exec, exec, s[10:11]
	buffer_load_dword v47, off, s[0:3], 0 offset:24
	v_cmp_lt_u32_e64 s[4:5], 6, v0
	s_waitcnt vmcnt(0)
	ds_write_b32 v42, v47
	s_waitcnt lgkmcnt(0)
	; wave barrier
	s_waitcnt lgkmcnt(0)
	s_and_saveexec_b64 s[10:11], s[4:5]
	s_cbranch_execz .LBB83_126
; %bb.117:
	s_andn2_b64 vcc, exec, s[8:9]
	s_cbranch_vccnz .LBB83_119
; %bb.118:
	buffer_load_dword v47, v43, s[0:3], 0 offen
	ds_read_b32 v48, v42
	s_waitcnt vmcnt(0) lgkmcnt(0)
	v_mul_f32_e32 v47, v47, v48
	s_cbranch_execz .LBB83_120
	s_branch .LBB83_121
.LBB83_119:
                                        ; implicit-def: $vgpr47
.LBB83_120:
	ds_read_b32 v47, v42
.LBB83_121:
	s_and_saveexec_b64 s[12:13], s[6:7]
	s_cbranch_execz .LBB83_125
; %bb.122:
	v_mov_b32_e32 v48, 0
	v_add_u32_e32 v48, 28, v48
	v_add_u32_e32 v49, -7, v0
	s_movk_i32 s14, 0x6c
	s_mov_b64 s[6:7], 0
.LBB83_123:                             ; =>This Inner Loop Header: Depth=1
	buffer_load_dword v50, v48, s[0:3], 0 offen
	v_mov_b32_e32 v51, s14
	ds_read_b32 v51, v51
	v_add_u32_e32 v49, -1, v49
	s_add_i32 s14, s14, 4
	v_cmp_eq_u32_e32 vcc, 0, v49
	v_add_u32_e32 v48, 4, v48
	s_or_b64 s[6:7], vcc, s[6:7]
	s_waitcnt vmcnt(0) lgkmcnt(0)
	v_fmac_f32_e32 v47, v50, v51
	s_andn2_b64 exec, exec, s[6:7]
	s_cbranch_execnz .LBB83_123
; %bb.124:
	s_or_b64 exec, exec, s[6:7]
.LBB83_125:
	s_or_b64 exec, exec, s[12:13]
	v_mov_b32_e32 v48, 0
	ds_read_b32 v48, v48 offset:24
	s_waitcnt lgkmcnt(0)
	v_mul_f32_e32 v47, v47, v48
	buffer_store_dword v47, off, s[0:3], 0 offset:24
.LBB83_126:
	s_or_b64 exec, exec, s[10:11]
	buffer_load_dword v47, off, s[0:3], 0 offset:20
	v_cmp_lt_u32_e64 s[6:7], 5, v0
	s_waitcnt vmcnt(0)
	ds_write_b32 v42, v47
	s_waitcnt lgkmcnt(0)
	; wave barrier
	s_waitcnt lgkmcnt(0)
	s_and_saveexec_b64 s[10:11], s[6:7]
	s_cbranch_execz .LBB83_136
; %bb.127:
	s_andn2_b64 vcc, exec, s[8:9]
	s_cbranch_vccnz .LBB83_129
; %bb.128:
	buffer_load_dword v47, v43, s[0:3], 0 offen
	ds_read_b32 v48, v42
	s_waitcnt vmcnt(0) lgkmcnt(0)
	v_mul_f32_e32 v47, v47, v48
	s_cbranch_execz .LBB83_130
	s_branch .LBB83_131
.LBB83_129:
                                        ; implicit-def: $vgpr47
.LBB83_130:
	ds_read_b32 v47, v42
.LBB83_131:
	s_and_saveexec_b64 s[12:13], s[4:5]
	s_cbranch_execz .LBB83_135
; %bb.132:
	v_add_u32_e32 v48, -6, v0
	s_movk_i32 s14, 0x68
	s_mov_b64 s[4:5], 0
.LBB83_133:                             ; =>This Inner Loop Header: Depth=1
	buffer_load_dword v49, v46, s[0:3], 0 offen
	v_mov_b32_e32 v50, s14
	ds_read_b32 v50, v50
	v_add_u32_e32 v48, -1, v48
	s_add_i32 s14, s14, 4
	v_cmp_eq_u32_e32 vcc, 0, v48
	v_add_u32_e32 v46, 4, v46
	s_or_b64 s[4:5], vcc, s[4:5]
	s_waitcnt vmcnt(0) lgkmcnt(0)
	v_fmac_f32_e32 v47, v49, v50
	s_andn2_b64 exec, exec, s[4:5]
	s_cbranch_execnz .LBB83_133
; %bb.134:
	s_or_b64 exec, exec, s[4:5]
.LBB83_135:
	s_or_b64 exec, exec, s[12:13]
	v_mov_b32_e32 v46, 0
	ds_read_b32 v46, v46 offset:20
	s_waitcnt lgkmcnt(0)
	v_mul_f32_e32 v46, v47, v46
	buffer_store_dword v46, off, s[0:3], 0 offset:20
.LBB83_136:
	s_or_b64 exec, exec, s[10:11]
	buffer_load_dword v46, off, s[0:3], 0 offset:16
	v_cmp_lt_u32_e64 s[4:5], 4, v0
	s_waitcnt vmcnt(0)
	ds_write_b32 v42, v46
	s_waitcnt lgkmcnt(0)
	; wave barrier
	s_waitcnt lgkmcnt(0)
	s_and_saveexec_b64 s[10:11], s[4:5]
	s_cbranch_execz .LBB83_146
; %bb.137:
	s_andn2_b64 vcc, exec, s[8:9]
	s_cbranch_vccnz .LBB83_139
; %bb.138:
	buffer_load_dword v46, v43, s[0:3], 0 offen
	ds_read_b32 v47, v42
	s_waitcnt vmcnt(0) lgkmcnt(0)
	v_mul_f32_e32 v46, v46, v47
	s_cbranch_execz .LBB83_140
	s_branch .LBB83_141
.LBB83_139:
                                        ; implicit-def: $vgpr46
.LBB83_140:
	ds_read_b32 v46, v42
.LBB83_141:
	s_and_saveexec_b64 s[12:13], s[6:7]
	s_cbranch_execz .LBB83_145
; %bb.142:
	v_mov_b32_e32 v47, 0
	v_add_u32_e32 v47, 20, v47
	v_add_u32_e32 v48, -5, v0
	s_movk_i32 s14, 0x64
	s_mov_b64 s[6:7], 0
.LBB83_143:                             ; =>This Inner Loop Header: Depth=1
	buffer_load_dword v49, v47, s[0:3], 0 offen
	v_mov_b32_e32 v50, s14
	ds_read_b32 v50, v50
	v_add_u32_e32 v48, -1, v48
	s_add_i32 s14, s14, 4
	v_cmp_eq_u32_e32 vcc, 0, v48
	v_add_u32_e32 v47, 4, v47
	s_or_b64 s[6:7], vcc, s[6:7]
	s_waitcnt vmcnt(0) lgkmcnt(0)
	v_fmac_f32_e32 v46, v49, v50
	s_andn2_b64 exec, exec, s[6:7]
	s_cbranch_execnz .LBB83_143
; %bb.144:
	s_or_b64 exec, exec, s[6:7]
.LBB83_145:
	s_or_b64 exec, exec, s[12:13]
	v_mov_b32_e32 v47, 0
	ds_read_b32 v47, v47 offset:16
	s_waitcnt lgkmcnt(0)
	v_mul_f32_e32 v46, v46, v47
	buffer_store_dword v46, off, s[0:3], 0 offset:16
.LBB83_146:
	s_or_b64 exec, exec, s[10:11]
	buffer_load_dword v46, off, s[0:3], 0 offset:12
	v_cmp_lt_u32_e64 s[6:7], 3, v0
	s_waitcnt vmcnt(0)
	ds_write_b32 v42, v46
	s_waitcnt lgkmcnt(0)
	; wave barrier
	s_waitcnt lgkmcnt(0)
	s_and_saveexec_b64 s[10:11], s[6:7]
	s_cbranch_execz .LBB83_156
; %bb.147:
	s_andn2_b64 vcc, exec, s[8:9]
	s_cbranch_vccnz .LBB83_149
; %bb.148:
	buffer_load_dword v46, v43, s[0:3], 0 offen
	ds_read_b32 v47, v42
	s_waitcnt vmcnt(0) lgkmcnt(0)
	v_mul_f32_e32 v46, v46, v47
	s_cbranch_execz .LBB83_150
	s_branch .LBB83_151
.LBB83_149:
                                        ; implicit-def: $vgpr46
.LBB83_150:
	ds_read_b32 v46, v42
.LBB83_151:
	s_and_saveexec_b64 s[12:13], s[4:5]
	s_cbranch_execz .LBB83_155
; %bb.152:
	v_add_u32_e32 v47, -4, v0
	s_movk_i32 s14, 0x60
	s_mov_b64 s[4:5], 0
.LBB83_153:                             ; =>This Inner Loop Header: Depth=1
	buffer_load_dword v48, v45, s[0:3], 0 offen
	v_mov_b32_e32 v49, s14
	ds_read_b32 v49, v49
	v_add_u32_e32 v47, -1, v47
	s_add_i32 s14, s14, 4
	v_cmp_eq_u32_e32 vcc, 0, v47
	v_add_u32_e32 v45, 4, v45
	s_or_b64 s[4:5], vcc, s[4:5]
	s_waitcnt vmcnt(0) lgkmcnt(0)
	v_fmac_f32_e32 v46, v48, v49
	s_andn2_b64 exec, exec, s[4:5]
	s_cbranch_execnz .LBB83_153
; %bb.154:
	s_or_b64 exec, exec, s[4:5]
.LBB83_155:
	s_or_b64 exec, exec, s[12:13]
	v_mov_b32_e32 v45, 0
	ds_read_b32 v45, v45 offset:12
	s_waitcnt lgkmcnt(0)
	v_mul_f32_e32 v45, v46, v45
	buffer_store_dword v45, off, s[0:3], 0 offset:12
.LBB83_156:
	s_or_b64 exec, exec, s[10:11]
	buffer_load_dword v45, off, s[0:3], 0 offset:8
	v_cmp_lt_u32_e64 s[4:5], 2, v0
	s_waitcnt vmcnt(0)
	ds_write_b32 v42, v45
	s_waitcnt lgkmcnt(0)
	; wave barrier
	s_waitcnt lgkmcnt(0)
	s_and_saveexec_b64 s[10:11], s[4:5]
	s_cbranch_execz .LBB83_166
; %bb.157:
	s_andn2_b64 vcc, exec, s[8:9]
	s_cbranch_vccnz .LBB83_159
; %bb.158:
	buffer_load_dword v45, v43, s[0:3], 0 offen
	ds_read_b32 v46, v42
	s_waitcnt vmcnt(0) lgkmcnt(0)
	v_mul_f32_e32 v45, v45, v46
	s_cbranch_execz .LBB83_160
	s_branch .LBB83_161
.LBB83_159:
                                        ; implicit-def: $vgpr45
.LBB83_160:
	ds_read_b32 v45, v42
.LBB83_161:
	s_and_saveexec_b64 s[12:13], s[6:7]
	s_cbranch_execz .LBB83_165
; %bb.162:
	v_mov_b32_e32 v46, 0
	v_or_b32_e32 v46, 12, v46
	v_add_u32_e32 v47, -3, v0
	s_movk_i32 s14, 0x5c
	s_mov_b64 s[6:7], 0
.LBB83_163:                             ; =>This Inner Loop Header: Depth=1
	buffer_load_dword v48, v46, s[0:3], 0 offen
	v_mov_b32_e32 v49, s14
	ds_read_b32 v49, v49
	v_add_u32_e32 v47, -1, v47
	s_add_i32 s14, s14, 4
	v_cmp_eq_u32_e32 vcc, 0, v47
	v_add_u32_e32 v46, 4, v46
	s_or_b64 s[6:7], vcc, s[6:7]
	s_waitcnt vmcnt(0) lgkmcnt(0)
	v_fmac_f32_e32 v45, v48, v49
	s_andn2_b64 exec, exec, s[6:7]
	s_cbranch_execnz .LBB83_163
; %bb.164:
	s_or_b64 exec, exec, s[6:7]
.LBB83_165:
	s_or_b64 exec, exec, s[12:13]
	v_mov_b32_e32 v46, 0
	ds_read_b32 v46, v46 offset:8
	s_waitcnt lgkmcnt(0)
	v_mul_f32_e32 v45, v45, v46
	buffer_store_dword v45, off, s[0:3], 0 offset:8
.LBB83_166:
	s_or_b64 exec, exec, s[10:11]
	buffer_load_dword v45, off, s[0:3], 0 offset:4
	v_cmp_lt_u32_e64 s[6:7], 1, v0
	s_waitcnt vmcnt(0)
	ds_write_b32 v42, v45
	s_waitcnt lgkmcnt(0)
	; wave barrier
	s_waitcnt lgkmcnt(0)
	s_and_saveexec_b64 s[10:11], s[6:7]
	s_cbranch_execz .LBB83_176
; %bb.167:
	s_andn2_b64 vcc, exec, s[8:9]
	s_cbranch_vccnz .LBB83_169
; %bb.168:
	buffer_load_dword v45, v43, s[0:3], 0 offen
	ds_read_b32 v46, v42
	s_waitcnt vmcnt(0) lgkmcnt(0)
	v_mul_f32_e32 v45, v45, v46
	s_cbranch_execz .LBB83_170
	s_branch .LBB83_171
.LBB83_169:
                                        ; implicit-def: $vgpr45
.LBB83_170:
	ds_read_b32 v45, v42
.LBB83_171:
	s_and_saveexec_b64 s[12:13], s[4:5]
	s_cbranch_execz .LBB83_175
; %bb.172:
	v_add_u32_e32 v46, -2, v0
	s_movk_i32 s14, 0x58
	s_mov_b64 s[4:5], 0
.LBB83_173:                             ; =>This Inner Loop Header: Depth=1
	buffer_load_dword v47, v44, s[0:3], 0 offen
	v_mov_b32_e32 v48, s14
	ds_read_b32 v48, v48
	v_add_u32_e32 v46, -1, v46
	s_add_i32 s14, s14, 4
	v_cmp_eq_u32_e32 vcc, 0, v46
	v_add_u32_e32 v44, 4, v44
	s_or_b64 s[4:5], vcc, s[4:5]
	s_waitcnt vmcnt(0) lgkmcnt(0)
	v_fmac_f32_e32 v45, v47, v48
	s_andn2_b64 exec, exec, s[4:5]
	s_cbranch_execnz .LBB83_173
; %bb.174:
	s_or_b64 exec, exec, s[4:5]
.LBB83_175:
	s_or_b64 exec, exec, s[12:13]
	v_mov_b32_e32 v44, 0
	ds_read_b32 v44, v44 offset:4
	s_waitcnt lgkmcnt(0)
	v_mul_f32_e32 v44, v45, v44
	buffer_store_dword v44, off, s[0:3], 0 offset:4
.LBB83_176:
	s_or_b64 exec, exec, s[10:11]
	buffer_load_dword v44, off, s[0:3], 0
	v_cmp_ne_u32_e32 vcc, 0, v0
	s_waitcnt vmcnt(0)
	ds_write_b32 v42, v44
	s_waitcnt lgkmcnt(0)
	; wave barrier
	s_waitcnt lgkmcnt(0)
	s_and_saveexec_b64 s[4:5], vcc
	s_cbranch_execz .LBB83_186
; %bb.177:
	s_andn2_b64 vcc, exec, s[8:9]
	s_cbranch_vccnz .LBB83_179
; %bb.178:
	buffer_load_dword v44, v43, s[0:3], 0 offen
	ds_read_b32 v45, v42
	s_waitcnt vmcnt(0) lgkmcnt(0)
	v_mul_f32_e32 v44, v44, v45
	s_cbranch_execz .LBB83_180
	s_branch .LBB83_181
.LBB83_179:
                                        ; implicit-def: $vgpr44
.LBB83_180:
	ds_read_b32 v44, v42
.LBB83_181:
	s_and_saveexec_b64 s[10:11], s[6:7]
	s_cbranch_execz .LBB83_185
; %bb.182:
	v_mov_b32_e32 v45, 0
	v_or_b32_e32 v45, 4, v45
	v_add_u32_e32 v46, -1, v0
	s_movk_i32 s12, 0x54
	s_mov_b64 s[6:7], 0
.LBB83_183:                             ; =>This Inner Loop Header: Depth=1
	buffer_load_dword v47, v45, s[0:3], 0 offen
	v_mov_b32_e32 v48, s12
	ds_read_b32 v48, v48
	v_add_u32_e32 v46, -1, v46
	s_add_i32 s12, s12, 4
	v_cmp_eq_u32_e32 vcc, 0, v46
	v_add_u32_e32 v45, 4, v45
	s_or_b64 s[6:7], vcc, s[6:7]
	s_waitcnt vmcnt(0) lgkmcnt(0)
	v_fmac_f32_e32 v44, v47, v48
	s_andn2_b64 exec, exec, s[6:7]
	s_cbranch_execnz .LBB83_183
; %bb.184:
	s_or_b64 exec, exec, s[6:7]
.LBB83_185:
	s_or_b64 exec, exec, s[10:11]
	v_mov_b32_e32 v45, 0
	ds_read_b32 v45, v45
	s_waitcnt lgkmcnt(0)
	v_mul_f32_e32 v44, v44, v45
	buffer_store_dword v44, off, s[0:3], 0
.LBB83_186:
	s_or_b64 exec, exec, s[4:5]
	s_mov_b64 s[4:5], 0
.LBB83_187:
	s_and_b64 vcc, exec, s[4:5]
	s_cbranch_vccz .LBB83_371
; %bb.188:
	buffer_load_dword v44, off, s[0:3], 0 offset:4
	v_cmp_eq_u32_e64 s[6:7], 0, v0
	s_waitcnt vmcnt(0)
	ds_write_b32 v42, v44
	s_waitcnt lgkmcnt(0)
	; wave barrier
	s_waitcnt lgkmcnt(0)
	s_and_saveexec_b64 s[4:5], s[6:7]
	s_cbranch_execz .LBB83_194
; %bb.189:
	s_and_b64 vcc, exec, s[8:9]
	s_cbranch_vccz .LBB83_191
; %bb.190:
	buffer_load_dword v44, v43, s[0:3], 0 offen
	ds_read_b32 v45, v42
	s_waitcnt vmcnt(0) lgkmcnt(0)
	v_mul_f32_e32 v44, v44, v45
	s_cbranch_execz .LBB83_192
	s_branch .LBB83_193
.LBB83_191:
                                        ; implicit-def: $vgpr44
.LBB83_192:
	ds_read_b32 v44, v42
.LBB83_193:
	v_mov_b32_e32 v45, 0
	ds_read_b32 v45, v45 offset:4
	s_waitcnt lgkmcnt(0)
	v_mul_f32_e32 v44, v44, v45
	buffer_store_dword v44, off, s[0:3], 0 offset:4
.LBB83_194:
	s_or_b64 exec, exec, s[4:5]
	buffer_load_dword v44, off, s[0:3], 0 offset:8
	v_cndmask_b32_e64 v45, 0, 1, s[8:9]
	v_cmp_gt_u32_e32 vcc, 2, v0
	v_cmp_ne_u32_e64 s[4:5], 1, v45
	s_waitcnt vmcnt(0)
	ds_write_b32 v42, v44
	s_waitcnt lgkmcnt(0)
	; wave barrier
	s_waitcnt lgkmcnt(0)
	s_and_saveexec_b64 s[8:9], vcc
	s_cbranch_execz .LBB83_202
; %bb.195:
	s_and_b64 vcc, exec, s[4:5]
	s_cbranch_vccnz .LBB83_197
; %bb.196:
	buffer_load_dword v44, v43, s[0:3], 0 offen
	ds_read_b32 v45, v42
	s_waitcnt vmcnt(0) lgkmcnt(0)
	v_mul_f32_e32 v44, v44, v45
	s_cbranch_execz .LBB83_198
	s_branch .LBB83_199
.LBB83_197:
                                        ; implicit-def: $vgpr44
.LBB83_198:
	ds_read_b32 v44, v42
.LBB83_199:
	s_and_saveexec_b64 s[10:11], s[6:7]
	s_cbranch_execz .LBB83_201
; %bb.200:
	buffer_load_dword v45, v43, s[0:3], 0 offen offset:4
	ds_read_b32 v46, v42 offset:4
	s_waitcnt vmcnt(0) lgkmcnt(0)
	v_fmac_f32_e32 v44, v45, v46
.LBB83_201:
	s_or_b64 exec, exec, s[10:11]
	v_mov_b32_e32 v45, 0
	ds_read_b32 v45, v45 offset:8
	s_waitcnt lgkmcnt(0)
	v_mul_f32_e32 v44, v44, v45
	buffer_store_dword v44, off, s[0:3], 0 offset:8
.LBB83_202:
	s_or_b64 exec, exec, s[8:9]
	buffer_load_dword v44, off, s[0:3], 0 offset:12
	v_cmp_gt_u32_e32 vcc, 3, v0
	s_waitcnt vmcnt(0)
	ds_write_b32 v42, v44
	s_waitcnt lgkmcnt(0)
	; wave barrier
	s_waitcnt lgkmcnt(0)
	s_and_saveexec_b64 s[8:9], vcc
	s_cbranch_execz .LBB83_210
; %bb.203:
	s_and_b64 vcc, exec, s[4:5]
	s_cbranch_vccnz .LBB83_205
; %bb.204:
	buffer_load_dword v44, v43, s[0:3], 0 offen
	ds_read_b32 v45, v42
	s_waitcnt vmcnt(0) lgkmcnt(0)
	v_mul_f32_e32 v44, v44, v45
	s_cbranch_execz .LBB83_206
	s_branch .LBB83_207
.LBB83_205:
                                        ; implicit-def: $vgpr44
.LBB83_206:
	ds_read_b32 v44, v42
.LBB83_207:
	v_cmp_ne_u32_e32 vcc, 2, v0
	s_and_saveexec_b64 s[10:11], vcc
	s_cbranch_execz .LBB83_209
; %bb.208:
	buffer_load_dword v45, v43, s[0:3], 0 offen offset:4
	buffer_load_dword v46, off, s[0:3], 0 offset:8
	v_mov_b32_e32 v47, 0
	ds_read_b32 v48, v42 offset:4
	ds_read_b32 v47, v47 offset:88
	s_waitcnt vmcnt(1) lgkmcnt(1)
	v_fmac_f32_e32 v44, v45, v48
	s_waitcnt vmcnt(0) lgkmcnt(0)
	v_fma_f32 v45, v46, v47, v44
	v_cndmask_b32_e64 v44, v44, v45, s[6:7]
.LBB83_209:
	s_or_b64 exec, exec, s[10:11]
	v_mov_b32_e32 v45, 0
	ds_read_b32 v45, v45 offset:12
	s_waitcnt lgkmcnt(0)
	v_mul_f32_e32 v44, v44, v45
	buffer_store_dword v44, off, s[0:3], 0 offset:12
.LBB83_210:
	s_or_b64 exec, exec, s[8:9]
	buffer_load_dword v44, off, s[0:3], 0 offset:16
	v_cmp_gt_u32_e32 vcc, 4, v0
	s_waitcnt vmcnt(0)
	ds_write_b32 v42, v44
	s_waitcnt lgkmcnt(0)
	; wave barrier
	s_waitcnt lgkmcnt(0)
	s_and_saveexec_b64 s[6:7], vcc
	s_cbranch_execz .LBB83_220
; %bb.211:
	s_and_b64 vcc, exec, s[4:5]
	s_cbranch_vccnz .LBB83_213
; %bb.212:
	buffer_load_dword v44, v43, s[0:3], 0 offen
	ds_read_b32 v45, v42
	s_waitcnt vmcnt(0) lgkmcnt(0)
	v_mul_f32_e32 v44, v44, v45
	s_cbranch_execz .LBB83_214
	s_branch .LBB83_215
.LBB83_213:
                                        ; implicit-def: $vgpr44
.LBB83_214:
	ds_read_b32 v44, v42
.LBB83_215:
	v_cmp_ne_u32_e32 vcc, 3, v0
	s_and_saveexec_b64 s[8:9], vcc
	s_cbranch_execz .LBB83_219
; %bb.216:
	v_mov_b32_e32 v46, 0
	v_add_u32_e32 v45, 0x54, v1
	v_add3_u32 v46, v1, v46, 4
	s_mov_b64 s[10:11], 0
	v_mov_b32_e32 v47, v0
.LBB83_217:                             ; =>This Inner Loop Header: Depth=1
	buffer_load_dword v48, v46, s[0:3], 0 offen
	ds_read_b32 v49, v45
	v_add_u32_e32 v47, 1, v47
	v_cmp_lt_u32_e32 vcc, 2, v47
	v_add_u32_e32 v45, 4, v45
	v_add_u32_e32 v46, 4, v46
	s_or_b64 s[10:11], vcc, s[10:11]
	s_waitcnt vmcnt(0) lgkmcnt(0)
	v_fmac_f32_e32 v44, v48, v49
	s_andn2_b64 exec, exec, s[10:11]
	s_cbranch_execnz .LBB83_217
; %bb.218:
	s_or_b64 exec, exec, s[10:11]
.LBB83_219:
	s_or_b64 exec, exec, s[8:9]
	v_mov_b32_e32 v45, 0
	ds_read_b32 v45, v45 offset:16
	s_waitcnt lgkmcnt(0)
	v_mul_f32_e32 v44, v44, v45
	buffer_store_dword v44, off, s[0:3], 0 offset:16
.LBB83_220:
	s_or_b64 exec, exec, s[6:7]
	buffer_load_dword v44, off, s[0:3], 0 offset:20
	v_cmp_gt_u32_e32 vcc, 5, v0
	s_waitcnt vmcnt(0)
	ds_write_b32 v42, v44
	s_waitcnt lgkmcnt(0)
	; wave barrier
	s_waitcnt lgkmcnt(0)
	s_and_saveexec_b64 s[6:7], vcc
	s_cbranch_execz .LBB83_230
; %bb.221:
	s_and_b64 vcc, exec, s[4:5]
	s_cbranch_vccnz .LBB83_223
; %bb.222:
	buffer_load_dword v44, v43, s[0:3], 0 offen
	ds_read_b32 v45, v42
	s_waitcnt vmcnt(0) lgkmcnt(0)
	v_mul_f32_e32 v44, v44, v45
	s_cbranch_execz .LBB83_224
	s_branch .LBB83_225
.LBB83_223:
                                        ; implicit-def: $vgpr44
.LBB83_224:
	ds_read_b32 v44, v42
.LBB83_225:
	v_cmp_ne_u32_e32 vcc, 4, v0
	s_and_saveexec_b64 s[8:9], vcc
	s_cbranch_execz .LBB83_229
; %bb.226:
	v_mov_b32_e32 v46, 0
	v_add_u32_e32 v45, 0x54, v1
	v_add3_u32 v46, v1, v46, 4
	s_mov_b64 s[10:11], 0
	v_mov_b32_e32 v47, v0
.LBB83_227:                             ; =>This Inner Loop Header: Depth=1
	buffer_load_dword v48, v46, s[0:3], 0 offen
	ds_read_b32 v49, v45
	v_add_u32_e32 v47, 1, v47
	v_cmp_lt_u32_e32 vcc, 3, v47
	v_add_u32_e32 v45, 4, v45
	v_add_u32_e32 v46, 4, v46
	s_or_b64 s[10:11], vcc, s[10:11]
	s_waitcnt vmcnt(0) lgkmcnt(0)
	v_fmac_f32_e32 v44, v48, v49
	s_andn2_b64 exec, exec, s[10:11]
	s_cbranch_execnz .LBB83_227
; %bb.228:
	s_or_b64 exec, exec, s[10:11]
.LBB83_229:
	s_or_b64 exec, exec, s[8:9]
	v_mov_b32_e32 v45, 0
	ds_read_b32 v45, v45 offset:20
	s_waitcnt lgkmcnt(0)
	v_mul_f32_e32 v44, v44, v45
	buffer_store_dword v44, off, s[0:3], 0 offset:20
.LBB83_230:
	;; [unrolled: 56-line block ×14, first 2 shown]
	s_or_b64 exec, exec, s[6:7]
	buffer_load_dword v44, off, s[0:3], 0 offset:72
	v_cmp_gt_u32_e64 s[6:7], 18, v0
	s_waitcnt vmcnt(0)
	ds_write_b32 v42, v44
	s_waitcnt lgkmcnt(0)
	; wave barrier
	s_waitcnt lgkmcnt(0)
	s_and_saveexec_b64 s[8:9], s[6:7]
	s_cbranch_execz .LBB83_360
; %bb.351:
	s_and_b64 vcc, exec, s[4:5]
	s_cbranch_vccnz .LBB83_353
; %bb.352:
	buffer_load_dword v44, v43, s[0:3], 0 offen
	ds_read_b32 v45, v42
	s_waitcnt vmcnt(0) lgkmcnt(0)
	v_mul_f32_e32 v44, v44, v45
	s_cbranch_execz .LBB83_354
	s_branch .LBB83_355
.LBB83_353:
                                        ; implicit-def: $vgpr44
.LBB83_354:
	ds_read_b32 v44, v42
.LBB83_355:
	v_cmp_ne_u32_e32 vcc, 17, v0
	s_and_saveexec_b64 s[10:11], vcc
	s_cbranch_execz .LBB83_359
; %bb.356:
	v_mov_b32_e32 v46, 0
	v_add_u32_e32 v45, 0x54, v1
	v_add3_u32 v46, v1, v46, 4
	s_mov_b64 s[12:13], 0
	v_mov_b32_e32 v47, v0
.LBB83_357:                             ; =>This Inner Loop Header: Depth=1
	buffer_load_dword v48, v46, s[0:3], 0 offen
	ds_read_b32 v49, v45
	v_add_u32_e32 v47, 1, v47
	v_cmp_lt_u32_e32 vcc, 16, v47
	v_add_u32_e32 v45, 4, v45
	v_add_u32_e32 v46, 4, v46
	s_or_b64 s[12:13], vcc, s[12:13]
	s_waitcnt vmcnt(0) lgkmcnt(0)
	v_fmac_f32_e32 v44, v48, v49
	s_andn2_b64 exec, exec, s[12:13]
	s_cbranch_execnz .LBB83_357
; %bb.358:
	s_or_b64 exec, exec, s[12:13]
.LBB83_359:
	s_or_b64 exec, exec, s[10:11]
	v_mov_b32_e32 v45, 0
	ds_read_b32 v45, v45 offset:72
	s_waitcnt lgkmcnt(0)
	v_mul_f32_e32 v44, v44, v45
	buffer_store_dword v44, off, s[0:3], 0 offset:72
.LBB83_360:
	s_or_b64 exec, exec, s[8:9]
	buffer_load_dword v44, off, s[0:3], 0 offset:76
	v_cmp_ne_u32_e32 vcc, 19, v0
	s_waitcnt vmcnt(0)
	ds_write_b32 v42, v44
	s_waitcnt lgkmcnt(0)
	; wave barrier
	s_waitcnt lgkmcnt(0)
	s_and_saveexec_b64 s[8:9], vcc
	s_cbranch_execz .LBB83_370
; %bb.361:
	s_and_b64 vcc, exec, s[4:5]
	s_cbranch_vccnz .LBB83_363
; %bb.362:
	buffer_load_dword v43, v43, s[0:3], 0 offen
	ds_read_b32 v44, v42
	s_waitcnt vmcnt(0) lgkmcnt(0)
	v_mul_f32_e32 v43, v43, v44
	s_cbranch_execz .LBB83_364
	s_branch .LBB83_365
.LBB83_363:
                                        ; implicit-def: $vgpr43
.LBB83_364:
	ds_read_b32 v43, v42
.LBB83_365:
	s_and_saveexec_b64 s[4:5], s[6:7]
	s_cbranch_execz .LBB83_369
; %bb.366:
	v_mov_b32_e32 v44, 0
	v_add_u32_e32 v42, 0x54, v1
	v_add3_u32 v1, v1, v44, 4
	s_mov_b64 s[6:7], 0
.LBB83_367:                             ; =>This Inner Loop Header: Depth=1
	buffer_load_dword v44, v1, s[0:3], 0 offen
	ds_read_b32 v45, v42
	v_add_u32_e32 v0, 1, v0
	v_cmp_lt_u32_e32 vcc, 17, v0
	v_add_u32_e32 v42, 4, v42
	v_add_u32_e32 v1, 4, v1
	s_or_b64 s[6:7], vcc, s[6:7]
	s_waitcnt vmcnt(0) lgkmcnt(0)
	v_fmac_f32_e32 v43, v44, v45
	s_andn2_b64 exec, exec, s[6:7]
	s_cbranch_execnz .LBB83_367
; %bb.368:
	s_or_b64 exec, exec, s[6:7]
.LBB83_369:
	s_or_b64 exec, exec, s[4:5]
	v_mov_b32_e32 v0, 0
	ds_read_b32 v0, v0 offset:76
	s_waitcnt lgkmcnt(0)
	v_mul_f32_e32 v0, v43, v0
	buffer_store_dword v0, off, s[0:3], 0 offset:76
.LBB83_370:
	s_or_b64 exec, exec, s[8:9]
.LBB83_371:
	buffer_load_dword v0, off, s[0:3], 0
	buffer_load_dword v1, off, s[0:3], 0 offset:4
	buffer_load_dword v42, off, s[0:3], 0 offset:8
	;; [unrolled: 1-line block ×19, first 2 shown]
	s_waitcnt vmcnt(19)
	global_store_dword v[2:3], v0, off
	s_waitcnt vmcnt(19)
	global_store_dword v[4:5], v1, off
	;; [unrolled: 2-line block ×20, first 2 shown]
.LBB83_372:
	s_endpgm
	.section	.rodata,"a",@progbits
	.p2align	6, 0x0
	.amdhsa_kernel _ZN9rocsolver6v33100L18trti2_kernel_smallILi20EfPKPfEEv13rocblas_fill_17rocblas_diagonal_T1_iil
		.amdhsa_group_segment_fixed_size 160
		.amdhsa_private_segment_fixed_size 96
		.amdhsa_kernarg_size 32
		.amdhsa_user_sgpr_count 8
		.amdhsa_user_sgpr_private_segment_buffer 1
		.amdhsa_user_sgpr_dispatch_ptr 0
		.amdhsa_user_sgpr_queue_ptr 0
		.amdhsa_user_sgpr_kernarg_segment_ptr 1
		.amdhsa_user_sgpr_dispatch_id 0
		.amdhsa_user_sgpr_flat_scratch_init 1
		.amdhsa_user_sgpr_kernarg_preload_length 0
		.amdhsa_user_sgpr_kernarg_preload_offset 0
		.amdhsa_user_sgpr_private_segment_size 0
		.amdhsa_uses_dynamic_stack 0
		.amdhsa_system_sgpr_private_segment_wavefront_offset 1
		.amdhsa_system_sgpr_workgroup_id_x 1
		.amdhsa_system_sgpr_workgroup_id_y 0
		.amdhsa_system_sgpr_workgroup_id_z 0
		.amdhsa_system_sgpr_workgroup_info 0
		.amdhsa_system_vgpr_workitem_id 0
		.amdhsa_next_free_vgpr 61
		.amdhsa_next_free_sgpr 16
		.amdhsa_accum_offset 64
		.amdhsa_reserve_vcc 1
		.amdhsa_reserve_flat_scratch 0
		.amdhsa_float_round_mode_32 0
		.amdhsa_float_round_mode_16_64 0
		.amdhsa_float_denorm_mode_32 3
		.amdhsa_float_denorm_mode_16_64 3
		.amdhsa_dx10_clamp 1
		.amdhsa_ieee_mode 1
		.amdhsa_fp16_overflow 0
		.amdhsa_tg_split 0
		.amdhsa_exception_fp_ieee_invalid_op 0
		.amdhsa_exception_fp_denorm_src 0
		.amdhsa_exception_fp_ieee_div_zero 0
		.amdhsa_exception_fp_ieee_overflow 0
		.amdhsa_exception_fp_ieee_underflow 0
		.amdhsa_exception_fp_ieee_inexact 0
		.amdhsa_exception_int_div_zero 0
	.end_amdhsa_kernel
	.section	.text._ZN9rocsolver6v33100L18trti2_kernel_smallILi20EfPKPfEEv13rocblas_fill_17rocblas_diagonal_T1_iil,"axG",@progbits,_ZN9rocsolver6v33100L18trti2_kernel_smallILi20EfPKPfEEv13rocblas_fill_17rocblas_diagonal_T1_iil,comdat
.Lfunc_end83:
	.size	_ZN9rocsolver6v33100L18trti2_kernel_smallILi20EfPKPfEEv13rocblas_fill_17rocblas_diagonal_T1_iil, .Lfunc_end83-_ZN9rocsolver6v33100L18trti2_kernel_smallILi20EfPKPfEEv13rocblas_fill_17rocblas_diagonal_T1_iil
                                        ; -- End function
	.section	.AMDGPU.csdata,"",@progbits
; Kernel info:
; codeLenInByte = 9520
; NumSgprs: 20
; NumVgprs: 61
; NumAgprs: 0
; TotalNumVgprs: 61
; ScratchSize: 96
; MemoryBound: 0
; FloatMode: 240
; IeeeMode: 1
; LDSByteSize: 160 bytes/workgroup (compile time only)
; SGPRBlocks: 2
; VGPRBlocks: 7
; NumSGPRsForWavesPerEU: 20
; NumVGPRsForWavesPerEU: 61
; AccumOffset: 64
; Occupancy: 8
; WaveLimiterHint : 1
; COMPUTE_PGM_RSRC2:SCRATCH_EN: 1
; COMPUTE_PGM_RSRC2:USER_SGPR: 8
; COMPUTE_PGM_RSRC2:TRAP_HANDLER: 0
; COMPUTE_PGM_RSRC2:TGID_X_EN: 1
; COMPUTE_PGM_RSRC2:TGID_Y_EN: 0
; COMPUTE_PGM_RSRC2:TGID_Z_EN: 0
; COMPUTE_PGM_RSRC2:TIDIG_COMP_CNT: 0
; COMPUTE_PGM_RSRC3_GFX90A:ACCUM_OFFSET: 15
; COMPUTE_PGM_RSRC3_GFX90A:TG_SPLIT: 0
	.section	.text._ZN9rocsolver6v33100L18trti2_kernel_smallILi21EfPKPfEEv13rocblas_fill_17rocblas_diagonal_T1_iil,"axG",@progbits,_ZN9rocsolver6v33100L18trti2_kernel_smallILi21EfPKPfEEv13rocblas_fill_17rocblas_diagonal_T1_iil,comdat
	.globl	_ZN9rocsolver6v33100L18trti2_kernel_smallILi21EfPKPfEEv13rocblas_fill_17rocblas_diagonal_T1_iil ; -- Begin function _ZN9rocsolver6v33100L18trti2_kernel_smallILi21EfPKPfEEv13rocblas_fill_17rocblas_diagonal_T1_iil
	.p2align	8
	.type	_ZN9rocsolver6v33100L18trti2_kernel_smallILi21EfPKPfEEv13rocblas_fill_17rocblas_diagonal_T1_iil,@function
_ZN9rocsolver6v33100L18trti2_kernel_smallILi21EfPKPfEEv13rocblas_fill_17rocblas_diagonal_T1_iil: ; @_ZN9rocsolver6v33100L18trti2_kernel_smallILi21EfPKPfEEv13rocblas_fill_17rocblas_diagonal_T1_iil
; %bb.0:
	s_add_u32 s0, s0, s9
	s_addc_u32 s1, s1, 0
	v_cmp_gt_u32_e32 vcc, 21, v0
	s_and_saveexec_b64 s[6:7], vcc
	s_cbranch_execz .LBB84_392
; %bb.1:
	s_load_dwordx2 s[6:7], s[4:5], 0x10
	s_load_dwordx4 s[12:15], s[4:5], 0x0
	s_ashr_i32 s9, s8, 31
	s_lshl_b64 s[4:5], s[8:9], 3
	v_lshlrev_b32_e32 v1, 2, v0
	s_waitcnt lgkmcnt(0)
	s_ashr_i32 s9, s6, 31
	s_add_u32 s4, s14, s4
	s_addc_u32 s5, s15, s5
	s_load_dwordx2 s[4:5], s[4:5], 0x0
	s_mov_b32 s8, s6
	s_lshl_b64 s[8:9], s[8:9], 2
	s_waitcnt lgkmcnt(0)
	s_add_u32 s4, s4, s8
	s_addc_u32 s5, s5, s9
	v_mov_b32_e32 v3, s5
	v_add_co_u32_e32 v2, vcc, s4, v1
	s_ashr_i32 s9, s7, 31
	s_mov_b32 s8, s7
	s_add_i32 s6, s7, s7
	v_addc_co_u32_e32 v3, vcc, 0, v3, vcc
	s_lshl_b64 s[8:9], s[8:9], 2
	v_add_u32_e32 v8, s6, v0
	v_mov_b32_e32 v5, s9
	v_add_co_u32_e32 v4, vcc, s8, v2
	v_ashrrev_i32_e32 v9, 31, v8
	v_addc_co_u32_e32 v5, vcc, v3, v5, vcc
	v_lshlrev_b64 v[6:7], 2, v[8:9]
	v_add_u32_e32 v10, s7, v8
	v_mov_b32_e32 v9, s5
	v_add_co_u32_e32 v6, vcc, s4, v6
	v_ashrrev_i32_e32 v11, 31, v10
	global_load_dword v21, v1, s[4:5]
	v_addc_co_u32_e32 v7, vcc, v9, v7, vcc
	v_lshlrev_b64 v[8:9], 2, v[10:11]
	v_add_u32_e32 v12, s7, v10
	v_mov_b32_e32 v11, s5
	v_add_co_u32_e32 v8, vcc, s4, v8
	v_ashrrev_i32_e32 v13, 31, v12
	v_addc_co_u32_e32 v9, vcc, v11, v9, vcc
	v_lshlrev_b64 v[10:11], 2, v[12:13]
	v_mov_b32_e32 v13, s5
	v_add_co_u32_e32 v10, vcc, s4, v10
	v_addc_co_u32_e32 v11, vcc, v13, v11, vcc
	global_load_dword v23, v[4:5], off
	global_load_dword v25, v[6:7], off
	;; [unrolled: 1-line block ×4, first 2 shown]
	v_add_u32_e32 v12, s7, v12
	v_add_u32_e32 v14, s7, v12
	;; [unrolled: 1-line block ×11, first 2 shown]
	v_ashrrev_i32_e32 v13, 31, v12
	v_add_u32_e32 v36, s7, v34
	v_lshlrev_b64 v[12:13], 2, v[12:13]
	v_add_u32_e32 v38, s7, v36
	v_mov_b32_e32 v16, s5
	v_ashrrev_i32_e32 v15, 31, v14
	v_add_co_u32_e32 v12, vcc, s4, v12
	v_add_u32_e32 v40, s7, v38
	v_addc_co_u32_e32 v13, vcc, v16, v13, vcc
	v_lshlrev_b64 v[14:15], 2, v[14:15]
	v_add_u32_e32 v42, s7, v40
	v_mov_b32_e32 v17, s5
	v_add_co_u32_e32 v14, vcc, s4, v14
	v_add_u32_e32 v16, s7, v42
	v_addc_co_u32_e32 v15, vcc, v17, v15, vcc
	v_ashrrev_i32_e32 v17, 31, v16
	v_lshlrev_b64 v[16:17], 2, v[16:17]
	v_mov_b32_e32 v31, s5
	v_ashrrev_i32_e32 v19, 31, v18
	v_add_co_u32_e32 v16, vcc, s4, v16
	v_addc_co_u32_e32 v17, vcc, v31, v17, vcc
	v_lshlrev_b64 v[18:19], 2, v[18:19]
	v_add_co_u32_e32 v18, vcc, s4, v18
	global_load_dword v44, v[16:17], off
	v_mov_b32_e32 v33, s5
	v_mov_b32_e32 v35, s5
	;; [unrolled: 1-line block ×7, first 2 shown]
	s_cmpk_lg_i32 s13, 0x84
	s_cselect_b64 s[10:11], -1, 0
	s_cmpk_eq_i32 s13, 0x84
	s_waitcnt vmcnt(5)
	buffer_store_dword v21, off, s[0:3], 0
	v_mov_b32_e32 v21, s5
	v_addc_co_u32_e32 v19, vcc, v21, v19, vcc
	v_ashrrev_i32_e32 v21, 31, v20
	v_lshlrev_b64 v[20:21], 2, v[20:21]
	v_add_co_u32_e32 v20, vcc, s4, v20
	v_addc_co_u32_e32 v21, vcc, v31, v21, vcc
	global_load_dword v45, v[12:13], off
	global_load_dword v46, v[14:15], off
	global_load_dword v47, v[18:19], off
	global_load_dword v48, v[20:21], off
	s_waitcnt vmcnt(9)
	buffer_store_dword v23, off, s[0:3], 0 offset:4
	s_waitcnt vmcnt(9)
	buffer_store_dword v25, off, s[0:3], 0 offset:8
	;; [unrolled: 2-line block ×4, first 2 shown]
	v_ashrrev_i32_e32 v23, 31, v22
	v_lshlrev_b64 v[22:23], 2, v[22:23]
	v_mov_b32_e32 v25, s5
	v_add_co_u32_e32 v22, vcc, s4, v22
	v_addc_co_u32_e32 v23, vcc, v25, v23, vcc
	v_ashrrev_i32_e32 v25, 31, v24
	v_lshlrev_b64 v[24:25], 2, v[24:25]
	v_mov_b32_e32 v27, s5
	v_add_co_u32_e32 v24, vcc, s4, v24
	v_addc_co_u32_e32 v25, vcc, v27, v25, vcc
	;; [unrolled: 5-line block ×3, first 2 shown]
	v_ashrrev_i32_e32 v29, 31, v28
	v_lshlrev_b64 v[28:29], 2, v[28:29]
	v_add_co_u32_e32 v28, vcc, s4, v28
	v_addc_co_u32_e32 v29, vcc, v31, v29, vcc
	v_ashrrev_i32_e32 v31, 31, v30
	v_lshlrev_b64 v[30:31], 2, v[30:31]
	v_add_co_u32_e32 v30, vcc, s4, v30
	v_addc_co_u32_e32 v31, vcc, v33, v31, vcc
	;; [unrolled: 4-line block ×7, first 2 shown]
	v_ashrrev_i32_e32 v43, 31, v42
	v_lshlrev_b64 v[42:43], 2, v[42:43]
	v_add_co_u32_e32 v42, vcc, s4, v42
	global_load_dword v49, v[22:23], off
	global_load_dword v50, v[24:25], off
	;; [unrolled: 1-line block ×8, first 2 shown]
	v_addc_co_u32_e32 v43, vcc, v54, v43, vcc
	global_load_dword v58, v[38:39], off
	global_load_dword v59, v[40:41], off
	;; [unrolled: 1-line block ×3, first 2 shown]
	v_mov_b32_e32 v54, 0
	s_waitcnt vmcnt(18)
	buffer_store_dword v45, off, s[0:3], 0 offset:20
	s_waitcnt vmcnt(18)
	buffer_store_dword v46, off, s[0:3], 0 offset:24
	;; [unrolled: 2-line block ×6, first 2 shown]
	buffer_store_dword v50, off, s[0:3], 0 offset:40
	s_waitcnt vmcnt(14)
	buffer_store_dword v52, off, s[0:3], 0 offset:48
	s_waitcnt vmcnt(14)
	;; [unrolled: 2-line block ×8, first 2 shown]
	buffer_store_dword v60, off, s[0:3], 0 offset:76
	buffer_store_dword v44, off, s[0:3], 0 offset:80
	v_mov_b32_e32 v44, -1.0
	s_cbranch_scc1 .LBB84_3
; %bb.2:
	v_lshl_add_u32 v44, v0, 2, v54
	buffer_load_dword v45, v44, s[0:3], 0 offen
	s_waitcnt vmcnt(0)
	v_div_scale_f32 v46, s[4:5], v45, v45, 1.0
	v_rcp_f32_e32 v47, v46
	v_div_scale_f32 v48, vcc, 1.0, v45, 1.0
	v_fma_f32 v49, -v46, v47, 1.0
	v_fmac_f32_e32 v47, v49, v47
	v_mul_f32_e32 v49, v48, v47
	v_fma_f32 v50, -v46, v49, v48
	v_fmac_f32_e32 v49, v50, v47
	v_fma_f32 v46, -v46, v49, v48
	v_div_fmas_f32 v46, v46, v47, v49
	v_div_fixup_f32 v45, v46, v45, 1.0
	buffer_store_dword v45, v44, s[0:3], 0 offen
	v_xor_b32_e32 v44, 0x80000000, v45
.LBB84_3:
	ds_write_b32 v1, v44
	s_cmpk_eq_i32 s12, 0x79
	v_add_u32_e32 v44, 0x60, v1
	v_add_u32_e32 v45, 0, v1
	s_mov_b64 s[4:5], -1
	s_cbranch_scc1 .LBB84_197
; %bb.4:
	buffer_load_dword v46, off, s[0:3], 0 offset:76
	v_cmp_eq_u32_e64 s[4:5], 20, v0
	s_waitcnt vmcnt(0)
	ds_write_b32 v44, v46
	s_waitcnt lgkmcnt(0)
	; wave barrier
	s_waitcnt lgkmcnt(0)
	s_and_saveexec_b64 s[6:7], s[4:5]
	s_cbranch_execz .LBB84_10
; %bb.5:
	s_and_b64 vcc, exec, s[10:11]
	s_cbranch_vccz .LBB84_7
; %bb.6:
	buffer_load_dword v46, v45, s[0:3], 0 offen
	ds_read_b32 v47, v44
	s_waitcnt vmcnt(0) lgkmcnt(0)
	v_mul_f32_e32 v46, v46, v47
	s_cbranch_execz .LBB84_8
	s_branch .LBB84_9
.LBB84_7:
                                        ; implicit-def: $vgpr46
.LBB84_8:
	ds_read_b32 v46, v44
.LBB84_9:
	v_mov_b32_e32 v47, 0
	ds_read_b32 v47, v47 offset:76
	s_waitcnt lgkmcnt(0)
	v_mul_f32_e32 v46, v46, v47
	buffer_store_dword v46, off, s[0:3], 0 offset:76
.LBB84_10:
	s_or_b64 exec, exec, s[6:7]
	buffer_load_dword v55, off, s[0:3], 0 offset:72
	v_or_b32_e32 v46, 8, v54
	v_add_u32_e32 v47, 16, v54
	v_add_u32_e32 v48, 24, v54
	;; [unrolled: 1-line block ×8, first 2 shown]
	v_cmp_lt_u32_e64 s[8:9], 18, v0
	s_waitcnt vmcnt(0)
	ds_write_b32 v44, v55
	s_waitcnt lgkmcnt(0)
	; wave barrier
	s_waitcnt lgkmcnt(0)
	s_and_saveexec_b64 s[6:7], s[8:9]
	s_cbranch_execz .LBB84_16
; %bb.11:
	s_andn2_b64 vcc, exec, s[10:11]
	s_cbranch_vccnz .LBB84_13
; %bb.12:
	buffer_load_dword v55, v45, s[0:3], 0 offen
	ds_read_b32 v56, v44
	s_waitcnt vmcnt(0) lgkmcnt(0)
	v_mul_f32_e32 v55, v55, v56
	s_cbranch_execz .LBB84_14
	s_branch .LBB84_15
.LBB84_13:
                                        ; implicit-def: $vgpr55
.LBB84_14:
	ds_read_b32 v55, v44
.LBB84_15:
	buffer_load_dword v58, off, s[0:3], 0 offset:76
	v_mov_b32_e32 v56, 0
	ds_read2_b32 v[56:57], v56 offset0:18 offset1:43
	s_waitcnt vmcnt(0) lgkmcnt(0)
	v_fma_f32 v57, v58, v57, v55
	v_cndmask_b32_e64 v55, v55, v57, s[4:5]
	v_mul_f32_e32 v55, v55, v56
	buffer_store_dword v55, off, s[0:3], 0 offset:72
.LBB84_16:
	s_or_b64 exec, exec, s[6:7]
	buffer_load_dword v55, off, s[0:3], 0 offset:68
	v_cmp_lt_u32_e64 s[6:7], 17, v0
	s_waitcnt vmcnt(0)
	ds_write_b32 v44, v55
	s_waitcnt lgkmcnt(0)
	; wave barrier
	s_waitcnt lgkmcnt(0)
	s_and_saveexec_b64 s[4:5], s[6:7]
	s_cbranch_execz .LBB84_26
; %bb.17:
	s_andn2_b64 vcc, exec, s[10:11]
	s_cbranch_vccnz .LBB84_19
; %bb.18:
	buffer_load_dword v55, v45, s[0:3], 0 offen
	ds_read_b32 v56, v44
	s_waitcnt vmcnt(0) lgkmcnt(0)
	v_mul_f32_e32 v55, v55, v56
	s_cbranch_execz .LBB84_20
	s_branch .LBB84_21
.LBB84_19:
                                        ; implicit-def: $vgpr55
.LBB84_20:
	ds_read_b32 v55, v44
.LBB84_21:
	s_and_saveexec_b64 s[12:13], s[8:9]
	s_cbranch_execz .LBB84_25
; %bb.22:
	v_subrev_u32_e32 v56, 18, v0
	s_movk_i32 s14, 0xa8
	s_mov_b64 s[8:9], 0
.LBB84_23:                              ; =>This Inner Loop Header: Depth=1
	buffer_load_dword v57, v54, s[0:3], 0 offen
	v_mov_b32_e32 v58, s14
	ds_read_b32 v58, v58
	v_add_u32_e32 v56, -1, v56
	s_add_i32 s14, s14, 4
	v_cmp_eq_u32_e32 vcc, 0, v56
	v_add_u32_e32 v54, 4, v54
	s_or_b64 s[8:9], vcc, s[8:9]
	s_waitcnt vmcnt(0) lgkmcnt(0)
	v_fmac_f32_e32 v55, v57, v58
	s_andn2_b64 exec, exec, s[8:9]
	s_cbranch_execnz .LBB84_23
; %bb.24:
	s_or_b64 exec, exec, s[8:9]
.LBB84_25:
	s_or_b64 exec, exec, s[12:13]
	v_mov_b32_e32 v54, 0
	ds_read_b32 v54, v54 offset:68
	s_waitcnt lgkmcnt(0)
	v_mul_f32_e32 v54, v55, v54
	buffer_store_dword v54, off, s[0:3], 0 offset:68
.LBB84_26:
	s_or_b64 exec, exec, s[4:5]
	buffer_load_dword v54, off, s[0:3], 0 offset:64
	v_cmp_lt_u32_e64 s[4:5], 16, v0
	s_waitcnt vmcnt(0)
	ds_write_b32 v44, v54
	s_waitcnt lgkmcnt(0)
	; wave barrier
	s_waitcnt lgkmcnt(0)
	s_and_saveexec_b64 s[8:9], s[4:5]
	s_cbranch_execz .LBB84_36
; %bb.27:
	s_andn2_b64 vcc, exec, s[10:11]
	s_cbranch_vccnz .LBB84_29
; %bb.28:
	buffer_load_dword v54, v45, s[0:3], 0 offen
	ds_read_b32 v55, v44
	s_waitcnt vmcnt(0) lgkmcnt(0)
	v_mul_f32_e32 v54, v54, v55
	s_cbranch_execz .LBB84_30
	s_branch .LBB84_31
.LBB84_29:
                                        ; implicit-def: $vgpr54
.LBB84_30:
	ds_read_b32 v54, v44
.LBB84_31:
	s_and_saveexec_b64 s[12:13], s[6:7]
	s_cbranch_execz .LBB84_35
; %bb.32:
	v_mov_b32_e32 v55, 0
	v_add_u32_e32 v55, 0x44, v55
	v_subrev_u32_e32 v56, 17, v0
	s_movk_i32 s14, 0xa4
	s_mov_b64 s[6:7], 0
.LBB84_33:                              ; =>This Inner Loop Header: Depth=1
	buffer_load_dword v57, v55, s[0:3], 0 offen
	v_mov_b32_e32 v58, s14
	ds_read_b32 v58, v58
	v_add_u32_e32 v56, -1, v56
	s_add_i32 s14, s14, 4
	v_cmp_eq_u32_e32 vcc, 0, v56
	v_add_u32_e32 v55, 4, v55
	s_or_b64 s[6:7], vcc, s[6:7]
	s_waitcnt vmcnt(0) lgkmcnt(0)
	v_fmac_f32_e32 v54, v57, v58
	s_andn2_b64 exec, exec, s[6:7]
	s_cbranch_execnz .LBB84_33
; %bb.34:
	s_or_b64 exec, exec, s[6:7]
.LBB84_35:
	s_or_b64 exec, exec, s[12:13]
	v_mov_b32_e32 v55, 0
	ds_read_b32 v55, v55 offset:64
	s_waitcnt lgkmcnt(0)
	v_mul_f32_e32 v54, v54, v55
	buffer_store_dword v54, off, s[0:3], 0 offset:64
.LBB84_36:
	s_or_b64 exec, exec, s[8:9]
	buffer_load_dword v54, off, s[0:3], 0 offset:60
	v_cmp_lt_u32_e64 s[6:7], 15, v0
	s_waitcnt vmcnt(0)
	ds_write_b32 v44, v54
	s_waitcnt lgkmcnt(0)
	; wave barrier
	s_waitcnt lgkmcnt(0)
	s_and_saveexec_b64 s[8:9], s[6:7]
	s_cbranch_execz .LBB84_46
; %bb.37:
	s_andn2_b64 vcc, exec, s[10:11]
	s_cbranch_vccnz .LBB84_39
; %bb.38:
	buffer_load_dword v54, v45, s[0:3], 0 offen
	ds_read_b32 v55, v44
	s_waitcnt vmcnt(0) lgkmcnt(0)
	v_mul_f32_e32 v54, v54, v55
	s_cbranch_execz .LBB84_40
	s_branch .LBB84_41
.LBB84_39:
                                        ; implicit-def: $vgpr54
.LBB84_40:
	ds_read_b32 v54, v44
.LBB84_41:
	s_and_saveexec_b64 s[12:13], s[4:5]
	s_cbranch_execz .LBB84_45
; %bb.42:
	v_add_u32_e32 v55, -16, v0
	s_movk_i32 s14, 0xa0
	s_mov_b64 s[4:5], 0
.LBB84_43:                              ; =>This Inner Loop Header: Depth=1
	buffer_load_dword v56, v53, s[0:3], 0 offen
	v_mov_b32_e32 v57, s14
	ds_read_b32 v57, v57
	v_add_u32_e32 v55, -1, v55
	s_add_i32 s14, s14, 4
	v_cmp_eq_u32_e32 vcc, 0, v55
	v_add_u32_e32 v53, 4, v53
	s_or_b64 s[4:5], vcc, s[4:5]
	s_waitcnt vmcnt(0) lgkmcnt(0)
	v_fmac_f32_e32 v54, v56, v57
	s_andn2_b64 exec, exec, s[4:5]
	s_cbranch_execnz .LBB84_43
; %bb.44:
	s_or_b64 exec, exec, s[4:5]
.LBB84_45:
	s_or_b64 exec, exec, s[12:13]
	v_mov_b32_e32 v53, 0
	ds_read_b32 v53, v53 offset:60
	s_waitcnt lgkmcnt(0)
	v_mul_f32_e32 v53, v54, v53
	buffer_store_dword v53, off, s[0:3], 0 offset:60
.LBB84_46:
	s_or_b64 exec, exec, s[8:9]
	buffer_load_dword v53, off, s[0:3], 0 offset:56
	v_cmp_lt_u32_e64 s[4:5], 14, v0
	s_waitcnt vmcnt(0)
	ds_write_b32 v44, v53
	s_waitcnt lgkmcnt(0)
	; wave barrier
	s_waitcnt lgkmcnt(0)
	s_and_saveexec_b64 s[8:9], s[4:5]
	s_cbranch_execz .LBB84_56
; %bb.47:
	s_andn2_b64 vcc, exec, s[10:11]
	s_cbranch_vccnz .LBB84_49
; %bb.48:
	buffer_load_dword v53, v45, s[0:3], 0 offen
	ds_read_b32 v54, v44
	s_waitcnt vmcnt(0) lgkmcnt(0)
	v_mul_f32_e32 v53, v53, v54
	s_cbranch_execz .LBB84_50
	s_branch .LBB84_51
.LBB84_49:
                                        ; implicit-def: $vgpr53
.LBB84_50:
	ds_read_b32 v53, v44
.LBB84_51:
	s_and_saveexec_b64 s[12:13], s[6:7]
	s_cbranch_execz .LBB84_55
; %bb.52:
	v_mov_b32_e32 v54, 0
	v_add_u32_e32 v54, 60, v54
	v_add_u32_e32 v55, -15, v0
	s_movk_i32 s14, 0x9c
	s_mov_b64 s[6:7], 0
.LBB84_53:                              ; =>This Inner Loop Header: Depth=1
	buffer_load_dword v56, v54, s[0:3], 0 offen
	v_mov_b32_e32 v57, s14
	ds_read_b32 v57, v57
	v_add_u32_e32 v55, -1, v55
	s_add_i32 s14, s14, 4
	v_cmp_eq_u32_e32 vcc, 0, v55
	v_add_u32_e32 v54, 4, v54
	s_or_b64 s[6:7], vcc, s[6:7]
	s_waitcnt vmcnt(0) lgkmcnt(0)
	v_fmac_f32_e32 v53, v56, v57
	s_andn2_b64 exec, exec, s[6:7]
	s_cbranch_execnz .LBB84_53
; %bb.54:
	s_or_b64 exec, exec, s[6:7]
.LBB84_55:
	s_or_b64 exec, exec, s[12:13]
	v_mov_b32_e32 v54, 0
	ds_read_b32 v54, v54 offset:56
	s_waitcnt lgkmcnt(0)
	v_mul_f32_e32 v53, v53, v54
	buffer_store_dword v53, off, s[0:3], 0 offset:56
.LBB84_56:
	s_or_b64 exec, exec, s[8:9]
	buffer_load_dword v53, off, s[0:3], 0 offset:52
	v_cmp_lt_u32_e64 s[6:7], 13, v0
	s_waitcnt vmcnt(0)
	ds_write_b32 v44, v53
	s_waitcnt lgkmcnt(0)
	; wave barrier
	s_waitcnt lgkmcnt(0)
	s_and_saveexec_b64 s[8:9], s[6:7]
	s_cbranch_execz .LBB84_66
; %bb.57:
	s_andn2_b64 vcc, exec, s[10:11]
	s_cbranch_vccnz .LBB84_59
; %bb.58:
	buffer_load_dword v53, v45, s[0:3], 0 offen
	ds_read_b32 v54, v44
	s_waitcnt vmcnt(0) lgkmcnt(0)
	v_mul_f32_e32 v53, v53, v54
	s_cbranch_execz .LBB84_60
	s_branch .LBB84_61
.LBB84_59:
                                        ; implicit-def: $vgpr53
.LBB84_60:
	ds_read_b32 v53, v44
.LBB84_61:
	s_and_saveexec_b64 s[12:13], s[4:5]
	s_cbranch_execz .LBB84_65
; %bb.62:
	v_add_u32_e32 v54, -14, v0
	s_movk_i32 s14, 0x98
	s_mov_b64 s[4:5], 0
.LBB84_63:                              ; =>This Inner Loop Header: Depth=1
	buffer_load_dword v55, v52, s[0:3], 0 offen
	v_mov_b32_e32 v56, s14
	ds_read_b32 v56, v56
	v_add_u32_e32 v54, -1, v54
	s_add_i32 s14, s14, 4
	v_cmp_eq_u32_e32 vcc, 0, v54
	v_add_u32_e32 v52, 4, v52
	s_or_b64 s[4:5], vcc, s[4:5]
	s_waitcnt vmcnt(0) lgkmcnt(0)
	v_fmac_f32_e32 v53, v55, v56
	s_andn2_b64 exec, exec, s[4:5]
	s_cbranch_execnz .LBB84_63
; %bb.64:
	s_or_b64 exec, exec, s[4:5]
.LBB84_65:
	s_or_b64 exec, exec, s[12:13]
	v_mov_b32_e32 v52, 0
	ds_read_b32 v52, v52 offset:52
	s_waitcnt lgkmcnt(0)
	v_mul_f32_e32 v52, v53, v52
	buffer_store_dword v52, off, s[0:3], 0 offset:52
.LBB84_66:
	s_or_b64 exec, exec, s[8:9]
	buffer_load_dword v52, off, s[0:3], 0 offset:48
	v_cmp_lt_u32_e64 s[4:5], 12, v0
	s_waitcnt vmcnt(0)
	ds_write_b32 v44, v52
	s_waitcnt lgkmcnt(0)
	; wave barrier
	s_waitcnt lgkmcnt(0)
	s_and_saveexec_b64 s[8:9], s[4:5]
	s_cbranch_execz .LBB84_76
; %bb.67:
	s_andn2_b64 vcc, exec, s[10:11]
	s_cbranch_vccnz .LBB84_69
; %bb.68:
	buffer_load_dword v52, v45, s[0:3], 0 offen
	ds_read_b32 v53, v44
	s_waitcnt vmcnt(0) lgkmcnt(0)
	v_mul_f32_e32 v52, v52, v53
	s_cbranch_execz .LBB84_70
	s_branch .LBB84_71
.LBB84_69:
                                        ; implicit-def: $vgpr52
.LBB84_70:
	ds_read_b32 v52, v44
.LBB84_71:
	s_and_saveexec_b64 s[12:13], s[6:7]
	s_cbranch_execz .LBB84_75
; %bb.72:
	v_mov_b32_e32 v53, 0
	v_add_u32_e32 v53, 52, v53
	v_add_u32_e32 v54, -13, v0
	s_movk_i32 s14, 0x94
	s_mov_b64 s[6:7], 0
.LBB84_73:                              ; =>This Inner Loop Header: Depth=1
	buffer_load_dword v55, v53, s[0:3], 0 offen
	v_mov_b32_e32 v56, s14
	ds_read_b32 v56, v56
	v_add_u32_e32 v54, -1, v54
	s_add_i32 s14, s14, 4
	v_cmp_eq_u32_e32 vcc, 0, v54
	v_add_u32_e32 v53, 4, v53
	s_or_b64 s[6:7], vcc, s[6:7]
	s_waitcnt vmcnt(0) lgkmcnt(0)
	v_fmac_f32_e32 v52, v55, v56
	s_andn2_b64 exec, exec, s[6:7]
	s_cbranch_execnz .LBB84_73
; %bb.74:
	s_or_b64 exec, exec, s[6:7]
.LBB84_75:
	s_or_b64 exec, exec, s[12:13]
	v_mov_b32_e32 v53, 0
	ds_read_b32 v53, v53 offset:48
	s_waitcnt lgkmcnt(0)
	v_mul_f32_e32 v52, v52, v53
	buffer_store_dword v52, off, s[0:3], 0 offset:48
.LBB84_76:
	s_or_b64 exec, exec, s[8:9]
	buffer_load_dword v52, off, s[0:3], 0 offset:44
	v_cmp_lt_u32_e64 s[6:7], 11, v0
	s_waitcnt vmcnt(0)
	ds_write_b32 v44, v52
	s_waitcnt lgkmcnt(0)
	; wave barrier
	s_waitcnt lgkmcnt(0)
	s_and_saveexec_b64 s[8:9], s[6:7]
	s_cbranch_execz .LBB84_86
; %bb.77:
	s_andn2_b64 vcc, exec, s[10:11]
	s_cbranch_vccnz .LBB84_79
; %bb.78:
	buffer_load_dword v52, v45, s[0:3], 0 offen
	ds_read_b32 v53, v44
	s_waitcnt vmcnt(0) lgkmcnt(0)
	v_mul_f32_e32 v52, v52, v53
	s_cbranch_execz .LBB84_80
	s_branch .LBB84_81
.LBB84_79:
                                        ; implicit-def: $vgpr52
.LBB84_80:
	ds_read_b32 v52, v44
.LBB84_81:
	s_and_saveexec_b64 s[12:13], s[4:5]
	s_cbranch_execz .LBB84_85
; %bb.82:
	v_add_u32_e32 v53, -12, v0
	s_movk_i32 s14, 0x90
	s_mov_b64 s[4:5], 0
.LBB84_83:                              ; =>This Inner Loop Header: Depth=1
	buffer_load_dword v54, v51, s[0:3], 0 offen
	v_mov_b32_e32 v55, s14
	ds_read_b32 v55, v55
	v_add_u32_e32 v53, -1, v53
	s_add_i32 s14, s14, 4
	v_cmp_eq_u32_e32 vcc, 0, v53
	v_add_u32_e32 v51, 4, v51
	s_or_b64 s[4:5], vcc, s[4:5]
	s_waitcnt vmcnt(0) lgkmcnt(0)
	v_fmac_f32_e32 v52, v54, v55
	s_andn2_b64 exec, exec, s[4:5]
	s_cbranch_execnz .LBB84_83
; %bb.84:
	s_or_b64 exec, exec, s[4:5]
.LBB84_85:
	s_or_b64 exec, exec, s[12:13]
	v_mov_b32_e32 v51, 0
	ds_read_b32 v51, v51 offset:44
	s_waitcnt lgkmcnt(0)
	v_mul_f32_e32 v51, v52, v51
	buffer_store_dword v51, off, s[0:3], 0 offset:44
.LBB84_86:
	s_or_b64 exec, exec, s[8:9]
	buffer_load_dword v51, off, s[0:3], 0 offset:40
	v_cmp_lt_u32_e64 s[4:5], 10, v0
	s_waitcnt vmcnt(0)
	ds_write_b32 v44, v51
	s_waitcnt lgkmcnt(0)
	; wave barrier
	s_waitcnt lgkmcnt(0)
	s_and_saveexec_b64 s[8:9], s[4:5]
	s_cbranch_execz .LBB84_96
; %bb.87:
	s_andn2_b64 vcc, exec, s[10:11]
	s_cbranch_vccnz .LBB84_89
; %bb.88:
	buffer_load_dword v51, v45, s[0:3], 0 offen
	ds_read_b32 v52, v44
	s_waitcnt vmcnt(0) lgkmcnt(0)
	v_mul_f32_e32 v51, v51, v52
	s_cbranch_execz .LBB84_90
	s_branch .LBB84_91
.LBB84_89:
                                        ; implicit-def: $vgpr51
.LBB84_90:
	ds_read_b32 v51, v44
.LBB84_91:
	s_and_saveexec_b64 s[12:13], s[6:7]
	s_cbranch_execz .LBB84_95
; %bb.92:
	v_mov_b32_e32 v52, 0
	v_add_u32_e32 v52, 44, v52
	v_add_u32_e32 v53, -11, v0
	s_movk_i32 s14, 0x8c
	s_mov_b64 s[6:7], 0
.LBB84_93:                              ; =>This Inner Loop Header: Depth=1
	buffer_load_dword v54, v52, s[0:3], 0 offen
	v_mov_b32_e32 v55, s14
	ds_read_b32 v55, v55
	v_add_u32_e32 v53, -1, v53
	s_add_i32 s14, s14, 4
	v_cmp_eq_u32_e32 vcc, 0, v53
	v_add_u32_e32 v52, 4, v52
	s_or_b64 s[6:7], vcc, s[6:7]
	s_waitcnt vmcnt(0) lgkmcnt(0)
	v_fmac_f32_e32 v51, v54, v55
	s_andn2_b64 exec, exec, s[6:7]
	s_cbranch_execnz .LBB84_93
; %bb.94:
	s_or_b64 exec, exec, s[6:7]
.LBB84_95:
	s_or_b64 exec, exec, s[12:13]
	v_mov_b32_e32 v52, 0
	ds_read_b32 v52, v52 offset:40
	s_waitcnt lgkmcnt(0)
	v_mul_f32_e32 v51, v51, v52
	buffer_store_dword v51, off, s[0:3], 0 offset:40
.LBB84_96:
	s_or_b64 exec, exec, s[8:9]
	buffer_load_dword v51, off, s[0:3], 0 offset:36
	v_cmp_lt_u32_e64 s[6:7], 9, v0
	s_waitcnt vmcnt(0)
	ds_write_b32 v44, v51
	s_waitcnt lgkmcnt(0)
	; wave barrier
	s_waitcnt lgkmcnt(0)
	s_and_saveexec_b64 s[8:9], s[6:7]
	s_cbranch_execz .LBB84_106
; %bb.97:
	s_andn2_b64 vcc, exec, s[10:11]
	s_cbranch_vccnz .LBB84_99
; %bb.98:
	buffer_load_dword v51, v45, s[0:3], 0 offen
	ds_read_b32 v52, v44
	s_waitcnt vmcnt(0) lgkmcnt(0)
	v_mul_f32_e32 v51, v51, v52
	s_cbranch_execz .LBB84_100
	s_branch .LBB84_101
.LBB84_99:
                                        ; implicit-def: $vgpr51
.LBB84_100:
	ds_read_b32 v51, v44
.LBB84_101:
	s_and_saveexec_b64 s[12:13], s[4:5]
	s_cbranch_execz .LBB84_105
; %bb.102:
	v_add_u32_e32 v52, -10, v0
	s_movk_i32 s14, 0x88
	s_mov_b64 s[4:5], 0
.LBB84_103:                             ; =>This Inner Loop Header: Depth=1
	buffer_load_dword v53, v50, s[0:3], 0 offen
	v_mov_b32_e32 v54, s14
	ds_read_b32 v54, v54
	v_add_u32_e32 v52, -1, v52
	s_add_i32 s14, s14, 4
	v_cmp_eq_u32_e32 vcc, 0, v52
	v_add_u32_e32 v50, 4, v50
	s_or_b64 s[4:5], vcc, s[4:5]
	s_waitcnt vmcnt(0) lgkmcnt(0)
	v_fmac_f32_e32 v51, v53, v54
	s_andn2_b64 exec, exec, s[4:5]
	s_cbranch_execnz .LBB84_103
; %bb.104:
	s_or_b64 exec, exec, s[4:5]
.LBB84_105:
	s_or_b64 exec, exec, s[12:13]
	v_mov_b32_e32 v50, 0
	ds_read_b32 v50, v50 offset:36
	s_waitcnt lgkmcnt(0)
	v_mul_f32_e32 v50, v51, v50
	buffer_store_dword v50, off, s[0:3], 0 offset:36
.LBB84_106:
	s_or_b64 exec, exec, s[8:9]
	buffer_load_dword v50, off, s[0:3], 0 offset:32
	v_cmp_lt_u32_e64 s[4:5], 8, v0
	s_waitcnt vmcnt(0)
	ds_write_b32 v44, v50
	s_waitcnt lgkmcnt(0)
	; wave barrier
	s_waitcnt lgkmcnt(0)
	s_and_saveexec_b64 s[8:9], s[4:5]
	s_cbranch_execz .LBB84_116
; %bb.107:
	s_andn2_b64 vcc, exec, s[10:11]
	s_cbranch_vccnz .LBB84_109
; %bb.108:
	buffer_load_dword v50, v45, s[0:3], 0 offen
	ds_read_b32 v51, v44
	s_waitcnt vmcnt(0) lgkmcnt(0)
	v_mul_f32_e32 v50, v50, v51
	s_cbranch_execz .LBB84_110
	s_branch .LBB84_111
.LBB84_109:
                                        ; implicit-def: $vgpr50
.LBB84_110:
	ds_read_b32 v50, v44
.LBB84_111:
	s_and_saveexec_b64 s[12:13], s[6:7]
	s_cbranch_execz .LBB84_115
; %bb.112:
	v_mov_b32_e32 v51, 0
	v_add_u32_e32 v51, 36, v51
	v_add_u32_e32 v52, -9, v0
	s_movk_i32 s14, 0x84
	s_mov_b64 s[6:7], 0
.LBB84_113:                             ; =>This Inner Loop Header: Depth=1
	buffer_load_dword v53, v51, s[0:3], 0 offen
	v_mov_b32_e32 v54, s14
	ds_read_b32 v54, v54
	v_add_u32_e32 v52, -1, v52
	s_add_i32 s14, s14, 4
	v_cmp_eq_u32_e32 vcc, 0, v52
	v_add_u32_e32 v51, 4, v51
	s_or_b64 s[6:7], vcc, s[6:7]
	s_waitcnt vmcnt(0) lgkmcnt(0)
	v_fmac_f32_e32 v50, v53, v54
	s_andn2_b64 exec, exec, s[6:7]
	s_cbranch_execnz .LBB84_113
; %bb.114:
	s_or_b64 exec, exec, s[6:7]
.LBB84_115:
	s_or_b64 exec, exec, s[12:13]
	v_mov_b32_e32 v51, 0
	ds_read_b32 v51, v51 offset:32
	s_waitcnt lgkmcnt(0)
	v_mul_f32_e32 v50, v50, v51
	buffer_store_dword v50, off, s[0:3], 0 offset:32
.LBB84_116:
	s_or_b64 exec, exec, s[8:9]
	buffer_load_dword v50, off, s[0:3], 0 offset:28
	v_cmp_lt_u32_e64 s[6:7], 7, v0
	s_waitcnt vmcnt(0)
	ds_write_b32 v44, v50
	s_waitcnt lgkmcnt(0)
	; wave barrier
	s_waitcnt lgkmcnt(0)
	s_and_saveexec_b64 s[8:9], s[6:7]
	s_cbranch_execz .LBB84_126
; %bb.117:
	s_andn2_b64 vcc, exec, s[10:11]
	s_cbranch_vccnz .LBB84_119
; %bb.118:
	buffer_load_dword v50, v45, s[0:3], 0 offen
	ds_read_b32 v51, v44
	s_waitcnt vmcnt(0) lgkmcnt(0)
	v_mul_f32_e32 v50, v50, v51
	s_cbranch_execz .LBB84_120
	s_branch .LBB84_121
.LBB84_119:
                                        ; implicit-def: $vgpr50
.LBB84_120:
	ds_read_b32 v50, v44
.LBB84_121:
	s_and_saveexec_b64 s[12:13], s[4:5]
	s_cbranch_execz .LBB84_125
; %bb.122:
	v_add_u32_e32 v51, -8, v0
	s_movk_i32 s14, 0x80
	s_mov_b64 s[4:5], 0
.LBB84_123:                             ; =>This Inner Loop Header: Depth=1
	buffer_load_dword v52, v49, s[0:3], 0 offen
	v_mov_b32_e32 v53, s14
	ds_read_b32 v53, v53
	v_add_u32_e32 v51, -1, v51
	s_add_i32 s14, s14, 4
	v_cmp_eq_u32_e32 vcc, 0, v51
	v_add_u32_e32 v49, 4, v49
	s_or_b64 s[4:5], vcc, s[4:5]
	s_waitcnt vmcnt(0) lgkmcnt(0)
	v_fmac_f32_e32 v50, v52, v53
	s_andn2_b64 exec, exec, s[4:5]
	s_cbranch_execnz .LBB84_123
; %bb.124:
	s_or_b64 exec, exec, s[4:5]
.LBB84_125:
	s_or_b64 exec, exec, s[12:13]
	v_mov_b32_e32 v49, 0
	ds_read_b32 v49, v49 offset:28
	s_waitcnt lgkmcnt(0)
	v_mul_f32_e32 v49, v50, v49
	buffer_store_dword v49, off, s[0:3], 0 offset:28
.LBB84_126:
	s_or_b64 exec, exec, s[8:9]
	buffer_load_dword v49, off, s[0:3], 0 offset:24
	v_cmp_lt_u32_e64 s[4:5], 6, v0
	s_waitcnt vmcnt(0)
	ds_write_b32 v44, v49
	s_waitcnt lgkmcnt(0)
	; wave barrier
	s_waitcnt lgkmcnt(0)
	s_and_saveexec_b64 s[8:9], s[4:5]
	s_cbranch_execz .LBB84_136
; %bb.127:
	s_andn2_b64 vcc, exec, s[10:11]
	s_cbranch_vccnz .LBB84_129
; %bb.128:
	buffer_load_dword v49, v45, s[0:3], 0 offen
	ds_read_b32 v50, v44
	s_waitcnt vmcnt(0) lgkmcnt(0)
	v_mul_f32_e32 v49, v49, v50
	s_cbranch_execz .LBB84_130
	s_branch .LBB84_131
.LBB84_129:
                                        ; implicit-def: $vgpr49
.LBB84_130:
	ds_read_b32 v49, v44
.LBB84_131:
	s_and_saveexec_b64 s[12:13], s[6:7]
	s_cbranch_execz .LBB84_135
; %bb.132:
	v_mov_b32_e32 v50, 0
	v_add_u32_e32 v50, 28, v50
	v_add_u32_e32 v51, -7, v0
	s_movk_i32 s14, 0x7c
	s_mov_b64 s[6:7], 0
.LBB84_133:                             ; =>This Inner Loop Header: Depth=1
	buffer_load_dword v52, v50, s[0:3], 0 offen
	v_mov_b32_e32 v53, s14
	ds_read_b32 v53, v53
	v_add_u32_e32 v51, -1, v51
	s_add_i32 s14, s14, 4
	v_cmp_eq_u32_e32 vcc, 0, v51
	v_add_u32_e32 v50, 4, v50
	s_or_b64 s[6:7], vcc, s[6:7]
	s_waitcnt vmcnt(0) lgkmcnt(0)
	v_fmac_f32_e32 v49, v52, v53
	s_andn2_b64 exec, exec, s[6:7]
	s_cbranch_execnz .LBB84_133
; %bb.134:
	s_or_b64 exec, exec, s[6:7]
.LBB84_135:
	s_or_b64 exec, exec, s[12:13]
	v_mov_b32_e32 v50, 0
	ds_read_b32 v50, v50 offset:24
	s_waitcnt lgkmcnt(0)
	v_mul_f32_e32 v49, v49, v50
	buffer_store_dword v49, off, s[0:3], 0 offset:24
.LBB84_136:
	s_or_b64 exec, exec, s[8:9]
	buffer_load_dword v49, off, s[0:3], 0 offset:20
	v_cmp_lt_u32_e64 s[6:7], 5, v0
	s_waitcnt vmcnt(0)
	ds_write_b32 v44, v49
	s_waitcnt lgkmcnt(0)
	; wave barrier
	s_waitcnt lgkmcnt(0)
	s_and_saveexec_b64 s[8:9], s[6:7]
	s_cbranch_execz .LBB84_146
; %bb.137:
	s_andn2_b64 vcc, exec, s[10:11]
	s_cbranch_vccnz .LBB84_139
; %bb.138:
	buffer_load_dword v49, v45, s[0:3], 0 offen
	ds_read_b32 v50, v44
	s_waitcnt vmcnt(0) lgkmcnt(0)
	v_mul_f32_e32 v49, v49, v50
	s_cbranch_execz .LBB84_140
	s_branch .LBB84_141
.LBB84_139:
                                        ; implicit-def: $vgpr49
.LBB84_140:
	ds_read_b32 v49, v44
.LBB84_141:
	s_and_saveexec_b64 s[12:13], s[4:5]
	s_cbranch_execz .LBB84_145
; %bb.142:
	v_add_u32_e32 v50, -6, v0
	s_movk_i32 s14, 0x78
	s_mov_b64 s[4:5], 0
.LBB84_143:                             ; =>This Inner Loop Header: Depth=1
	buffer_load_dword v51, v48, s[0:3], 0 offen
	v_mov_b32_e32 v52, s14
	ds_read_b32 v52, v52
	v_add_u32_e32 v50, -1, v50
	s_add_i32 s14, s14, 4
	v_cmp_eq_u32_e32 vcc, 0, v50
	v_add_u32_e32 v48, 4, v48
	s_or_b64 s[4:5], vcc, s[4:5]
	s_waitcnt vmcnt(0) lgkmcnt(0)
	v_fmac_f32_e32 v49, v51, v52
	s_andn2_b64 exec, exec, s[4:5]
	s_cbranch_execnz .LBB84_143
; %bb.144:
	s_or_b64 exec, exec, s[4:5]
.LBB84_145:
	s_or_b64 exec, exec, s[12:13]
	v_mov_b32_e32 v48, 0
	ds_read_b32 v48, v48 offset:20
	s_waitcnt lgkmcnt(0)
	v_mul_f32_e32 v48, v49, v48
	buffer_store_dword v48, off, s[0:3], 0 offset:20
.LBB84_146:
	s_or_b64 exec, exec, s[8:9]
	buffer_load_dword v48, off, s[0:3], 0 offset:16
	v_cmp_lt_u32_e64 s[4:5], 4, v0
	s_waitcnt vmcnt(0)
	ds_write_b32 v44, v48
	s_waitcnt lgkmcnt(0)
	; wave barrier
	s_waitcnt lgkmcnt(0)
	s_and_saveexec_b64 s[8:9], s[4:5]
	s_cbranch_execz .LBB84_156
; %bb.147:
	s_andn2_b64 vcc, exec, s[10:11]
	s_cbranch_vccnz .LBB84_149
; %bb.148:
	buffer_load_dword v48, v45, s[0:3], 0 offen
	ds_read_b32 v49, v44
	s_waitcnt vmcnt(0) lgkmcnt(0)
	v_mul_f32_e32 v48, v48, v49
	s_cbranch_execz .LBB84_150
	s_branch .LBB84_151
.LBB84_149:
                                        ; implicit-def: $vgpr48
.LBB84_150:
	ds_read_b32 v48, v44
.LBB84_151:
	s_and_saveexec_b64 s[12:13], s[6:7]
	s_cbranch_execz .LBB84_155
; %bb.152:
	v_mov_b32_e32 v49, 0
	v_add_u32_e32 v49, 20, v49
	v_add_u32_e32 v50, -5, v0
	s_movk_i32 s14, 0x74
	s_mov_b64 s[6:7], 0
.LBB84_153:                             ; =>This Inner Loop Header: Depth=1
	buffer_load_dword v51, v49, s[0:3], 0 offen
	v_mov_b32_e32 v52, s14
	ds_read_b32 v52, v52
	v_add_u32_e32 v50, -1, v50
	s_add_i32 s14, s14, 4
	v_cmp_eq_u32_e32 vcc, 0, v50
	v_add_u32_e32 v49, 4, v49
	s_or_b64 s[6:7], vcc, s[6:7]
	s_waitcnt vmcnt(0) lgkmcnt(0)
	v_fmac_f32_e32 v48, v51, v52
	s_andn2_b64 exec, exec, s[6:7]
	s_cbranch_execnz .LBB84_153
; %bb.154:
	s_or_b64 exec, exec, s[6:7]
.LBB84_155:
	s_or_b64 exec, exec, s[12:13]
	v_mov_b32_e32 v49, 0
	ds_read_b32 v49, v49 offset:16
	s_waitcnt lgkmcnt(0)
	v_mul_f32_e32 v48, v48, v49
	buffer_store_dword v48, off, s[0:3], 0 offset:16
.LBB84_156:
	s_or_b64 exec, exec, s[8:9]
	buffer_load_dword v48, off, s[0:3], 0 offset:12
	v_cmp_lt_u32_e64 s[6:7], 3, v0
	s_waitcnt vmcnt(0)
	ds_write_b32 v44, v48
	s_waitcnt lgkmcnt(0)
	; wave barrier
	s_waitcnt lgkmcnt(0)
	s_and_saveexec_b64 s[8:9], s[6:7]
	s_cbranch_execz .LBB84_166
; %bb.157:
	s_andn2_b64 vcc, exec, s[10:11]
	s_cbranch_vccnz .LBB84_159
; %bb.158:
	buffer_load_dword v48, v45, s[0:3], 0 offen
	ds_read_b32 v49, v44
	s_waitcnt vmcnt(0) lgkmcnt(0)
	v_mul_f32_e32 v48, v48, v49
	s_cbranch_execz .LBB84_160
	s_branch .LBB84_161
.LBB84_159:
                                        ; implicit-def: $vgpr48
.LBB84_160:
	ds_read_b32 v48, v44
.LBB84_161:
	s_and_saveexec_b64 s[12:13], s[4:5]
	s_cbranch_execz .LBB84_165
; %bb.162:
	v_add_u32_e32 v49, -4, v0
	s_movk_i32 s14, 0x70
	s_mov_b64 s[4:5], 0
.LBB84_163:                             ; =>This Inner Loop Header: Depth=1
	buffer_load_dword v50, v47, s[0:3], 0 offen
	v_mov_b32_e32 v51, s14
	ds_read_b32 v51, v51
	v_add_u32_e32 v49, -1, v49
	s_add_i32 s14, s14, 4
	v_cmp_eq_u32_e32 vcc, 0, v49
	v_add_u32_e32 v47, 4, v47
	s_or_b64 s[4:5], vcc, s[4:5]
	s_waitcnt vmcnt(0) lgkmcnt(0)
	v_fmac_f32_e32 v48, v50, v51
	s_andn2_b64 exec, exec, s[4:5]
	s_cbranch_execnz .LBB84_163
; %bb.164:
	s_or_b64 exec, exec, s[4:5]
.LBB84_165:
	s_or_b64 exec, exec, s[12:13]
	v_mov_b32_e32 v47, 0
	ds_read_b32 v47, v47 offset:12
	s_waitcnt lgkmcnt(0)
	v_mul_f32_e32 v47, v48, v47
	buffer_store_dword v47, off, s[0:3], 0 offset:12
.LBB84_166:
	s_or_b64 exec, exec, s[8:9]
	buffer_load_dword v47, off, s[0:3], 0 offset:8
	v_cmp_lt_u32_e64 s[4:5], 2, v0
	s_waitcnt vmcnt(0)
	ds_write_b32 v44, v47
	s_waitcnt lgkmcnt(0)
	; wave barrier
	s_waitcnt lgkmcnt(0)
	s_and_saveexec_b64 s[8:9], s[4:5]
	s_cbranch_execz .LBB84_176
; %bb.167:
	s_andn2_b64 vcc, exec, s[10:11]
	s_cbranch_vccnz .LBB84_169
; %bb.168:
	buffer_load_dword v47, v45, s[0:3], 0 offen
	ds_read_b32 v48, v44
	s_waitcnt vmcnt(0) lgkmcnt(0)
	v_mul_f32_e32 v47, v47, v48
	s_cbranch_execz .LBB84_170
	s_branch .LBB84_171
.LBB84_169:
                                        ; implicit-def: $vgpr47
.LBB84_170:
	ds_read_b32 v47, v44
.LBB84_171:
	s_and_saveexec_b64 s[12:13], s[6:7]
	s_cbranch_execz .LBB84_175
; %bb.172:
	v_mov_b32_e32 v48, 0
	v_or_b32_e32 v48, 12, v48
	v_add_u32_e32 v49, -3, v0
	s_movk_i32 s14, 0x6c
	s_mov_b64 s[6:7], 0
.LBB84_173:                             ; =>This Inner Loop Header: Depth=1
	buffer_load_dword v50, v48, s[0:3], 0 offen
	v_mov_b32_e32 v51, s14
	ds_read_b32 v51, v51
	v_add_u32_e32 v49, -1, v49
	s_add_i32 s14, s14, 4
	v_cmp_eq_u32_e32 vcc, 0, v49
	v_add_u32_e32 v48, 4, v48
	s_or_b64 s[6:7], vcc, s[6:7]
	s_waitcnt vmcnt(0) lgkmcnt(0)
	v_fmac_f32_e32 v47, v50, v51
	s_andn2_b64 exec, exec, s[6:7]
	s_cbranch_execnz .LBB84_173
; %bb.174:
	s_or_b64 exec, exec, s[6:7]
.LBB84_175:
	s_or_b64 exec, exec, s[12:13]
	v_mov_b32_e32 v48, 0
	ds_read_b32 v48, v48 offset:8
	s_waitcnt lgkmcnt(0)
	v_mul_f32_e32 v47, v47, v48
	buffer_store_dword v47, off, s[0:3], 0 offset:8
.LBB84_176:
	s_or_b64 exec, exec, s[8:9]
	buffer_load_dword v47, off, s[0:3], 0 offset:4
	v_cmp_lt_u32_e64 s[6:7], 1, v0
	s_waitcnt vmcnt(0)
	ds_write_b32 v44, v47
	s_waitcnt lgkmcnt(0)
	; wave barrier
	s_waitcnt lgkmcnt(0)
	s_and_saveexec_b64 s[8:9], s[6:7]
	s_cbranch_execz .LBB84_186
; %bb.177:
	s_andn2_b64 vcc, exec, s[10:11]
	s_cbranch_vccnz .LBB84_179
; %bb.178:
	buffer_load_dword v47, v45, s[0:3], 0 offen
	ds_read_b32 v48, v44
	s_waitcnt vmcnt(0) lgkmcnt(0)
	v_mul_f32_e32 v47, v47, v48
	s_cbranch_execz .LBB84_180
	s_branch .LBB84_181
.LBB84_179:
                                        ; implicit-def: $vgpr47
.LBB84_180:
	ds_read_b32 v47, v44
.LBB84_181:
	s_and_saveexec_b64 s[12:13], s[4:5]
	s_cbranch_execz .LBB84_185
; %bb.182:
	v_add_u32_e32 v48, -2, v0
	s_movk_i32 s14, 0x68
	s_mov_b64 s[4:5], 0
.LBB84_183:                             ; =>This Inner Loop Header: Depth=1
	buffer_load_dword v49, v46, s[0:3], 0 offen
	v_mov_b32_e32 v50, s14
	ds_read_b32 v50, v50
	v_add_u32_e32 v48, -1, v48
	s_add_i32 s14, s14, 4
	v_cmp_eq_u32_e32 vcc, 0, v48
	v_add_u32_e32 v46, 4, v46
	s_or_b64 s[4:5], vcc, s[4:5]
	s_waitcnt vmcnt(0) lgkmcnt(0)
	v_fmac_f32_e32 v47, v49, v50
	s_andn2_b64 exec, exec, s[4:5]
	s_cbranch_execnz .LBB84_183
; %bb.184:
	s_or_b64 exec, exec, s[4:5]
.LBB84_185:
	s_or_b64 exec, exec, s[12:13]
	v_mov_b32_e32 v46, 0
	ds_read_b32 v46, v46 offset:4
	s_waitcnt lgkmcnt(0)
	v_mul_f32_e32 v46, v47, v46
	buffer_store_dword v46, off, s[0:3], 0 offset:4
.LBB84_186:
	s_or_b64 exec, exec, s[8:9]
	buffer_load_dword v46, off, s[0:3], 0
	v_cmp_ne_u32_e32 vcc, 0, v0
	s_waitcnt vmcnt(0)
	ds_write_b32 v44, v46
	s_waitcnt lgkmcnt(0)
	; wave barrier
	s_waitcnt lgkmcnt(0)
	s_and_saveexec_b64 s[4:5], vcc
	s_cbranch_execz .LBB84_196
; %bb.187:
	s_andn2_b64 vcc, exec, s[10:11]
	s_cbranch_vccnz .LBB84_189
; %bb.188:
	buffer_load_dword v46, v45, s[0:3], 0 offen
	ds_read_b32 v47, v44
	s_waitcnt vmcnt(0) lgkmcnt(0)
	v_mul_f32_e32 v46, v46, v47
	s_cbranch_execz .LBB84_190
	s_branch .LBB84_191
.LBB84_189:
                                        ; implicit-def: $vgpr46
.LBB84_190:
	ds_read_b32 v46, v44
.LBB84_191:
	s_and_saveexec_b64 s[8:9], s[6:7]
	s_cbranch_execz .LBB84_195
; %bb.192:
	v_mov_b32_e32 v47, 0
	v_or_b32_e32 v47, 4, v47
	v_add_u32_e32 v48, -1, v0
	s_movk_i32 s12, 0x64
	s_mov_b64 s[6:7], 0
.LBB84_193:                             ; =>This Inner Loop Header: Depth=1
	buffer_load_dword v49, v47, s[0:3], 0 offen
	v_mov_b32_e32 v50, s12
	ds_read_b32 v50, v50
	v_add_u32_e32 v48, -1, v48
	s_add_i32 s12, s12, 4
	v_cmp_eq_u32_e32 vcc, 0, v48
	v_add_u32_e32 v47, 4, v47
	s_or_b64 s[6:7], vcc, s[6:7]
	s_waitcnt vmcnt(0) lgkmcnt(0)
	v_fmac_f32_e32 v46, v49, v50
	s_andn2_b64 exec, exec, s[6:7]
	s_cbranch_execnz .LBB84_193
; %bb.194:
	s_or_b64 exec, exec, s[6:7]
.LBB84_195:
	s_or_b64 exec, exec, s[8:9]
	v_mov_b32_e32 v47, 0
	ds_read_b32 v47, v47
	s_waitcnt lgkmcnt(0)
	v_mul_f32_e32 v46, v46, v47
	buffer_store_dword v46, off, s[0:3], 0
.LBB84_196:
	s_or_b64 exec, exec, s[4:5]
	s_mov_b64 s[4:5], 0
.LBB84_197:
	s_and_b64 vcc, exec, s[4:5]
	s_cbranch_vccz .LBB84_391
; %bb.198:
	buffer_load_dword v46, off, s[0:3], 0 offset:4
	v_cmp_eq_u32_e64 s[6:7], 0, v0
	s_waitcnt vmcnt(0)
	ds_write_b32 v44, v46
	s_waitcnt lgkmcnt(0)
	; wave barrier
	s_waitcnt lgkmcnt(0)
	s_and_saveexec_b64 s[4:5], s[6:7]
	s_cbranch_execz .LBB84_204
; %bb.199:
	s_and_b64 vcc, exec, s[10:11]
	s_cbranch_vccz .LBB84_201
; %bb.200:
	buffer_load_dword v46, v45, s[0:3], 0 offen
	ds_read_b32 v47, v44
	s_waitcnt vmcnt(0) lgkmcnt(0)
	v_mul_f32_e32 v46, v46, v47
	s_cbranch_execz .LBB84_202
	s_branch .LBB84_203
.LBB84_201:
                                        ; implicit-def: $vgpr46
.LBB84_202:
	ds_read_b32 v46, v44
.LBB84_203:
	v_mov_b32_e32 v47, 0
	ds_read_b32 v47, v47 offset:4
	s_waitcnt lgkmcnt(0)
	v_mul_f32_e32 v46, v46, v47
	buffer_store_dword v46, off, s[0:3], 0 offset:4
.LBB84_204:
	s_or_b64 exec, exec, s[4:5]
	buffer_load_dword v46, off, s[0:3], 0 offset:8
	v_cndmask_b32_e64 v47, 0, 1, s[10:11]
	v_cmp_gt_u32_e32 vcc, 2, v0
	v_cmp_ne_u32_e64 s[4:5], 1, v47
	s_waitcnt vmcnt(0)
	ds_write_b32 v44, v46
	s_waitcnt lgkmcnt(0)
	; wave barrier
	s_waitcnt lgkmcnt(0)
	s_and_saveexec_b64 s[8:9], vcc
	s_cbranch_execz .LBB84_212
; %bb.205:
	s_and_b64 vcc, exec, s[4:5]
	s_cbranch_vccnz .LBB84_207
; %bb.206:
	buffer_load_dword v46, v45, s[0:3], 0 offen
	ds_read_b32 v47, v44
	s_waitcnt vmcnt(0) lgkmcnt(0)
	v_mul_f32_e32 v46, v46, v47
	s_cbranch_execz .LBB84_208
	s_branch .LBB84_209
.LBB84_207:
                                        ; implicit-def: $vgpr46
.LBB84_208:
	ds_read_b32 v46, v44
.LBB84_209:
	s_and_saveexec_b64 s[10:11], s[6:7]
	s_cbranch_execz .LBB84_211
; %bb.210:
	buffer_load_dword v47, v45, s[0:3], 0 offen offset:4
	ds_read_b32 v48, v44 offset:4
	s_waitcnt vmcnt(0) lgkmcnt(0)
	v_fmac_f32_e32 v46, v47, v48
.LBB84_211:
	s_or_b64 exec, exec, s[10:11]
	v_mov_b32_e32 v47, 0
	ds_read_b32 v47, v47 offset:8
	s_waitcnt lgkmcnt(0)
	v_mul_f32_e32 v46, v46, v47
	buffer_store_dword v46, off, s[0:3], 0 offset:8
.LBB84_212:
	s_or_b64 exec, exec, s[8:9]
	buffer_load_dword v46, off, s[0:3], 0 offset:12
	v_cmp_gt_u32_e32 vcc, 3, v0
	s_waitcnt vmcnt(0)
	ds_write_b32 v44, v46
	s_waitcnt lgkmcnt(0)
	; wave barrier
	s_waitcnt lgkmcnt(0)
	s_and_saveexec_b64 s[8:9], vcc
	s_cbranch_execz .LBB84_220
; %bb.213:
	s_and_b64 vcc, exec, s[4:5]
	s_cbranch_vccnz .LBB84_215
; %bb.214:
	buffer_load_dword v46, v45, s[0:3], 0 offen
	ds_read_b32 v47, v44
	s_waitcnt vmcnt(0) lgkmcnt(0)
	v_mul_f32_e32 v46, v46, v47
	s_cbranch_execz .LBB84_216
	s_branch .LBB84_217
.LBB84_215:
                                        ; implicit-def: $vgpr46
.LBB84_216:
	ds_read_b32 v46, v44
.LBB84_217:
	v_cmp_ne_u32_e32 vcc, 2, v0
	s_and_saveexec_b64 s[10:11], vcc
	s_cbranch_execz .LBB84_219
; %bb.218:
	buffer_load_dword v47, v45, s[0:3], 0 offen offset:4
	buffer_load_dword v48, off, s[0:3], 0 offset:8
	v_mov_b32_e32 v49, 0
	ds_read_b32 v50, v44 offset:4
	ds_read_b32 v49, v49 offset:104
	s_waitcnt vmcnt(1) lgkmcnt(1)
	v_fmac_f32_e32 v46, v47, v50
	s_waitcnt vmcnt(0) lgkmcnt(0)
	v_fma_f32 v47, v48, v49, v46
	v_cndmask_b32_e64 v46, v46, v47, s[6:7]
.LBB84_219:
	s_or_b64 exec, exec, s[10:11]
	v_mov_b32_e32 v47, 0
	ds_read_b32 v47, v47 offset:12
	s_waitcnt lgkmcnt(0)
	v_mul_f32_e32 v46, v46, v47
	buffer_store_dword v46, off, s[0:3], 0 offset:12
.LBB84_220:
	s_or_b64 exec, exec, s[8:9]
	buffer_load_dword v46, off, s[0:3], 0 offset:16
	v_cmp_gt_u32_e32 vcc, 4, v0
	s_waitcnt vmcnt(0)
	ds_write_b32 v44, v46
	s_waitcnt lgkmcnt(0)
	; wave barrier
	s_waitcnt lgkmcnt(0)
	s_and_saveexec_b64 s[6:7], vcc
	s_cbranch_execz .LBB84_230
; %bb.221:
	s_and_b64 vcc, exec, s[4:5]
	s_cbranch_vccnz .LBB84_223
; %bb.222:
	buffer_load_dword v46, v45, s[0:3], 0 offen
	ds_read_b32 v47, v44
	s_waitcnt vmcnt(0) lgkmcnt(0)
	v_mul_f32_e32 v46, v46, v47
	s_cbranch_execz .LBB84_224
	s_branch .LBB84_225
.LBB84_223:
                                        ; implicit-def: $vgpr46
.LBB84_224:
	ds_read_b32 v46, v44
.LBB84_225:
	v_cmp_ne_u32_e32 vcc, 3, v0
	s_and_saveexec_b64 s[8:9], vcc
	s_cbranch_execz .LBB84_229
; %bb.226:
	v_mov_b32_e32 v48, 0
	v_add_u32_e32 v47, 0x64, v1
	v_add3_u32 v48, v1, v48, 4
	s_mov_b64 s[10:11], 0
	v_mov_b32_e32 v49, v0
.LBB84_227:                             ; =>This Inner Loop Header: Depth=1
	buffer_load_dword v50, v48, s[0:3], 0 offen
	ds_read_b32 v51, v47
	v_add_u32_e32 v49, 1, v49
	v_cmp_lt_u32_e32 vcc, 2, v49
	v_add_u32_e32 v47, 4, v47
	v_add_u32_e32 v48, 4, v48
	s_or_b64 s[10:11], vcc, s[10:11]
	s_waitcnt vmcnt(0) lgkmcnt(0)
	v_fmac_f32_e32 v46, v50, v51
	s_andn2_b64 exec, exec, s[10:11]
	s_cbranch_execnz .LBB84_227
; %bb.228:
	s_or_b64 exec, exec, s[10:11]
.LBB84_229:
	s_or_b64 exec, exec, s[8:9]
	v_mov_b32_e32 v47, 0
	ds_read_b32 v47, v47 offset:16
	s_waitcnt lgkmcnt(0)
	v_mul_f32_e32 v46, v46, v47
	buffer_store_dword v46, off, s[0:3], 0 offset:16
.LBB84_230:
	s_or_b64 exec, exec, s[6:7]
	buffer_load_dword v46, off, s[0:3], 0 offset:20
	v_cmp_gt_u32_e32 vcc, 5, v0
	s_waitcnt vmcnt(0)
	ds_write_b32 v44, v46
	s_waitcnt lgkmcnt(0)
	; wave barrier
	s_waitcnt lgkmcnt(0)
	s_and_saveexec_b64 s[6:7], vcc
	s_cbranch_execz .LBB84_240
; %bb.231:
	s_and_b64 vcc, exec, s[4:5]
	s_cbranch_vccnz .LBB84_233
; %bb.232:
	buffer_load_dword v46, v45, s[0:3], 0 offen
	ds_read_b32 v47, v44
	s_waitcnt vmcnt(0) lgkmcnt(0)
	v_mul_f32_e32 v46, v46, v47
	s_cbranch_execz .LBB84_234
	s_branch .LBB84_235
.LBB84_233:
                                        ; implicit-def: $vgpr46
.LBB84_234:
	ds_read_b32 v46, v44
.LBB84_235:
	v_cmp_ne_u32_e32 vcc, 4, v0
	s_and_saveexec_b64 s[8:9], vcc
	s_cbranch_execz .LBB84_239
; %bb.236:
	v_mov_b32_e32 v48, 0
	v_add_u32_e32 v47, 0x64, v1
	v_add3_u32 v48, v1, v48, 4
	s_mov_b64 s[10:11], 0
	v_mov_b32_e32 v49, v0
.LBB84_237:                             ; =>This Inner Loop Header: Depth=1
	buffer_load_dword v50, v48, s[0:3], 0 offen
	ds_read_b32 v51, v47
	v_add_u32_e32 v49, 1, v49
	v_cmp_lt_u32_e32 vcc, 3, v49
	v_add_u32_e32 v47, 4, v47
	v_add_u32_e32 v48, 4, v48
	s_or_b64 s[10:11], vcc, s[10:11]
	s_waitcnt vmcnt(0) lgkmcnt(0)
	v_fmac_f32_e32 v46, v50, v51
	s_andn2_b64 exec, exec, s[10:11]
	s_cbranch_execnz .LBB84_237
; %bb.238:
	s_or_b64 exec, exec, s[10:11]
.LBB84_239:
	s_or_b64 exec, exec, s[8:9]
	v_mov_b32_e32 v47, 0
	ds_read_b32 v47, v47 offset:20
	s_waitcnt lgkmcnt(0)
	v_mul_f32_e32 v46, v46, v47
	buffer_store_dword v46, off, s[0:3], 0 offset:20
.LBB84_240:
	;; [unrolled: 56-line block ×15, first 2 shown]
	s_or_b64 exec, exec, s[6:7]
	buffer_load_dword v46, off, s[0:3], 0 offset:76
	v_cmp_gt_u32_e64 s[6:7], 19, v0
	s_waitcnt vmcnt(0)
	ds_write_b32 v44, v46
	s_waitcnt lgkmcnt(0)
	; wave barrier
	s_waitcnt lgkmcnt(0)
	s_and_saveexec_b64 s[8:9], s[6:7]
	s_cbranch_execz .LBB84_380
; %bb.371:
	s_and_b64 vcc, exec, s[4:5]
	s_cbranch_vccnz .LBB84_373
; %bb.372:
	buffer_load_dword v46, v45, s[0:3], 0 offen
	ds_read_b32 v47, v44
	s_waitcnt vmcnt(0) lgkmcnt(0)
	v_mul_f32_e32 v46, v46, v47
	s_cbranch_execz .LBB84_374
	s_branch .LBB84_375
.LBB84_373:
                                        ; implicit-def: $vgpr46
.LBB84_374:
	ds_read_b32 v46, v44
.LBB84_375:
	v_cmp_ne_u32_e32 vcc, 18, v0
	s_and_saveexec_b64 s[10:11], vcc
	s_cbranch_execz .LBB84_379
; %bb.376:
	v_mov_b32_e32 v48, 0
	v_add_u32_e32 v47, 0x64, v1
	v_add3_u32 v48, v1, v48, 4
	s_mov_b64 s[12:13], 0
	v_mov_b32_e32 v49, v0
.LBB84_377:                             ; =>This Inner Loop Header: Depth=1
	buffer_load_dword v50, v48, s[0:3], 0 offen
	ds_read_b32 v51, v47
	v_add_u32_e32 v49, 1, v49
	v_cmp_lt_u32_e32 vcc, 17, v49
	v_add_u32_e32 v47, 4, v47
	v_add_u32_e32 v48, 4, v48
	s_or_b64 s[12:13], vcc, s[12:13]
	s_waitcnt vmcnt(0) lgkmcnt(0)
	v_fmac_f32_e32 v46, v50, v51
	s_andn2_b64 exec, exec, s[12:13]
	s_cbranch_execnz .LBB84_377
; %bb.378:
	s_or_b64 exec, exec, s[12:13]
.LBB84_379:
	s_or_b64 exec, exec, s[10:11]
	v_mov_b32_e32 v47, 0
	ds_read_b32 v47, v47 offset:76
	s_waitcnt lgkmcnt(0)
	v_mul_f32_e32 v46, v46, v47
	buffer_store_dword v46, off, s[0:3], 0 offset:76
.LBB84_380:
	s_or_b64 exec, exec, s[8:9]
	buffer_load_dword v46, off, s[0:3], 0 offset:80
	v_cmp_ne_u32_e32 vcc, 20, v0
	s_waitcnt vmcnt(0)
	ds_write_b32 v44, v46
	s_waitcnt lgkmcnt(0)
	; wave barrier
	s_waitcnt lgkmcnt(0)
	s_and_saveexec_b64 s[8:9], vcc
	s_cbranch_execz .LBB84_390
; %bb.381:
	s_and_b64 vcc, exec, s[4:5]
	s_cbranch_vccnz .LBB84_383
; %bb.382:
	buffer_load_dword v45, v45, s[0:3], 0 offen
	ds_read_b32 v46, v44
	s_waitcnt vmcnt(0) lgkmcnt(0)
	v_mul_f32_e32 v45, v45, v46
	s_cbranch_execz .LBB84_384
	s_branch .LBB84_385
.LBB84_383:
                                        ; implicit-def: $vgpr45
.LBB84_384:
	ds_read_b32 v45, v44
.LBB84_385:
	s_and_saveexec_b64 s[4:5], s[6:7]
	s_cbranch_execz .LBB84_389
; %bb.386:
	v_mov_b32_e32 v46, 0
	v_add_u32_e32 v44, 0x64, v1
	v_add3_u32 v1, v1, v46, 4
	s_mov_b64 s[6:7], 0
.LBB84_387:                             ; =>This Inner Loop Header: Depth=1
	buffer_load_dword v46, v1, s[0:3], 0 offen
	ds_read_b32 v47, v44
	v_add_u32_e32 v0, 1, v0
	v_cmp_lt_u32_e32 vcc, 18, v0
	v_add_u32_e32 v44, 4, v44
	v_add_u32_e32 v1, 4, v1
	s_or_b64 s[6:7], vcc, s[6:7]
	s_waitcnt vmcnt(0) lgkmcnt(0)
	v_fmac_f32_e32 v45, v46, v47
	s_andn2_b64 exec, exec, s[6:7]
	s_cbranch_execnz .LBB84_387
; %bb.388:
	s_or_b64 exec, exec, s[6:7]
.LBB84_389:
	s_or_b64 exec, exec, s[4:5]
	v_mov_b32_e32 v0, 0
	ds_read_b32 v0, v0 offset:80
	s_waitcnt lgkmcnt(0)
	v_mul_f32_e32 v0, v45, v0
	buffer_store_dword v0, off, s[0:3], 0 offset:80
.LBB84_390:
	s_or_b64 exec, exec, s[8:9]
.LBB84_391:
	buffer_load_dword v0, off, s[0:3], 0
	buffer_load_dword v1, off, s[0:3], 0 offset:4
	buffer_load_dword v44, off, s[0:3], 0 offset:8
	;; [unrolled: 1-line block ×15, first 2 shown]
	s_waitcnt vmcnt(15)
	global_store_dword v[2:3], v0, off
	buffer_load_dword v0, off, s[0:3], 0 offset:64
	s_nop 0
	buffer_load_dword v2, off, s[0:3], 0 offset:68
	buffer_load_dword v3, off, s[0:3], 0 offset:72
	;; [unrolled: 1-line block ×4, first 2 shown]
	s_waitcnt vmcnt(20)
	global_store_dword v[4:5], v1, off
	s_waitcnt vmcnt(20)
	global_store_dword v[6:7], v44, off
	s_waitcnt vmcnt(20)
	global_store_dword v[8:9], v45, off
	s_waitcnt vmcnt(20)
	global_store_dword v[10:11], v46, off
	s_waitcnt vmcnt(20)
	global_store_dword v[12:13], v47, off
	s_waitcnt vmcnt(20)
	global_store_dword v[14:15], v48, off
	s_waitcnt vmcnt(20)
	global_store_dword v[18:19], v49, off
	s_waitcnt vmcnt(20)
	global_store_dword v[20:21], v50, off
	s_waitcnt vmcnt(20)
	global_store_dword v[22:23], v51, off
	s_waitcnt vmcnt(20)
	global_store_dword v[24:25], v52, off
	s_waitcnt vmcnt(20)
	global_store_dword v[26:27], v53, off
	s_waitcnt vmcnt(20)
	global_store_dword v[28:29], v54, off
	s_waitcnt vmcnt(20)
	global_store_dword v[30:31], v55, off
	s_waitcnt vmcnt(20)
	global_store_dword v[32:33], v56, off
	s_waitcnt vmcnt(20)
	global_store_dword v[34:35], v57, off
	s_waitcnt vmcnt(19)
	global_store_dword v[36:37], v0, off
	s_waitcnt vmcnt(19)
	global_store_dword v[38:39], v2, off
	s_waitcnt vmcnt(19)
	global_store_dword v[40:41], v3, off
	s_waitcnt vmcnt(19)
	global_store_dword v[42:43], v58, off
	s_waitcnt vmcnt(19)
	global_store_dword v[16:17], v59, off
.LBB84_392:
	s_endpgm
	.section	.rodata,"a",@progbits
	.p2align	6, 0x0
	.amdhsa_kernel _ZN9rocsolver6v33100L18trti2_kernel_smallILi21EfPKPfEEv13rocblas_fill_17rocblas_diagonal_T1_iil
		.amdhsa_group_segment_fixed_size 180
		.amdhsa_private_segment_fixed_size 96
		.amdhsa_kernarg_size 32
		.amdhsa_user_sgpr_count 8
		.amdhsa_user_sgpr_private_segment_buffer 1
		.amdhsa_user_sgpr_dispatch_ptr 0
		.amdhsa_user_sgpr_queue_ptr 0
		.amdhsa_user_sgpr_kernarg_segment_ptr 1
		.amdhsa_user_sgpr_dispatch_id 0
		.amdhsa_user_sgpr_flat_scratch_init 1
		.amdhsa_user_sgpr_kernarg_preload_length 0
		.amdhsa_user_sgpr_kernarg_preload_offset 0
		.amdhsa_user_sgpr_private_segment_size 0
		.amdhsa_uses_dynamic_stack 0
		.amdhsa_system_sgpr_private_segment_wavefront_offset 1
		.amdhsa_system_sgpr_workgroup_id_x 1
		.amdhsa_system_sgpr_workgroup_id_y 0
		.amdhsa_system_sgpr_workgroup_id_z 0
		.amdhsa_system_sgpr_workgroup_info 0
		.amdhsa_system_vgpr_workitem_id 0
		.amdhsa_next_free_vgpr 61
		.amdhsa_next_free_sgpr 16
		.amdhsa_accum_offset 64
		.amdhsa_reserve_vcc 1
		.amdhsa_reserve_flat_scratch 0
		.amdhsa_float_round_mode_32 0
		.amdhsa_float_round_mode_16_64 0
		.amdhsa_float_denorm_mode_32 3
		.amdhsa_float_denorm_mode_16_64 3
		.amdhsa_dx10_clamp 1
		.amdhsa_ieee_mode 1
		.amdhsa_fp16_overflow 0
		.amdhsa_tg_split 0
		.amdhsa_exception_fp_ieee_invalid_op 0
		.amdhsa_exception_fp_denorm_src 0
		.amdhsa_exception_fp_ieee_div_zero 0
		.amdhsa_exception_fp_ieee_overflow 0
		.amdhsa_exception_fp_ieee_underflow 0
		.amdhsa_exception_fp_ieee_inexact 0
		.amdhsa_exception_int_div_zero 0
	.end_amdhsa_kernel
	.section	.text._ZN9rocsolver6v33100L18trti2_kernel_smallILi21EfPKPfEEv13rocblas_fill_17rocblas_diagonal_T1_iil,"axG",@progbits,_ZN9rocsolver6v33100L18trti2_kernel_smallILi21EfPKPfEEv13rocblas_fill_17rocblas_diagonal_T1_iil,comdat
.Lfunc_end84:
	.size	_ZN9rocsolver6v33100L18trti2_kernel_smallILi21EfPKPfEEv13rocblas_fill_17rocblas_diagonal_T1_iil, .Lfunc_end84-_ZN9rocsolver6v33100L18trti2_kernel_smallILi21EfPKPfEEv13rocblas_fill_17rocblas_diagonal_T1_iil
                                        ; -- End function
	.section	.AMDGPU.csdata,"",@progbits
; Kernel info:
; codeLenInByte = 10032
; NumSgprs: 20
; NumVgprs: 61
; NumAgprs: 0
; TotalNumVgprs: 61
; ScratchSize: 96
; MemoryBound: 0
; FloatMode: 240
; IeeeMode: 1
; LDSByteSize: 180 bytes/workgroup (compile time only)
; SGPRBlocks: 2
; VGPRBlocks: 7
; NumSGPRsForWavesPerEU: 20
; NumVGPRsForWavesPerEU: 61
; AccumOffset: 64
; Occupancy: 8
; WaveLimiterHint : 1
; COMPUTE_PGM_RSRC2:SCRATCH_EN: 1
; COMPUTE_PGM_RSRC2:USER_SGPR: 8
; COMPUTE_PGM_RSRC2:TRAP_HANDLER: 0
; COMPUTE_PGM_RSRC2:TGID_X_EN: 1
; COMPUTE_PGM_RSRC2:TGID_Y_EN: 0
; COMPUTE_PGM_RSRC2:TGID_Z_EN: 0
; COMPUTE_PGM_RSRC2:TIDIG_COMP_CNT: 0
; COMPUTE_PGM_RSRC3_GFX90A:ACCUM_OFFSET: 15
; COMPUTE_PGM_RSRC3_GFX90A:TG_SPLIT: 0
	.section	.text._ZN9rocsolver6v33100L18trti2_kernel_smallILi22EfPKPfEEv13rocblas_fill_17rocblas_diagonal_T1_iil,"axG",@progbits,_ZN9rocsolver6v33100L18trti2_kernel_smallILi22EfPKPfEEv13rocblas_fill_17rocblas_diagonal_T1_iil,comdat
	.globl	_ZN9rocsolver6v33100L18trti2_kernel_smallILi22EfPKPfEEv13rocblas_fill_17rocblas_diagonal_T1_iil ; -- Begin function _ZN9rocsolver6v33100L18trti2_kernel_smallILi22EfPKPfEEv13rocblas_fill_17rocblas_diagonal_T1_iil
	.p2align	8
	.type	_ZN9rocsolver6v33100L18trti2_kernel_smallILi22EfPKPfEEv13rocblas_fill_17rocblas_diagonal_T1_iil,@function
_ZN9rocsolver6v33100L18trti2_kernel_smallILi22EfPKPfEEv13rocblas_fill_17rocblas_diagonal_T1_iil: ; @_ZN9rocsolver6v33100L18trti2_kernel_smallILi22EfPKPfEEv13rocblas_fill_17rocblas_diagonal_T1_iil
; %bb.0:
	s_add_u32 s0, s0, s9
	s_addc_u32 s1, s1, 0
	v_cmp_gt_u32_e32 vcc, 22, v0
	s_and_saveexec_b64 s[6:7], vcc
	s_cbranch_execz .LBB85_412
; %bb.1:
	s_load_dwordx2 s[6:7], s[4:5], 0x10
	s_load_dwordx4 s[12:15], s[4:5], 0x0
	s_ashr_i32 s9, s8, 31
	s_lshl_b64 s[4:5], s[8:9], 3
	v_lshlrev_b32_e32 v1, 2, v0
	s_waitcnt lgkmcnt(0)
	s_ashr_i32 s9, s6, 31
	s_add_u32 s4, s14, s4
	s_addc_u32 s5, s15, s5
	s_load_dwordx2 s[4:5], s[4:5], 0x0
	s_mov_b32 s8, s6
	s_lshl_b64 s[8:9], s[8:9], 2
	s_waitcnt lgkmcnt(0)
	s_add_u32 s4, s4, s8
	s_addc_u32 s5, s5, s9
	global_load_dword v19, v1, s[4:5]
	v_mov_b32_e32 v3, s5
	v_add_co_u32_e32 v2, vcc, s4, v1
	s_ashr_i32 s9, s7, 31
	s_mov_b32 s8, s7
	s_add_i32 s6, s7, s7
	v_addc_co_u32_e32 v3, vcc, 0, v3, vcc
	s_lshl_b64 s[8:9], s[8:9], 2
	v_add_u32_e32 v8, s6, v0
	v_mov_b32_e32 v5, s9
	v_add_co_u32_e32 v4, vcc, s8, v2
	v_ashrrev_i32_e32 v9, 31, v8
	v_addc_co_u32_e32 v5, vcc, v3, v5, vcc
	v_lshlrev_b64 v[6:7], 2, v[8:9]
	v_add_u32_e32 v10, s7, v8
	v_mov_b32_e32 v9, s5
	v_add_co_u32_e32 v6, vcc, s4, v6
	v_ashrrev_i32_e32 v11, 31, v10
	v_addc_co_u32_e32 v7, vcc, v9, v7, vcc
	v_lshlrev_b64 v[8:9], 2, v[10:11]
	v_add_u32_e32 v12, s7, v10
	v_mov_b32_e32 v11, s5
	v_add_co_u32_e32 v8, vcc, s4, v8
	v_ashrrev_i32_e32 v13, 31, v12
	v_addc_co_u32_e32 v9, vcc, v11, v9, vcc
	v_lshlrev_b64 v[10:11], 2, v[12:13]
	v_add_u32_e32 v14, s7, v12
	v_mov_b32_e32 v13, s5
	v_add_co_u32_e32 v10, vcc, s4, v10
	v_ashrrev_i32_e32 v15, 31, v14
	v_addc_co_u32_e32 v11, vcc, v13, v11, vcc
	v_lshlrev_b64 v[12:13], 2, v[14:15]
	v_add_u32_e32 v16, s7, v14
	v_mov_b32_e32 v15, s5
	v_add_co_u32_e32 v12, vcc, s4, v12
	v_ashrrev_i32_e32 v17, 31, v16
	v_addc_co_u32_e32 v13, vcc, v15, v13, vcc
	v_lshlrev_b64 v[14:15], 2, v[16:17]
	v_mov_b32_e32 v17, s5
	v_add_co_u32_e32 v14, vcc, s4, v14
	v_addc_co_u32_e32 v15, vcc, v17, v15, vcc
	global_load_dword v23, v[4:5], off
	global_load_dword v25, v[6:7], off
	;; [unrolled: 1-line block ×6, first 2 shown]
	v_add_u32_e32 v18, s7, v16
	v_add_u32_e32 v20, s7, v18
	;; [unrolled: 1-line block ×15, first 2 shown]
	v_ashrrev_i32_e32 v17, 31, v16
	v_lshlrev_b64 v[16:17], 2, v[16:17]
	v_mov_b32_e32 v21, s5
	v_add_co_u32_e32 v16, vcc, s4, v16
	v_addc_co_u32_e32 v17, vcc, v21, v17, vcc
	v_mov_b32_e32 v35, s5
	global_load_dword v46, v[16:17], off
	v_mov_b32_e32 v37, s5
	s_waitcnt vmcnt(7)
	buffer_store_dword v19, off, s[0:3], 0
	v_ashrrev_i32_e32 v19, 31, v18
	v_lshlrev_b64 v[18:19], 2, v[18:19]
	v_add_co_u32_e32 v18, vcc, s4, v18
	v_addc_co_u32_e32 v19, vcc, v21, v19, vcc
	v_ashrrev_i32_e32 v21, 31, v20
	v_lshlrev_b64 v[20:21], 2, v[20:21]
	v_add_co_u32_e32 v20, vcc, s4, v20
	v_addc_co_u32_e32 v21, vcc, v35, v21, vcc
	global_load_dword v47, v[18:19], off
	global_load_dword v48, v[20:21], off
	s_waitcnt vmcnt(9)
	buffer_store_dword v23, off, s[0:3], 0 offset:4
	s_waitcnt vmcnt(9)
	buffer_store_dword v25, off, s[0:3], 0 offset:8
	;; [unrolled: 2-line block ×6, first 2 shown]
	v_ashrrev_i32_e32 v23, 31, v22
	v_lshlrev_b64 v[22:23], 2, v[22:23]
	v_mov_b32_e32 v25, s5
	v_add_co_u32_e32 v22, vcc, s4, v22
	v_addc_co_u32_e32 v23, vcc, v25, v23, vcc
	v_ashrrev_i32_e32 v25, 31, v24
	v_lshlrev_b64 v[24:25], 2, v[24:25]
	v_mov_b32_e32 v27, s5
	v_add_co_u32_e32 v24, vcc, s4, v24
	v_addc_co_u32_e32 v25, vcc, v27, v25, vcc
	;; [unrolled: 5-line block ×5, first 2 shown]
	v_ashrrev_i32_e32 v33, 31, v32
	v_lshlrev_b64 v[32:33], 2, v[32:33]
	v_add_co_u32_e32 v32, vcc, s4, v32
	v_addc_co_u32_e32 v33, vcc, v35, v33, vcc
	v_ashrrev_i32_e32 v35, 31, v34
	v_lshlrev_b64 v[34:35], 2, v[34:35]
	v_add_co_u32_e32 v34, vcc, s4, v34
	v_addc_co_u32_e32 v35, vcc, v37, v35, vcc
	v_ashrrev_i32_e32 v37, 31, v36
	v_lshlrev_b64 v[36:37], 2, v[36:37]
	v_mov_b32_e32 v39, s5
	v_add_co_u32_e32 v36, vcc, s4, v36
	v_addc_co_u32_e32 v37, vcc, v39, v37, vcc
	v_ashrrev_i32_e32 v39, 31, v38
	v_lshlrev_b64 v[38:39], 2, v[38:39]
	v_mov_b32_e32 v41, s5
	;; [unrolled: 5-line block ×4, first 2 shown]
	v_add_co_u32_e32 v42, vcc, s4, v42
	global_load_dword v49, v[22:23], off
	global_load_dword v50, v[24:25], off
	;; [unrolled: 1-line block ×8, first 2 shown]
	v_addc_co_u32_e32 v43, vcc, v45, v43, vcc
	global_load_dword v58, v[38:39], off
	global_load_dword v59, v[40:41], off
	;; [unrolled: 1-line block ×3, first 2 shown]
	v_ashrrev_i32_e32 v45, 31, v44
	v_lshlrev_b64 v[44:45], 2, v[44:45]
	v_mov_b32_e32 v56, s5
	v_add_co_u32_e32 v44, vcc, s4, v44
	v_addc_co_u32_e32 v45, vcc, v56, v45, vcc
	s_waitcnt vmcnt(18)
	buffer_store_dword v47, off, s[0:3], 0 offset:28
	global_load_dword v47, v[44:45], off
	s_cmpk_lg_i32 s13, 0x84
	s_waitcnt vmcnt(19)
	buffer_store_dword v48, off, s[0:3], 0 offset:32
	v_mov_b32_e32 v56, 0
	s_cselect_b64 s[8:9], -1, 0
	s_cmpk_eq_i32 s13, 0x84
	s_waitcnt vmcnt(13)
	buffer_store_dword v49, off, s[0:3], 0 offset:36
	s_waitcnt vmcnt(12)
	buffer_store_dword v51, off, s[0:3], 0 offset:44
	buffer_store_dword v50, off, s[0:3], 0 offset:40
	s_waitcnt vmcnt(13)
	buffer_store_dword v52, off, s[0:3], 0 offset:48
	s_waitcnt vmcnt(13)
	;; [unrolled: 2-line block ×8, first 2 shown]
	buffer_store_dword v60, off, s[0:3], 0 offset:76
	buffer_store_dword v46, off, s[0:3], 0 offset:84
	s_waitcnt vmcnt(13)
	buffer_store_dword v47, off, s[0:3], 0 offset:80
	v_mov_b32_e32 v46, -1.0
	s_cbranch_scc1 .LBB85_3
; %bb.2:
	v_lshl_add_u32 v46, v0, 2, v56
	buffer_load_dword v47, v46, s[0:3], 0 offen
	s_waitcnt vmcnt(0)
	v_div_scale_f32 v48, s[4:5], v47, v47, 1.0
	v_rcp_f32_e32 v49, v48
	v_div_scale_f32 v50, vcc, 1.0, v47, 1.0
	v_fma_f32 v51, -v48, v49, 1.0
	v_fmac_f32_e32 v49, v51, v49
	v_mul_f32_e32 v51, v50, v49
	v_fma_f32 v52, -v48, v51, v50
	v_fmac_f32_e32 v51, v52, v49
	v_fma_f32 v48, -v48, v51, v50
	v_div_fmas_f32 v48, v48, v49, v51
	v_div_fixup_f32 v47, v48, v47, 1.0
	buffer_store_dword v47, v46, s[0:3], 0 offen
	v_xor_b32_e32 v46, 0x80000000, v47
.LBB85_3:
	ds_write_b32 v1, v46
	s_cmpk_eq_i32 s12, 0x79
	v_add_u32_e32 v46, 0x60, v1
	v_add_u32_e32 v47, 0, v1
	s_mov_b64 s[4:5], -1
	s_cbranch_scc1 .LBB85_207
; %bb.4:
	buffer_load_dword v48, off, s[0:3], 0 offset:80
	v_cmp_eq_u32_e64 s[4:5], 21, v0
	s_waitcnt vmcnt(0)
	ds_write_b32 v46, v48
	s_waitcnt lgkmcnt(0)
	; wave barrier
	s_waitcnt lgkmcnt(0)
	s_and_saveexec_b64 s[6:7], s[4:5]
	s_cbranch_execz .LBB85_10
; %bb.5:
	s_and_b64 vcc, exec, s[8:9]
	s_cbranch_vccz .LBB85_7
; %bb.6:
	buffer_load_dword v48, v47, s[0:3], 0 offen
	ds_read_b32 v49, v46
	s_waitcnt vmcnt(0) lgkmcnt(0)
	v_mul_f32_e32 v48, v48, v49
	s_cbranch_execz .LBB85_8
	s_branch .LBB85_9
.LBB85_7:
                                        ; implicit-def: $vgpr48
.LBB85_8:
	ds_read_b32 v48, v46
.LBB85_9:
	v_mov_b32_e32 v49, 0
	ds_read_b32 v49, v49 offset:80
	s_waitcnt lgkmcnt(0)
	v_mul_f32_e32 v48, v48, v49
	buffer_store_dword v48, off, s[0:3], 0 offset:80
.LBB85_10:
	s_or_b64 exec, exec, s[6:7]
	buffer_load_dword v57, off, s[0:3], 0 offset:76
	v_or_b32_e32 v48, 8, v56
	v_add_u32_e32 v49, 16, v56
	v_add_u32_e32 v50, 24, v56
	v_add_u32_e32 v51, 32, v56
	v_add_u32_e32 v52, 40, v56
	v_add_u32_e32 v53, 48, v56
	v_add_u32_e32 v54, 56, v56
	v_add_u32_e32 v55, 64, v56
	v_add_u32_e32 v56, 0x48, v56
	v_cmp_lt_u32_e64 s[6:7], 19, v0
	s_waitcnt vmcnt(0)
	ds_write_b32 v46, v57
	s_waitcnt lgkmcnt(0)
	; wave barrier
	s_waitcnt lgkmcnt(0)
	s_and_saveexec_b64 s[10:11], s[6:7]
	s_cbranch_execz .LBB85_16
; %bb.11:
	s_andn2_b64 vcc, exec, s[8:9]
	s_cbranch_vccnz .LBB85_13
; %bb.12:
	buffer_load_dword v57, v47, s[0:3], 0 offen
	ds_read_b32 v58, v46
	s_waitcnt vmcnt(0) lgkmcnt(0)
	v_mul_f32_e32 v57, v57, v58
	s_cbranch_execz .LBB85_14
	s_branch .LBB85_15
.LBB85_13:
                                        ; implicit-def: $vgpr57
.LBB85_14:
	ds_read_b32 v57, v46
.LBB85_15:
	buffer_load_dword v60, off, s[0:3], 0 offset:80
	v_mov_b32_e32 v58, 0
	ds_read2_b32 v[58:59], v58 offset0:19 offset1:44
	s_waitcnt vmcnt(0) lgkmcnt(0)
	v_fma_f32 v59, v60, v59, v57
	v_cndmask_b32_e64 v57, v57, v59, s[4:5]
	v_mul_f32_e32 v57, v57, v58
	buffer_store_dword v57, off, s[0:3], 0 offset:76
.LBB85_16:
	s_or_b64 exec, exec, s[10:11]
	buffer_load_dword v57, off, s[0:3], 0 offset:72
	v_cmp_lt_u32_e64 s[4:5], 18, v0
	s_waitcnt vmcnt(0)
	ds_write_b32 v46, v57
	s_waitcnt lgkmcnt(0)
	; wave barrier
	s_waitcnt lgkmcnt(0)
	s_and_saveexec_b64 s[10:11], s[4:5]
	s_cbranch_execz .LBB85_26
; %bb.17:
	s_andn2_b64 vcc, exec, s[8:9]
	s_cbranch_vccnz .LBB85_19
; %bb.18:
	buffer_load_dword v57, v47, s[0:3], 0 offen
	ds_read_b32 v58, v46
	s_waitcnt vmcnt(0) lgkmcnt(0)
	v_mul_f32_e32 v57, v57, v58
	s_cbranch_execz .LBB85_20
	s_branch .LBB85_21
.LBB85_19:
                                        ; implicit-def: $vgpr57
.LBB85_20:
	ds_read_b32 v57, v46
.LBB85_21:
	s_and_saveexec_b64 s[12:13], s[6:7]
	s_cbranch_execz .LBB85_25
; %bb.22:
	v_mov_b32_e32 v58, 0
	v_add_u32_e32 v58, 0x4c, v58
	v_subrev_u32_e32 v59, 19, v0
	s_movk_i32 s14, 0xac
	s_mov_b64 s[6:7], 0
.LBB85_23:                              ; =>This Inner Loop Header: Depth=1
	buffer_load_dword v60, v58, s[0:3], 0 offen
	v_mov_b32_e32 v61, s14
	ds_read_b32 v61, v61
	v_add_u32_e32 v59, -1, v59
	s_add_i32 s14, s14, 4
	v_cmp_eq_u32_e32 vcc, 0, v59
	v_add_u32_e32 v58, 4, v58
	s_or_b64 s[6:7], vcc, s[6:7]
	s_waitcnt vmcnt(0) lgkmcnt(0)
	v_fmac_f32_e32 v57, v60, v61
	s_andn2_b64 exec, exec, s[6:7]
	s_cbranch_execnz .LBB85_23
; %bb.24:
	s_or_b64 exec, exec, s[6:7]
.LBB85_25:
	s_or_b64 exec, exec, s[12:13]
	v_mov_b32_e32 v58, 0
	ds_read_b32 v58, v58 offset:72
	s_waitcnt lgkmcnt(0)
	v_mul_f32_e32 v57, v57, v58
	buffer_store_dword v57, off, s[0:3], 0 offset:72
.LBB85_26:
	s_or_b64 exec, exec, s[10:11]
	buffer_load_dword v57, off, s[0:3], 0 offset:68
	v_cmp_lt_u32_e64 s[6:7], 17, v0
	s_waitcnt vmcnt(0)
	ds_write_b32 v46, v57
	s_waitcnt lgkmcnt(0)
	; wave barrier
	s_waitcnt lgkmcnt(0)
	s_and_saveexec_b64 s[10:11], s[6:7]
	s_cbranch_execz .LBB85_36
; %bb.27:
	s_andn2_b64 vcc, exec, s[8:9]
	s_cbranch_vccnz .LBB85_29
; %bb.28:
	buffer_load_dword v57, v47, s[0:3], 0 offen
	ds_read_b32 v58, v46
	s_waitcnt vmcnt(0) lgkmcnt(0)
	v_mul_f32_e32 v57, v57, v58
	s_cbranch_execz .LBB85_30
	s_branch .LBB85_31
.LBB85_29:
                                        ; implicit-def: $vgpr57
.LBB85_30:
	ds_read_b32 v57, v46
.LBB85_31:
	s_and_saveexec_b64 s[12:13], s[4:5]
	s_cbranch_execz .LBB85_35
; %bb.32:
	v_subrev_u32_e32 v58, 18, v0
	s_movk_i32 s14, 0xa8
	s_mov_b64 s[4:5], 0
.LBB85_33:                              ; =>This Inner Loop Header: Depth=1
	buffer_load_dword v59, v56, s[0:3], 0 offen
	v_mov_b32_e32 v60, s14
	ds_read_b32 v60, v60
	v_add_u32_e32 v58, -1, v58
	s_add_i32 s14, s14, 4
	v_cmp_eq_u32_e32 vcc, 0, v58
	v_add_u32_e32 v56, 4, v56
	s_or_b64 s[4:5], vcc, s[4:5]
	s_waitcnt vmcnt(0) lgkmcnt(0)
	v_fmac_f32_e32 v57, v59, v60
	s_andn2_b64 exec, exec, s[4:5]
	s_cbranch_execnz .LBB85_33
; %bb.34:
	s_or_b64 exec, exec, s[4:5]
.LBB85_35:
	s_or_b64 exec, exec, s[12:13]
	v_mov_b32_e32 v56, 0
	ds_read_b32 v56, v56 offset:68
	s_waitcnt lgkmcnt(0)
	v_mul_f32_e32 v56, v57, v56
	buffer_store_dword v56, off, s[0:3], 0 offset:68
.LBB85_36:
	s_or_b64 exec, exec, s[10:11]
	buffer_load_dword v56, off, s[0:3], 0 offset:64
	v_cmp_lt_u32_e64 s[4:5], 16, v0
	s_waitcnt vmcnt(0)
	ds_write_b32 v46, v56
	s_waitcnt lgkmcnt(0)
	; wave barrier
	s_waitcnt lgkmcnt(0)
	s_and_saveexec_b64 s[10:11], s[4:5]
	s_cbranch_execz .LBB85_46
; %bb.37:
	s_andn2_b64 vcc, exec, s[8:9]
	s_cbranch_vccnz .LBB85_39
; %bb.38:
	buffer_load_dword v56, v47, s[0:3], 0 offen
	ds_read_b32 v57, v46
	s_waitcnt vmcnt(0) lgkmcnt(0)
	v_mul_f32_e32 v56, v56, v57
	s_cbranch_execz .LBB85_40
	s_branch .LBB85_41
.LBB85_39:
                                        ; implicit-def: $vgpr56
.LBB85_40:
	ds_read_b32 v56, v46
.LBB85_41:
	s_and_saveexec_b64 s[12:13], s[6:7]
	s_cbranch_execz .LBB85_45
; %bb.42:
	v_mov_b32_e32 v57, 0
	v_add_u32_e32 v57, 0x44, v57
	v_subrev_u32_e32 v58, 17, v0
	s_movk_i32 s14, 0xa4
	s_mov_b64 s[6:7], 0
.LBB85_43:                              ; =>This Inner Loop Header: Depth=1
	buffer_load_dword v59, v57, s[0:3], 0 offen
	v_mov_b32_e32 v60, s14
	ds_read_b32 v60, v60
	v_add_u32_e32 v58, -1, v58
	s_add_i32 s14, s14, 4
	v_cmp_eq_u32_e32 vcc, 0, v58
	v_add_u32_e32 v57, 4, v57
	s_or_b64 s[6:7], vcc, s[6:7]
	s_waitcnt vmcnt(0) lgkmcnt(0)
	v_fmac_f32_e32 v56, v59, v60
	s_andn2_b64 exec, exec, s[6:7]
	s_cbranch_execnz .LBB85_43
; %bb.44:
	s_or_b64 exec, exec, s[6:7]
.LBB85_45:
	s_or_b64 exec, exec, s[12:13]
	v_mov_b32_e32 v57, 0
	ds_read_b32 v57, v57 offset:64
	s_waitcnt lgkmcnt(0)
	v_mul_f32_e32 v56, v56, v57
	buffer_store_dword v56, off, s[0:3], 0 offset:64
.LBB85_46:
	s_or_b64 exec, exec, s[10:11]
	buffer_load_dword v56, off, s[0:3], 0 offset:60
	v_cmp_lt_u32_e64 s[6:7], 15, v0
	s_waitcnt vmcnt(0)
	ds_write_b32 v46, v56
	s_waitcnt lgkmcnt(0)
	; wave barrier
	s_waitcnt lgkmcnt(0)
	s_and_saveexec_b64 s[10:11], s[6:7]
	s_cbranch_execz .LBB85_56
; %bb.47:
	s_andn2_b64 vcc, exec, s[8:9]
	s_cbranch_vccnz .LBB85_49
; %bb.48:
	buffer_load_dword v56, v47, s[0:3], 0 offen
	ds_read_b32 v57, v46
	s_waitcnt vmcnt(0) lgkmcnt(0)
	v_mul_f32_e32 v56, v56, v57
	s_cbranch_execz .LBB85_50
	s_branch .LBB85_51
.LBB85_49:
                                        ; implicit-def: $vgpr56
.LBB85_50:
	ds_read_b32 v56, v46
.LBB85_51:
	s_and_saveexec_b64 s[12:13], s[4:5]
	s_cbranch_execz .LBB85_55
; %bb.52:
	v_add_u32_e32 v57, -16, v0
	s_movk_i32 s14, 0xa0
	s_mov_b64 s[4:5], 0
.LBB85_53:                              ; =>This Inner Loop Header: Depth=1
	buffer_load_dword v58, v55, s[0:3], 0 offen
	v_mov_b32_e32 v59, s14
	ds_read_b32 v59, v59
	v_add_u32_e32 v57, -1, v57
	s_add_i32 s14, s14, 4
	v_cmp_eq_u32_e32 vcc, 0, v57
	v_add_u32_e32 v55, 4, v55
	s_or_b64 s[4:5], vcc, s[4:5]
	s_waitcnt vmcnt(0) lgkmcnt(0)
	v_fmac_f32_e32 v56, v58, v59
	s_andn2_b64 exec, exec, s[4:5]
	s_cbranch_execnz .LBB85_53
; %bb.54:
	s_or_b64 exec, exec, s[4:5]
.LBB85_55:
	s_or_b64 exec, exec, s[12:13]
	v_mov_b32_e32 v55, 0
	ds_read_b32 v55, v55 offset:60
	s_waitcnt lgkmcnt(0)
	v_mul_f32_e32 v55, v56, v55
	buffer_store_dword v55, off, s[0:3], 0 offset:60
.LBB85_56:
	s_or_b64 exec, exec, s[10:11]
	buffer_load_dword v55, off, s[0:3], 0 offset:56
	v_cmp_lt_u32_e64 s[4:5], 14, v0
	s_waitcnt vmcnt(0)
	ds_write_b32 v46, v55
	s_waitcnt lgkmcnt(0)
	; wave barrier
	s_waitcnt lgkmcnt(0)
	s_and_saveexec_b64 s[10:11], s[4:5]
	s_cbranch_execz .LBB85_66
; %bb.57:
	s_andn2_b64 vcc, exec, s[8:9]
	s_cbranch_vccnz .LBB85_59
; %bb.58:
	buffer_load_dword v55, v47, s[0:3], 0 offen
	ds_read_b32 v56, v46
	s_waitcnt vmcnt(0) lgkmcnt(0)
	v_mul_f32_e32 v55, v55, v56
	s_cbranch_execz .LBB85_60
	s_branch .LBB85_61
.LBB85_59:
                                        ; implicit-def: $vgpr55
.LBB85_60:
	ds_read_b32 v55, v46
.LBB85_61:
	s_and_saveexec_b64 s[12:13], s[6:7]
	s_cbranch_execz .LBB85_65
; %bb.62:
	v_mov_b32_e32 v56, 0
	v_add_u32_e32 v56, 60, v56
	v_add_u32_e32 v57, -15, v0
	s_movk_i32 s14, 0x9c
	s_mov_b64 s[6:7], 0
.LBB85_63:                              ; =>This Inner Loop Header: Depth=1
	buffer_load_dword v58, v56, s[0:3], 0 offen
	v_mov_b32_e32 v59, s14
	ds_read_b32 v59, v59
	v_add_u32_e32 v57, -1, v57
	s_add_i32 s14, s14, 4
	v_cmp_eq_u32_e32 vcc, 0, v57
	v_add_u32_e32 v56, 4, v56
	s_or_b64 s[6:7], vcc, s[6:7]
	s_waitcnt vmcnt(0) lgkmcnt(0)
	v_fmac_f32_e32 v55, v58, v59
	s_andn2_b64 exec, exec, s[6:7]
	s_cbranch_execnz .LBB85_63
; %bb.64:
	s_or_b64 exec, exec, s[6:7]
.LBB85_65:
	s_or_b64 exec, exec, s[12:13]
	v_mov_b32_e32 v56, 0
	ds_read_b32 v56, v56 offset:56
	s_waitcnt lgkmcnt(0)
	v_mul_f32_e32 v55, v55, v56
	buffer_store_dword v55, off, s[0:3], 0 offset:56
.LBB85_66:
	s_or_b64 exec, exec, s[10:11]
	buffer_load_dword v55, off, s[0:3], 0 offset:52
	v_cmp_lt_u32_e64 s[6:7], 13, v0
	s_waitcnt vmcnt(0)
	ds_write_b32 v46, v55
	s_waitcnt lgkmcnt(0)
	; wave barrier
	s_waitcnt lgkmcnt(0)
	s_and_saveexec_b64 s[10:11], s[6:7]
	s_cbranch_execz .LBB85_76
; %bb.67:
	s_andn2_b64 vcc, exec, s[8:9]
	s_cbranch_vccnz .LBB85_69
; %bb.68:
	buffer_load_dword v55, v47, s[0:3], 0 offen
	ds_read_b32 v56, v46
	s_waitcnt vmcnt(0) lgkmcnt(0)
	v_mul_f32_e32 v55, v55, v56
	s_cbranch_execz .LBB85_70
	s_branch .LBB85_71
.LBB85_69:
                                        ; implicit-def: $vgpr55
.LBB85_70:
	ds_read_b32 v55, v46
.LBB85_71:
	s_and_saveexec_b64 s[12:13], s[4:5]
	s_cbranch_execz .LBB85_75
; %bb.72:
	v_add_u32_e32 v56, -14, v0
	s_movk_i32 s14, 0x98
	s_mov_b64 s[4:5], 0
.LBB85_73:                              ; =>This Inner Loop Header: Depth=1
	buffer_load_dword v57, v54, s[0:3], 0 offen
	v_mov_b32_e32 v58, s14
	ds_read_b32 v58, v58
	v_add_u32_e32 v56, -1, v56
	s_add_i32 s14, s14, 4
	v_cmp_eq_u32_e32 vcc, 0, v56
	v_add_u32_e32 v54, 4, v54
	s_or_b64 s[4:5], vcc, s[4:5]
	s_waitcnt vmcnt(0) lgkmcnt(0)
	v_fmac_f32_e32 v55, v57, v58
	s_andn2_b64 exec, exec, s[4:5]
	s_cbranch_execnz .LBB85_73
; %bb.74:
	s_or_b64 exec, exec, s[4:5]
.LBB85_75:
	s_or_b64 exec, exec, s[12:13]
	v_mov_b32_e32 v54, 0
	ds_read_b32 v54, v54 offset:52
	s_waitcnt lgkmcnt(0)
	v_mul_f32_e32 v54, v55, v54
	buffer_store_dword v54, off, s[0:3], 0 offset:52
.LBB85_76:
	s_or_b64 exec, exec, s[10:11]
	buffer_load_dword v54, off, s[0:3], 0 offset:48
	v_cmp_lt_u32_e64 s[4:5], 12, v0
	s_waitcnt vmcnt(0)
	ds_write_b32 v46, v54
	s_waitcnt lgkmcnt(0)
	; wave barrier
	s_waitcnt lgkmcnt(0)
	s_and_saveexec_b64 s[10:11], s[4:5]
	s_cbranch_execz .LBB85_86
; %bb.77:
	s_andn2_b64 vcc, exec, s[8:9]
	s_cbranch_vccnz .LBB85_79
; %bb.78:
	buffer_load_dword v54, v47, s[0:3], 0 offen
	ds_read_b32 v55, v46
	s_waitcnt vmcnt(0) lgkmcnt(0)
	v_mul_f32_e32 v54, v54, v55
	s_cbranch_execz .LBB85_80
	s_branch .LBB85_81
.LBB85_79:
                                        ; implicit-def: $vgpr54
.LBB85_80:
	ds_read_b32 v54, v46
.LBB85_81:
	s_and_saveexec_b64 s[12:13], s[6:7]
	s_cbranch_execz .LBB85_85
; %bb.82:
	v_mov_b32_e32 v55, 0
	v_add_u32_e32 v55, 52, v55
	v_add_u32_e32 v56, -13, v0
	s_movk_i32 s14, 0x94
	s_mov_b64 s[6:7], 0
.LBB85_83:                              ; =>This Inner Loop Header: Depth=1
	buffer_load_dword v57, v55, s[0:3], 0 offen
	v_mov_b32_e32 v58, s14
	ds_read_b32 v58, v58
	v_add_u32_e32 v56, -1, v56
	s_add_i32 s14, s14, 4
	v_cmp_eq_u32_e32 vcc, 0, v56
	v_add_u32_e32 v55, 4, v55
	s_or_b64 s[6:7], vcc, s[6:7]
	s_waitcnt vmcnt(0) lgkmcnt(0)
	v_fmac_f32_e32 v54, v57, v58
	s_andn2_b64 exec, exec, s[6:7]
	s_cbranch_execnz .LBB85_83
; %bb.84:
	s_or_b64 exec, exec, s[6:7]
.LBB85_85:
	s_or_b64 exec, exec, s[12:13]
	v_mov_b32_e32 v55, 0
	ds_read_b32 v55, v55 offset:48
	s_waitcnt lgkmcnt(0)
	v_mul_f32_e32 v54, v54, v55
	buffer_store_dword v54, off, s[0:3], 0 offset:48
.LBB85_86:
	s_or_b64 exec, exec, s[10:11]
	buffer_load_dword v54, off, s[0:3], 0 offset:44
	v_cmp_lt_u32_e64 s[6:7], 11, v0
	s_waitcnt vmcnt(0)
	ds_write_b32 v46, v54
	s_waitcnt lgkmcnt(0)
	; wave barrier
	s_waitcnt lgkmcnt(0)
	s_and_saveexec_b64 s[10:11], s[6:7]
	s_cbranch_execz .LBB85_96
; %bb.87:
	s_andn2_b64 vcc, exec, s[8:9]
	s_cbranch_vccnz .LBB85_89
; %bb.88:
	buffer_load_dword v54, v47, s[0:3], 0 offen
	ds_read_b32 v55, v46
	s_waitcnt vmcnt(0) lgkmcnt(0)
	v_mul_f32_e32 v54, v54, v55
	s_cbranch_execz .LBB85_90
	s_branch .LBB85_91
.LBB85_89:
                                        ; implicit-def: $vgpr54
.LBB85_90:
	ds_read_b32 v54, v46
.LBB85_91:
	s_and_saveexec_b64 s[12:13], s[4:5]
	s_cbranch_execz .LBB85_95
; %bb.92:
	v_add_u32_e32 v55, -12, v0
	s_movk_i32 s14, 0x90
	s_mov_b64 s[4:5], 0
.LBB85_93:                              ; =>This Inner Loop Header: Depth=1
	buffer_load_dword v56, v53, s[0:3], 0 offen
	v_mov_b32_e32 v57, s14
	ds_read_b32 v57, v57
	v_add_u32_e32 v55, -1, v55
	s_add_i32 s14, s14, 4
	v_cmp_eq_u32_e32 vcc, 0, v55
	v_add_u32_e32 v53, 4, v53
	s_or_b64 s[4:5], vcc, s[4:5]
	s_waitcnt vmcnt(0) lgkmcnt(0)
	v_fmac_f32_e32 v54, v56, v57
	s_andn2_b64 exec, exec, s[4:5]
	s_cbranch_execnz .LBB85_93
; %bb.94:
	s_or_b64 exec, exec, s[4:5]
.LBB85_95:
	s_or_b64 exec, exec, s[12:13]
	v_mov_b32_e32 v53, 0
	ds_read_b32 v53, v53 offset:44
	s_waitcnt lgkmcnt(0)
	v_mul_f32_e32 v53, v54, v53
	buffer_store_dword v53, off, s[0:3], 0 offset:44
.LBB85_96:
	s_or_b64 exec, exec, s[10:11]
	buffer_load_dword v53, off, s[0:3], 0 offset:40
	v_cmp_lt_u32_e64 s[4:5], 10, v0
	s_waitcnt vmcnt(0)
	ds_write_b32 v46, v53
	s_waitcnt lgkmcnt(0)
	; wave barrier
	s_waitcnt lgkmcnt(0)
	s_and_saveexec_b64 s[10:11], s[4:5]
	s_cbranch_execz .LBB85_106
; %bb.97:
	s_andn2_b64 vcc, exec, s[8:9]
	s_cbranch_vccnz .LBB85_99
; %bb.98:
	buffer_load_dword v53, v47, s[0:3], 0 offen
	ds_read_b32 v54, v46
	s_waitcnt vmcnt(0) lgkmcnt(0)
	v_mul_f32_e32 v53, v53, v54
	s_cbranch_execz .LBB85_100
	s_branch .LBB85_101
.LBB85_99:
                                        ; implicit-def: $vgpr53
.LBB85_100:
	ds_read_b32 v53, v46
.LBB85_101:
	s_and_saveexec_b64 s[12:13], s[6:7]
	s_cbranch_execz .LBB85_105
; %bb.102:
	v_mov_b32_e32 v54, 0
	v_add_u32_e32 v54, 44, v54
	v_add_u32_e32 v55, -11, v0
	s_movk_i32 s14, 0x8c
	s_mov_b64 s[6:7], 0
.LBB85_103:                             ; =>This Inner Loop Header: Depth=1
	buffer_load_dword v56, v54, s[0:3], 0 offen
	v_mov_b32_e32 v57, s14
	ds_read_b32 v57, v57
	v_add_u32_e32 v55, -1, v55
	s_add_i32 s14, s14, 4
	v_cmp_eq_u32_e32 vcc, 0, v55
	v_add_u32_e32 v54, 4, v54
	s_or_b64 s[6:7], vcc, s[6:7]
	s_waitcnt vmcnt(0) lgkmcnt(0)
	v_fmac_f32_e32 v53, v56, v57
	s_andn2_b64 exec, exec, s[6:7]
	s_cbranch_execnz .LBB85_103
; %bb.104:
	s_or_b64 exec, exec, s[6:7]
.LBB85_105:
	s_or_b64 exec, exec, s[12:13]
	v_mov_b32_e32 v54, 0
	ds_read_b32 v54, v54 offset:40
	s_waitcnt lgkmcnt(0)
	v_mul_f32_e32 v53, v53, v54
	buffer_store_dword v53, off, s[0:3], 0 offset:40
.LBB85_106:
	s_or_b64 exec, exec, s[10:11]
	buffer_load_dword v53, off, s[0:3], 0 offset:36
	v_cmp_lt_u32_e64 s[6:7], 9, v0
	s_waitcnt vmcnt(0)
	ds_write_b32 v46, v53
	s_waitcnt lgkmcnt(0)
	; wave barrier
	s_waitcnt lgkmcnt(0)
	s_and_saveexec_b64 s[10:11], s[6:7]
	s_cbranch_execz .LBB85_116
; %bb.107:
	s_andn2_b64 vcc, exec, s[8:9]
	s_cbranch_vccnz .LBB85_109
; %bb.108:
	buffer_load_dword v53, v47, s[0:3], 0 offen
	ds_read_b32 v54, v46
	s_waitcnt vmcnt(0) lgkmcnt(0)
	v_mul_f32_e32 v53, v53, v54
	s_cbranch_execz .LBB85_110
	s_branch .LBB85_111
.LBB85_109:
                                        ; implicit-def: $vgpr53
.LBB85_110:
	ds_read_b32 v53, v46
.LBB85_111:
	s_and_saveexec_b64 s[12:13], s[4:5]
	s_cbranch_execz .LBB85_115
; %bb.112:
	v_add_u32_e32 v54, -10, v0
	s_movk_i32 s14, 0x88
	s_mov_b64 s[4:5], 0
.LBB85_113:                             ; =>This Inner Loop Header: Depth=1
	buffer_load_dword v55, v52, s[0:3], 0 offen
	v_mov_b32_e32 v56, s14
	ds_read_b32 v56, v56
	v_add_u32_e32 v54, -1, v54
	s_add_i32 s14, s14, 4
	v_cmp_eq_u32_e32 vcc, 0, v54
	v_add_u32_e32 v52, 4, v52
	s_or_b64 s[4:5], vcc, s[4:5]
	s_waitcnt vmcnt(0) lgkmcnt(0)
	v_fmac_f32_e32 v53, v55, v56
	s_andn2_b64 exec, exec, s[4:5]
	s_cbranch_execnz .LBB85_113
; %bb.114:
	s_or_b64 exec, exec, s[4:5]
.LBB85_115:
	s_or_b64 exec, exec, s[12:13]
	v_mov_b32_e32 v52, 0
	ds_read_b32 v52, v52 offset:36
	s_waitcnt lgkmcnt(0)
	v_mul_f32_e32 v52, v53, v52
	buffer_store_dword v52, off, s[0:3], 0 offset:36
.LBB85_116:
	s_or_b64 exec, exec, s[10:11]
	buffer_load_dword v52, off, s[0:3], 0 offset:32
	v_cmp_lt_u32_e64 s[4:5], 8, v0
	s_waitcnt vmcnt(0)
	ds_write_b32 v46, v52
	s_waitcnt lgkmcnt(0)
	; wave barrier
	s_waitcnt lgkmcnt(0)
	s_and_saveexec_b64 s[10:11], s[4:5]
	s_cbranch_execz .LBB85_126
; %bb.117:
	s_andn2_b64 vcc, exec, s[8:9]
	s_cbranch_vccnz .LBB85_119
; %bb.118:
	buffer_load_dword v52, v47, s[0:3], 0 offen
	ds_read_b32 v53, v46
	s_waitcnt vmcnt(0) lgkmcnt(0)
	v_mul_f32_e32 v52, v52, v53
	s_cbranch_execz .LBB85_120
	s_branch .LBB85_121
.LBB85_119:
                                        ; implicit-def: $vgpr52
.LBB85_120:
	ds_read_b32 v52, v46
.LBB85_121:
	s_and_saveexec_b64 s[12:13], s[6:7]
	s_cbranch_execz .LBB85_125
; %bb.122:
	v_mov_b32_e32 v53, 0
	v_add_u32_e32 v53, 36, v53
	v_add_u32_e32 v54, -9, v0
	s_movk_i32 s14, 0x84
	s_mov_b64 s[6:7], 0
.LBB85_123:                             ; =>This Inner Loop Header: Depth=1
	buffer_load_dword v55, v53, s[0:3], 0 offen
	v_mov_b32_e32 v56, s14
	ds_read_b32 v56, v56
	v_add_u32_e32 v54, -1, v54
	s_add_i32 s14, s14, 4
	v_cmp_eq_u32_e32 vcc, 0, v54
	v_add_u32_e32 v53, 4, v53
	s_or_b64 s[6:7], vcc, s[6:7]
	s_waitcnt vmcnt(0) lgkmcnt(0)
	v_fmac_f32_e32 v52, v55, v56
	s_andn2_b64 exec, exec, s[6:7]
	s_cbranch_execnz .LBB85_123
; %bb.124:
	s_or_b64 exec, exec, s[6:7]
.LBB85_125:
	s_or_b64 exec, exec, s[12:13]
	v_mov_b32_e32 v53, 0
	ds_read_b32 v53, v53 offset:32
	s_waitcnt lgkmcnt(0)
	v_mul_f32_e32 v52, v52, v53
	buffer_store_dword v52, off, s[0:3], 0 offset:32
.LBB85_126:
	s_or_b64 exec, exec, s[10:11]
	buffer_load_dword v52, off, s[0:3], 0 offset:28
	v_cmp_lt_u32_e64 s[6:7], 7, v0
	s_waitcnt vmcnt(0)
	ds_write_b32 v46, v52
	s_waitcnt lgkmcnt(0)
	; wave barrier
	s_waitcnt lgkmcnt(0)
	s_and_saveexec_b64 s[10:11], s[6:7]
	s_cbranch_execz .LBB85_136
; %bb.127:
	s_andn2_b64 vcc, exec, s[8:9]
	s_cbranch_vccnz .LBB85_129
; %bb.128:
	buffer_load_dword v52, v47, s[0:3], 0 offen
	ds_read_b32 v53, v46
	s_waitcnt vmcnt(0) lgkmcnt(0)
	v_mul_f32_e32 v52, v52, v53
	s_cbranch_execz .LBB85_130
	s_branch .LBB85_131
.LBB85_129:
                                        ; implicit-def: $vgpr52
.LBB85_130:
	ds_read_b32 v52, v46
.LBB85_131:
	s_and_saveexec_b64 s[12:13], s[4:5]
	s_cbranch_execz .LBB85_135
; %bb.132:
	v_add_u32_e32 v53, -8, v0
	s_movk_i32 s14, 0x80
	s_mov_b64 s[4:5], 0
.LBB85_133:                             ; =>This Inner Loop Header: Depth=1
	buffer_load_dword v54, v51, s[0:3], 0 offen
	v_mov_b32_e32 v55, s14
	ds_read_b32 v55, v55
	v_add_u32_e32 v53, -1, v53
	s_add_i32 s14, s14, 4
	v_cmp_eq_u32_e32 vcc, 0, v53
	v_add_u32_e32 v51, 4, v51
	s_or_b64 s[4:5], vcc, s[4:5]
	s_waitcnt vmcnt(0) lgkmcnt(0)
	v_fmac_f32_e32 v52, v54, v55
	s_andn2_b64 exec, exec, s[4:5]
	s_cbranch_execnz .LBB85_133
; %bb.134:
	s_or_b64 exec, exec, s[4:5]
.LBB85_135:
	s_or_b64 exec, exec, s[12:13]
	v_mov_b32_e32 v51, 0
	ds_read_b32 v51, v51 offset:28
	s_waitcnt lgkmcnt(0)
	v_mul_f32_e32 v51, v52, v51
	buffer_store_dword v51, off, s[0:3], 0 offset:28
.LBB85_136:
	s_or_b64 exec, exec, s[10:11]
	buffer_load_dword v51, off, s[0:3], 0 offset:24
	v_cmp_lt_u32_e64 s[4:5], 6, v0
	s_waitcnt vmcnt(0)
	ds_write_b32 v46, v51
	s_waitcnt lgkmcnt(0)
	; wave barrier
	s_waitcnt lgkmcnt(0)
	s_and_saveexec_b64 s[10:11], s[4:5]
	s_cbranch_execz .LBB85_146
; %bb.137:
	s_andn2_b64 vcc, exec, s[8:9]
	s_cbranch_vccnz .LBB85_139
; %bb.138:
	buffer_load_dword v51, v47, s[0:3], 0 offen
	ds_read_b32 v52, v46
	s_waitcnt vmcnt(0) lgkmcnt(0)
	v_mul_f32_e32 v51, v51, v52
	s_cbranch_execz .LBB85_140
	s_branch .LBB85_141
.LBB85_139:
                                        ; implicit-def: $vgpr51
.LBB85_140:
	ds_read_b32 v51, v46
.LBB85_141:
	s_and_saveexec_b64 s[12:13], s[6:7]
	s_cbranch_execz .LBB85_145
; %bb.142:
	v_mov_b32_e32 v52, 0
	v_add_u32_e32 v52, 28, v52
	v_add_u32_e32 v53, -7, v0
	s_movk_i32 s14, 0x7c
	s_mov_b64 s[6:7], 0
.LBB85_143:                             ; =>This Inner Loop Header: Depth=1
	buffer_load_dword v54, v52, s[0:3], 0 offen
	v_mov_b32_e32 v55, s14
	ds_read_b32 v55, v55
	v_add_u32_e32 v53, -1, v53
	s_add_i32 s14, s14, 4
	v_cmp_eq_u32_e32 vcc, 0, v53
	v_add_u32_e32 v52, 4, v52
	s_or_b64 s[6:7], vcc, s[6:7]
	s_waitcnt vmcnt(0) lgkmcnt(0)
	v_fmac_f32_e32 v51, v54, v55
	s_andn2_b64 exec, exec, s[6:7]
	s_cbranch_execnz .LBB85_143
; %bb.144:
	s_or_b64 exec, exec, s[6:7]
.LBB85_145:
	s_or_b64 exec, exec, s[12:13]
	v_mov_b32_e32 v52, 0
	ds_read_b32 v52, v52 offset:24
	s_waitcnt lgkmcnt(0)
	v_mul_f32_e32 v51, v51, v52
	buffer_store_dword v51, off, s[0:3], 0 offset:24
.LBB85_146:
	s_or_b64 exec, exec, s[10:11]
	buffer_load_dword v51, off, s[0:3], 0 offset:20
	v_cmp_lt_u32_e64 s[6:7], 5, v0
	s_waitcnt vmcnt(0)
	ds_write_b32 v46, v51
	s_waitcnt lgkmcnt(0)
	; wave barrier
	s_waitcnt lgkmcnt(0)
	s_and_saveexec_b64 s[10:11], s[6:7]
	s_cbranch_execz .LBB85_156
; %bb.147:
	s_andn2_b64 vcc, exec, s[8:9]
	s_cbranch_vccnz .LBB85_149
; %bb.148:
	buffer_load_dword v51, v47, s[0:3], 0 offen
	ds_read_b32 v52, v46
	s_waitcnt vmcnt(0) lgkmcnt(0)
	v_mul_f32_e32 v51, v51, v52
	s_cbranch_execz .LBB85_150
	s_branch .LBB85_151
.LBB85_149:
                                        ; implicit-def: $vgpr51
.LBB85_150:
	ds_read_b32 v51, v46
.LBB85_151:
	s_and_saveexec_b64 s[12:13], s[4:5]
	s_cbranch_execz .LBB85_155
; %bb.152:
	v_add_u32_e32 v52, -6, v0
	s_movk_i32 s14, 0x78
	s_mov_b64 s[4:5], 0
.LBB85_153:                             ; =>This Inner Loop Header: Depth=1
	buffer_load_dword v53, v50, s[0:3], 0 offen
	v_mov_b32_e32 v54, s14
	ds_read_b32 v54, v54
	v_add_u32_e32 v52, -1, v52
	s_add_i32 s14, s14, 4
	v_cmp_eq_u32_e32 vcc, 0, v52
	v_add_u32_e32 v50, 4, v50
	s_or_b64 s[4:5], vcc, s[4:5]
	s_waitcnt vmcnt(0) lgkmcnt(0)
	v_fmac_f32_e32 v51, v53, v54
	s_andn2_b64 exec, exec, s[4:5]
	s_cbranch_execnz .LBB85_153
; %bb.154:
	s_or_b64 exec, exec, s[4:5]
.LBB85_155:
	s_or_b64 exec, exec, s[12:13]
	v_mov_b32_e32 v50, 0
	ds_read_b32 v50, v50 offset:20
	s_waitcnt lgkmcnt(0)
	v_mul_f32_e32 v50, v51, v50
	buffer_store_dword v50, off, s[0:3], 0 offset:20
.LBB85_156:
	s_or_b64 exec, exec, s[10:11]
	buffer_load_dword v50, off, s[0:3], 0 offset:16
	v_cmp_lt_u32_e64 s[4:5], 4, v0
	s_waitcnt vmcnt(0)
	ds_write_b32 v46, v50
	s_waitcnt lgkmcnt(0)
	; wave barrier
	s_waitcnt lgkmcnt(0)
	s_and_saveexec_b64 s[10:11], s[4:5]
	s_cbranch_execz .LBB85_166
; %bb.157:
	s_andn2_b64 vcc, exec, s[8:9]
	s_cbranch_vccnz .LBB85_159
; %bb.158:
	buffer_load_dword v50, v47, s[0:3], 0 offen
	ds_read_b32 v51, v46
	s_waitcnt vmcnt(0) lgkmcnt(0)
	v_mul_f32_e32 v50, v50, v51
	s_cbranch_execz .LBB85_160
	s_branch .LBB85_161
.LBB85_159:
                                        ; implicit-def: $vgpr50
.LBB85_160:
	ds_read_b32 v50, v46
.LBB85_161:
	s_and_saveexec_b64 s[12:13], s[6:7]
	s_cbranch_execz .LBB85_165
; %bb.162:
	v_mov_b32_e32 v51, 0
	v_add_u32_e32 v51, 20, v51
	v_add_u32_e32 v52, -5, v0
	s_movk_i32 s14, 0x74
	s_mov_b64 s[6:7], 0
.LBB85_163:                             ; =>This Inner Loop Header: Depth=1
	buffer_load_dword v53, v51, s[0:3], 0 offen
	v_mov_b32_e32 v54, s14
	ds_read_b32 v54, v54
	v_add_u32_e32 v52, -1, v52
	s_add_i32 s14, s14, 4
	v_cmp_eq_u32_e32 vcc, 0, v52
	v_add_u32_e32 v51, 4, v51
	s_or_b64 s[6:7], vcc, s[6:7]
	s_waitcnt vmcnt(0) lgkmcnt(0)
	v_fmac_f32_e32 v50, v53, v54
	s_andn2_b64 exec, exec, s[6:7]
	s_cbranch_execnz .LBB85_163
; %bb.164:
	s_or_b64 exec, exec, s[6:7]
.LBB85_165:
	s_or_b64 exec, exec, s[12:13]
	v_mov_b32_e32 v51, 0
	ds_read_b32 v51, v51 offset:16
	s_waitcnt lgkmcnt(0)
	v_mul_f32_e32 v50, v50, v51
	buffer_store_dword v50, off, s[0:3], 0 offset:16
.LBB85_166:
	s_or_b64 exec, exec, s[10:11]
	buffer_load_dword v50, off, s[0:3], 0 offset:12
	v_cmp_lt_u32_e64 s[6:7], 3, v0
	s_waitcnt vmcnt(0)
	ds_write_b32 v46, v50
	s_waitcnt lgkmcnt(0)
	; wave barrier
	s_waitcnt lgkmcnt(0)
	s_and_saveexec_b64 s[10:11], s[6:7]
	s_cbranch_execz .LBB85_176
; %bb.167:
	s_andn2_b64 vcc, exec, s[8:9]
	s_cbranch_vccnz .LBB85_169
; %bb.168:
	buffer_load_dword v50, v47, s[0:3], 0 offen
	ds_read_b32 v51, v46
	s_waitcnt vmcnt(0) lgkmcnt(0)
	v_mul_f32_e32 v50, v50, v51
	s_cbranch_execz .LBB85_170
	s_branch .LBB85_171
.LBB85_169:
                                        ; implicit-def: $vgpr50
.LBB85_170:
	ds_read_b32 v50, v46
.LBB85_171:
	s_and_saveexec_b64 s[12:13], s[4:5]
	s_cbranch_execz .LBB85_175
; %bb.172:
	v_add_u32_e32 v51, -4, v0
	s_movk_i32 s14, 0x70
	s_mov_b64 s[4:5], 0
.LBB85_173:                             ; =>This Inner Loop Header: Depth=1
	buffer_load_dword v52, v49, s[0:3], 0 offen
	v_mov_b32_e32 v53, s14
	ds_read_b32 v53, v53
	v_add_u32_e32 v51, -1, v51
	s_add_i32 s14, s14, 4
	v_cmp_eq_u32_e32 vcc, 0, v51
	v_add_u32_e32 v49, 4, v49
	s_or_b64 s[4:5], vcc, s[4:5]
	s_waitcnt vmcnt(0) lgkmcnt(0)
	v_fmac_f32_e32 v50, v52, v53
	s_andn2_b64 exec, exec, s[4:5]
	s_cbranch_execnz .LBB85_173
; %bb.174:
	s_or_b64 exec, exec, s[4:5]
.LBB85_175:
	s_or_b64 exec, exec, s[12:13]
	v_mov_b32_e32 v49, 0
	ds_read_b32 v49, v49 offset:12
	s_waitcnt lgkmcnt(0)
	v_mul_f32_e32 v49, v50, v49
	buffer_store_dword v49, off, s[0:3], 0 offset:12
.LBB85_176:
	s_or_b64 exec, exec, s[10:11]
	buffer_load_dword v49, off, s[0:3], 0 offset:8
	v_cmp_lt_u32_e64 s[4:5], 2, v0
	s_waitcnt vmcnt(0)
	ds_write_b32 v46, v49
	s_waitcnt lgkmcnt(0)
	; wave barrier
	s_waitcnt lgkmcnt(0)
	s_and_saveexec_b64 s[10:11], s[4:5]
	s_cbranch_execz .LBB85_186
; %bb.177:
	s_andn2_b64 vcc, exec, s[8:9]
	s_cbranch_vccnz .LBB85_179
; %bb.178:
	buffer_load_dword v49, v47, s[0:3], 0 offen
	ds_read_b32 v50, v46
	s_waitcnt vmcnt(0) lgkmcnt(0)
	v_mul_f32_e32 v49, v49, v50
	s_cbranch_execz .LBB85_180
	s_branch .LBB85_181
.LBB85_179:
                                        ; implicit-def: $vgpr49
.LBB85_180:
	ds_read_b32 v49, v46
.LBB85_181:
	s_and_saveexec_b64 s[12:13], s[6:7]
	s_cbranch_execz .LBB85_185
; %bb.182:
	v_mov_b32_e32 v50, 0
	v_or_b32_e32 v50, 12, v50
	v_add_u32_e32 v51, -3, v0
	s_movk_i32 s14, 0x6c
	s_mov_b64 s[6:7], 0
.LBB85_183:                             ; =>This Inner Loop Header: Depth=1
	buffer_load_dword v52, v50, s[0:3], 0 offen
	v_mov_b32_e32 v53, s14
	ds_read_b32 v53, v53
	v_add_u32_e32 v51, -1, v51
	s_add_i32 s14, s14, 4
	v_cmp_eq_u32_e32 vcc, 0, v51
	v_add_u32_e32 v50, 4, v50
	s_or_b64 s[6:7], vcc, s[6:7]
	s_waitcnt vmcnt(0) lgkmcnt(0)
	v_fmac_f32_e32 v49, v52, v53
	s_andn2_b64 exec, exec, s[6:7]
	s_cbranch_execnz .LBB85_183
; %bb.184:
	s_or_b64 exec, exec, s[6:7]
.LBB85_185:
	s_or_b64 exec, exec, s[12:13]
	v_mov_b32_e32 v50, 0
	ds_read_b32 v50, v50 offset:8
	s_waitcnt lgkmcnt(0)
	v_mul_f32_e32 v49, v49, v50
	buffer_store_dword v49, off, s[0:3], 0 offset:8
.LBB85_186:
	s_or_b64 exec, exec, s[10:11]
	buffer_load_dword v49, off, s[0:3], 0 offset:4
	v_cmp_lt_u32_e64 s[6:7], 1, v0
	s_waitcnt vmcnt(0)
	ds_write_b32 v46, v49
	s_waitcnt lgkmcnt(0)
	; wave barrier
	s_waitcnt lgkmcnt(0)
	s_and_saveexec_b64 s[10:11], s[6:7]
	s_cbranch_execz .LBB85_196
; %bb.187:
	s_andn2_b64 vcc, exec, s[8:9]
	s_cbranch_vccnz .LBB85_189
; %bb.188:
	buffer_load_dword v49, v47, s[0:3], 0 offen
	ds_read_b32 v50, v46
	s_waitcnt vmcnt(0) lgkmcnt(0)
	v_mul_f32_e32 v49, v49, v50
	s_cbranch_execz .LBB85_190
	s_branch .LBB85_191
.LBB85_189:
                                        ; implicit-def: $vgpr49
.LBB85_190:
	ds_read_b32 v49, v46
.LBB85_191:
	s_and_saveexec_b64 s[12:13], s[4:5]
	s_cbranch_execz .LBB85_195
; %bb.192:
	v_add_u32_e32 v50, -2, v0
	s_movk_i32 s14, 0x68
	s_mov_b64 s[4:5], 0
.LBB85_193:                             ; =>This Inner Loop Header: Depth=1
	buffer_load_dword v51, v48, s[0:3], 0 offen
	v_mov_b32_e32 v52, s14
	ds_read_b32 v52, v52
	v_add_u32_e32 v50, -1, v50
	s_add_i32 s14, s14, 4
	v_cmp_eq_u32_e32 vcc, 0, v50
	v_add_u32_e32 v48, 4, v48
	s_or_b64 s[4:5], vcc, s[4:5]
	s_waitcnt vmcnt(0) lgkmcnt(0)
	v_fmac_f32_e32 v49, v51, v52
	s_andn2_b64 exec, exec, s[4:5]
	s_cbranch_execnz .LBB85_193
; %bb.194:
	s_or_b64 exec, exec, s[4:5]
.LBB85_195:
	s_or_b64 exec, exec, s[12:13]
	v_mov_b32_e32 v48, 0
	ds_read_b32 v48, v48 offset:4
	s_waitcnt lgkmcnt(0)
	v_mul_f32_e32 v48, v49, v48
	buffer_store_dword v48, off, s[0:3], 0 offset:4
.LBB85_196:
	s_or_b64 exec, exec, s[10:11]
	buffer_load_dword v48, off, s[0:3], 0
	v_cmp_ne_u32_e32 vcc, 0, v0
	s_waitcnt vmcnt(0)
	ds_write_b32 v46, v48
	s_waitcnt lgkmcnt(0)
	; wave barrier
	s_waitcnt lgkmcnt(0)
	s_and_saveexec_b64 s[4:5], vcc
	s_cbranch_execz .LBB85_206
; %bb.197:
	s_andn2_b64 vcc, exec, s[8:9]
	s_cbranch_vccnz .LBB85_199
; %bb.198:
	buffer_load_dword v48, v47, s[0:3], 0 offen
	ds_read_b32 v49, v46
	s_waitcnt vmcnt(0) lgkmcnt(0)
	v_mul_f32_e32 v48, v48, v49
	s_cbranch_execz .LBB85_200
	s_branch .LBB85_201
.LBB85_199:
                                        ; implicit-def: $vgpr48
.LBB85_200:
	ds_read_b32 v48, v46
.LBB85_201:
	s_and_saveexec_b64 s[10:11], s[6:7]
	s_cbranch_execz .LBB85_205
; %bb.202:
	v_mov_b32_e32 v49, 0
	v_or_b32_e32 v49, 4, v49
	v_add_u32_e32 v50, -1, v0
	s_movk_i32 s12, 0x64
	s_mov_b64 s[6:7], 0
.LBB85_203:                             ; =>This Inner Loop Header: Depth=1
	buffer_load_dword v51, v49, s[0:3], 0 offen
	v_mov_b32_e32 v52, s12
	ds_read_b32 v52, v52
	v_add_u32_e32 v50, -1, v50
	s_add_i32 s12, s12, 4
	v_cmp_eq_u32_e32 vcc, 0, v50
	v_add_u32_e32 v49, 4, v49
	s_or_b64 s[6:7], vcc, s[6:7]
	s_waitcnt vmcnt(0) lgkmcnt(0)
	v_fmac_f32_e32 v48, v51, v52
	s_andn2_b64 exec, exec, s[6:7]
	s_cbranch_execnz .LBB85_203
; %bb.204:
	s_or_b64 exec, exec, s[6:7]
.LBB85_205:
	s_or_b64 exec, exec, s[10:11]
	v_mov_b32_e32 v49, 0
	ds_read_b32 v49, v49
	s_waitcnt lgkmcnt(0)
	v_mul_f32_e32 v48, v48, v49
	buffer_store_dword v48, off, s[0:3], 0
.LBB85_206:
	s_or_b64 exec, exec, s[4:5]
	s_mov_b64 s[4:5], 0
.LBB85_207:
	s_and_b64 vcc, exec, s[4:5]
	s_cbranch_vccz .LBB85_411
; %bb.208:
	buffer_load_dword v48, off, s[0:3], 0 offset:4
	v_cmp_eq_u32_e64 s[6:7], 0, v0
	s_waitcnt vmcnt(0)
	ds_write_b32 v46, v48
	s_waitcnt lgkmcnt(0)
	; wave barrier
	s_waitcnt lgkmcnt(0)
	s_and_saveexec_b64 s[4:5], s[6:7]
	s_cbranch_execz .LBB85_214
; %bb.209:
	s_and_b64 vcc, exec, s[8:9]
	s_cbranch_vccz .LBB85_211
; %bb.210:
	buffer_load_dword v48, v47, s[0:3], 0 offen
	ds_read_b32 v49, v46
	s_waitcnt vmcnt(0) lgkmcnt(0)
	v_mul_f32_e32 v48, v48, v49
	s_cbranch_execz .LBB85_212
	s_branch .LBB85_213
.LBB85_211:
                                        ; implicit-def: $vgpr48
.LBB85_212:
	ds_read_b32 v48, v46
.LBB85_213:
	v_mov_b32_e32 v49, 0
	ds_read_b32 v49, v49 offset:4
	s_waitcnt lgkmcnt(0)
	v_mul_f32_e32 v48, v48, v49
	buffer_store_dword v48, off, s[0:3], 0 offset:4
.LBB85_214:
	s_or_b64 exec, exec, s[4:5]
	buffer_load_dword v48, off, s[0:3], 0 offset:8
	v_cndmask_b32_e64 v49, 0, 1, s[8:9]
	v_cmp_gt_u32_e32 vcc, 2, v0
	v_cmp_ne_u32_e64 s[4:5], 1, v49
	s_waitcnt vmcnt(0)
	ds_write_b32 v46, v48
	s_waitcnt lgkmcnt(0)
	; wave barrier
	s_waitcnt lgkmcnt(0)
	s_and_saveexec_b64 s[8:9], vcc
	s_cbranch_execz .LBB85_222
; %bb.215:
	s_and_b64 vcc, exec, s[4:5]
	s_cbranch_vccnz .LBB85_217
; %bb.216:
	buffer_load_dword v48, v47, s[0:3], 0 offen
	ds_read_b32 v49, v46
	s_waitcnt vmcnt(0) lgkmcnt(0)
	v_mul_f32_e32 v48, v48, v49
	s_cbranch_execz .LBB85_218
	s_branch .LBB85_219
.LBB85_217:
                                        ; implicit-def: $vgpr48
.LBB85_218:
	ds_read_b32 v48, v46
.LBB85_219:
	s_and_saveexec_b64 s[10:11], s[6:7]
	s_cbranch_execz .LBB85_221
; %bb.220:
	buffer_load_dword v49, v47, s[0:3], 0 offen offset:4
	ds_read_b32 v50, v46 offset:4
	s_waitcnt vmcnt(0) lgkmcnt(0)
	v_fmac_f32_e32 v48, v49, v50
.LBB85_221:
	s_or_b64 exec, exec, s[10:11]
	v_mov_b32_e32 v49, 0
	ds_read_b32 v49, v49 offset:8
	s_waitcnt lgkmcnt(0)
	v_mul_f32_e32 v48, v48, v49
	buffer_store_dword v48, off, s[0:3], 0 offset:8
.LBB85_222:
	s_or_b64 exec, exec, s[8:9]
	buffer_load_dword v48, off, s[0:3], 0 offset:12
	v_cmp_gt_u32_e32 vcc, 3, v0
	s_waitcnt vmcnt(0)
	ds_write_b32 v46, v48
	s_waitcnt lgkmcnt(0)
	; wave barrier
	s_waitcnt lgkmcnt(0)
	s_and_saveexec_b64 s[8:9], vcc
	s_cbranch_execz .LBB85_230
; %bb.223:
	s_and_b64 vcc, exec, s[4:5]
	s_cbranch_vccnz .LBB85_225
; %bb.224:
	buffer_load_dword v48, v47, s[0:3], 0 offen
	ds_read_b32 v49, v46
	s_waitcnt vmcnt(0) lgkmcnt(0)
	v_mul_f32_e32 v48, v48, v49
	s_cbranch_execz .LBB85_226
	s_branch .LBB85_227
.LBB85_225:
                                        ; implicit-def: $vgpr48
.LBB85_226:
	ds_read_b32 v48, v46
.LBB85_227:
	v_cmp_ne_u32_e32 vcc, 2, v0
	s_and_saveexec_b64 s[10:11], vcc
	s_cbranch_execz .LBB85_229
; %bb.228:
	buffer_load_dword v49, v47, s[0:3], 0 offen offset:4
	buffer_load_dword v50, off, s[0:3], 0 offset:8
	v_mov_b32_e32 v51, 0
	ds_read_b32 v52, v46 offset:4
	ds_read_b32 v51, v51 offset:104
	s_waitcnt vmcnt(1) lgkmcnt(1)
	v_fmac_f32_e32 v48, v49, v52
	s_waitcnt vmcnt(0) lgkmcnt(0)
	v_fma_f32 v49, v50, v51, v48
	v_cndmask_b32_e64 v48, v48, v49, s[6:7]
.LBB85_229:
	s_or_b64 exec, exec, s[10:11]
	v_mov_b32_e32 v49, 0
	ds_read_b32 v49, v49 offset:12
	s_waitcnt lgkmcnt(0)
	v_mul_f32_e32 v48, v48, v49
	buffer_store_dword v48, off, s[0:3], 0 offset:12
.LBB85_230:
	s_or_b64 exec, exec, s[8:9]
	buffer_load_dword v48, off, s[0:3], 0 offset:16
	v_cmp_gt_u32_e32 vcc, 4, v0
	s_waitcnt vmcnt(0)
	ds_write_b32 v46, v48
	s_waitcnt lgkmcnt(0)
	; wave barrier
	s_waitcnt lgkmcnt(0)
	s_and_saveexec_b64 s[6:7], vcc
	s_cbranch_execz .LBB85_240
; %bb.231:
	s_and_b64 vcc, exec, s[4:5]
	s_cbranch_vccnz .LBB85_233
; %bb.232:
	buffer_load_dword v48, v47, s[0:3], 0 offen
	ds_read_b32 v49, v46
	s_waitcnt vmcnt(0) lgkmcnt(0)
	v_mul_f32_e32 v48, v48, v49
	s_cbranch_execz .LBB85_234
	s_branch .LBB85_235
.LBB85_233:
                                        ; implicit-def: $vgpr48
.LBB85_234:
	ds_read_b32 v48, v46
.LBB85_235:
	v_cmp_ne_u32_e32 vcc, 3, v0
	s_and_saveexec_b64 s[8:9], vcc
	s_cbranch_execz .LBB85_239
; %bb.236:
	v_mov_b32_e32 v50, 0
	v_add_u32_e32 v49, 0x64, v1
	v_add3_u32 v50, v1, v50, 4
	s_mov_b64 s[10:11], 0
	v_mov_b32_e32 v51, v0
.LBB85_237:                             ; =>This Inner Loop Header: Depth=1
	buffer_load_dword v52, v50, s[0:3], 0 offen
	ds_read_b32 v53, v49
	v_add_u32_e32 v51, 1, v51
	v_cmp_lt_u32_e32 vcc, 2, v51
	v_add_u32_e32 v49, 4, v49
	v_add_u32_e32 v50, 4, v50
	s_or_b64 s[10:11], vcc, s[10:11]
	s_waitcnt vmcnt(0) lgkmcnt(0)
	v_fmac_f32_e32 v48, v52, v53
	s_andn2_b64 exec, exec, s[10:11]
	s_cbranch_execnz .LBB85_237
; %bb.238:
	s_or_b64 exec, exec, s[10:11]
.LBB85_239:
	s_or_b64 exec, exec, s[8:9]
	v_mov_b32_e32 v49, 0
	ds_read_b32 v49, v49 offset:16
	s_waitcnt lgkmcnt(0)
	v_mul_f32_e32 v48, v48, v49
	buffer_store_dword v48, off, s[0:3], 0 offset:16
.LBB85_240:
	s_or_b64 exec, exec, s[6:7]
	buffer_load_dword v48, off, s[0:3], 0 offset:20
	v_cmp_gt_u32_e32 vcc, 5, v0
	s_waitcnt vmcnt(0)
	ds_write_b32 v46, v48
	s_waitcnt lgkmcnt(0)
	; wave barrier
	s_waitcnt lgkmcnt(0)
	s_and_saveexec_b64 s[6:7], vcc
	s_cbranch_execz .LBB85_250
; %bb.241:
	s_and_b64 vcc, exec, s[4:5]
	s_cbranch_vccnz .LBB85_243
; %bb.242:
	buffer_load_dword v48, v47, s[0:3], 0 offen
	ds_read_b32 v49, v46
	s_waitcnt vmcnt(0) lgkmcnt(0)
	v_mul_f32_e32 v48, v48, v49
	s_cbranch_execz .LBB85_244
	s_branch .LBB85_245
.LBB85_243:
                                        ; implicit-def: $vgpr48
.LBB85_244:
	ds_read_b32 v48, v46
.LBB85_245:
	v_cmp_ne_u32_e32 vcc, 4, v0
	s_and_saveexec_b64 s[8:9], vcc
	s_cbranch_execz .LBB85_249
; %bb.246:
	v_mov_b32_e32 v50, 0
	v_add_u32_e32 v49, 0x64, v1
	v_add3_u32 v50, v1, v50, 4
	s_mov_b64 s[10:11], 0
	v_mov_b32_e32 v51, v0
.LBB85_247:                             ; =>This Inner Loop Header: Depth=1
	buffer_load_dword v52, v50, s[0:3], 0 offen
	ds_read_b32 v53, v49
	v_add_u32_e32 v51, 1, v51
	v_cmp_lt_u32_e32 vcc, 3, v51
	v_add_u32_e32 v49, 4, v49
	v_add_u32_e32 v50, 4, v50
	s_or_b64 s[10:11], vcc, s[10:11]
	s_waitcnt vmcnt(0) lgkmcnt(0)
	v_fmac_f32_e32 v48, v52, v53
	s_andn2_b64 exec, exec, s[10:11]
	s_cbranch_execnz .LBB85_247
; %bb.248:
	s_or_b64 exec, exec, s[10:11]
.LBB85_249:
	s_or_b64 exec, exec, s[8:9]
	v_mov_b32_e32 v49, 0
	ds_read_b32 v49, v49 offset:20
	s_waitcnt lgkmcnt(0)
	v_mul_f32_e32 v48, v48, v49
	buffer_store_dword v48, off, s[0:3], 0 offset:20
.LBB85_250:
	;; [unrolled: 56-line block ×16, first 2 shown]
	s_or_b64 exec, exec, s[6:7]
	buffer_load_dword v48, off, s[0:3], 0 offset:80
	v_cmp_gt_u32_e64 s[6:7], 20, v0
	s_waitcnt vmcnt(0)
	ds_write_b32 v46, v48
	s_waitcnt lgkmcnt(0)
	; wave barrier
	s_waitcnt lgkmcnt(0)
	s_and_saveexec_b64 s[8:9], s[6:7]
	s_cbranch_execz .LBB85_400
; %bb.391:
	s_and_b64 vcc, exec, s[4:5]
	s_cbranch_vccnz .LBB85_393
; %bb.392:
	buffer_load_dword v48, v47, s[0:3], 0 offen
	ds_read_b32 v49, v46
	s_waitcnt vmcnt(0) lgkmcnt(0)
	v_mul_f32_e32 v48, v48, v49
	s_cbranch_execz .LBB85_394
	s_branch .LBB85_395
.LBB85_393:
                                        ; implicit-def: $vgpr48
.LBB85_394:
	ds_read_b32 v48, v46
.LBB85_395:
	v_cmp_ne_u32_e32 vcc, 19, v0
	s_and_saveexec_b64 s[10:11], vcc
	s_cbranch_execz .LBB85_399
; %bb.396:
	v_mov_b32_e32 v50, 0
	v_add_u32_e32 v49, 0x64, v1
	v_add3_u32 v50, v1, v50, 4
	s_mov_b64 s[12:13], 0
	v_mov_b32_e32 v51, v0
.LBB85_397:                             ; =>This Inner Loop Header: Depth=1
	buffer_load_dword v52, v50, s[0:3], 0 offen
	ds_read_b32 v53, v49
	v_add_u32_e32 v51, 1, v51
	v_cmp_lt_u32_e32 vcc, 18, v51
	v_add_u32_e32 v49, 4, v49
	v_add_u32_e32 v50, 4, v50
	s_or_b64 s[12:13], vcc, s[12:13]
	s_waitcnt vmcnt(0) lgkmcnt(0)
	v_fmac_f32_e32 v48, v52, v53
	s_andn2_b64 exec, exec, s[12:13]
	s_cbranch_execnz .LBB85_397
; %bb.398:
	s_or_b64 exec, exec, s[12:13]
.LBB85_399:
	s_or_b64 exec, exec, s[10:11]
	v_mov_b32_e32 v49, 0
	ds_read_b32 v49, v49 offset:80
	s_waitcnt lgkmcnt(0)
	v_mul_f32_e32 v48, v48, v49
	buffer_store_dword v48, off, s[0:3], 0 offset:80
.LBB85_400:
	s_or_b64 exec, exec, s[8:9]
	buffer_load_dword v48, off, s[0:3], 0 offset:84
	v_cmp_ne_u32_e32 vcc, 21, v0
	s_waitcnt vmcnt(0)
	ds_write_b32 v46, v48
	s_waitcnt lgkmcnt(0)
	; wave barrier
	s_waitcnt lgkmcnt(0)
	s_and_saveexec_b64 s[8:9], vcc
	s_cbranch_execz .LBB85_410
; %bb.401:
	s_and_b64 vcc, exec, s[4:5]
	s_cbranch_vccnz .LBB85_403
; %bb.402:
	buffer_load_dword v47, v47, s[0:3], 0 offen
	ds_read_b32 v48, v46
	s_waitcnt vmcnt(0) lgkmcnt(0)
	v_mul_f32_e32 v47, v47, v48
	s_cbranch_execz .LBB85_404
	s_branch .LBB85_405
.LBB85_403:
                                        ; implicit-def: $vgpr47
.LBB85_404:
	ds_read_b32 v47, v46
.LBB85_405:
	s_and_saveexec_b64 s[4:5], s[6:7]
	s_cbranch_execz .LBB85_409
; %bb.406:
	v_mov_b32_e32 v48, 0
	v_add_u32_e32 v46, 0x64, v1
	v_add3_u32 v1, v1, v48, 4
	s_mov_b64 s[6:7], 0
.LBB85_407:                             ; =>This Inner Loop Header: Depth=1
	buffer_load_dword v48, v1, s[0:3], 0 offen
	ds_read_b32 v49, v46
	v_add_u32_e32 v0, 1, v0
	v_cmp_lt_u32_e32 vcc, 19, v0
	v_add_u32_e32 v46, 4, v46
	v_add_u32_e32 v1, 4, v1
	s_or_b64 s[6:7], vcc, s[6:7]
	s_waitcnt vmcnt(0) lgkmcnt(0)
	v_fmac_f32_e32 v47, v48, v49
	s_andn2_b64 exec, exec, s[6:7]
	s_cbranch_execnz .LBB85_407
; %bb.408:
	s_or_b64 exec, exec, s[6:7]
.LBB85_409:
	s_or_b64 exec, exec, s[4:5]
	v_mov_b32_e32 v0, 0
	ds_read_b32 v0, v0 offset:84
	s_waitcnt lgkmcnt(0)
	v_mul_f32_e32 v0, v47, v0
	buffer_store_dword v0, off, s[0:3], 0 offset:84
.LBB85_410:
	s_or_b64 exec, exec, s[8:9]
.LBB85_411:
	buffer_load_dword v0, off, s[0:3], 0
	buffer_load_dword v1, off, s[0:3], 0 offset:4
	buffer_load_dword v46, off, s[0:3], 0 offset:8
	;; [unrolled: 1-line block ×15, first 2 shown]
	s_waitcnt vmcnt(15)
	global_store_dword v[2:3], v0, off
	s_waitcnt vmcnt(15)
	global_store_dword v[4:5], v1, off
	buffer_load_dword v0, off, s[0:3], 0 offset:64
	s_nop 0
	buffer_load_dword v1, off, s[0:3], 0 offset:68
	buffer_load_dword v2, off, s[0:3], 0 offset:72
	;; [unrolled: 1-line block ×5, first 2 shown]
	s_waitcnt vmcnt(21)
	global_store_dword v[6:7], v46, off
	s_waitcnt vmcnt(21)
	global_store_dword v[8:9], v47, off
	;; [unrolled: 2-line block ×20, first 2 shown]
.LBB85_412:
	s_endpgm
	.section	.rodata,"a",@progbits
	.p2align	6, 0x0
	.amdhsa_kernel _ZN9rocsolver6v33100L18trti2_kernel_smallILi22EfPKPfEEv13rocblas_fill_17rocblas_diagonal_T1_iil
		.amdhsa_group_segment_fixed_size 184
		.amdhsa_private_segment_fixed_size 96
		.amdhsa_kernarg_size 32
		.amdhsa_user_sgpr_count 8
		.amdhsa_user_sgpr_private_segment_buffer 1
		.amdhsa_user_sgpr_dispatch_ptr 0
		.amdhsa_user_sgpr_queue_ptr 0
		.amdhsa_user_sgpr_kernarg_segment_ptr 1
		.amdhsa_user_sgpr_dispatch_id 0
		.amdhsa_user_sgpr_flat_scratch_init 1
		.amdhsa_user_sgpr_kernarg_preload_length 0
		.amdhsa_user_sgpr_kernarg_preload_offset 0
		.amdhsa_user_sgpr_private_segment_size 0
		.amdhsa_uses_dynamic_stack 0
		.amdhsa_system_sgpr_private_segment_wavefront_offset 1
		.amdhsa_system_sgpr_workgroup_id_x 1
		.amdhsa_system_sgpr_workgroup_id_y 0
		.amdhsa_system_sgpr_workgroup_id_z 0
		.amdhsa_system_sgpr_workgroup_info 0
		.amdhsa_system_vgpr_workitem_id 0
		.amdhsa_next_free_vgpr 62
		.amdhsa_next_free_sgpr 16
		.amdhsa_accum_offset 64
		.amdhsa_reserve_vcc 1
		.amdhsa_reserve_flat_scratch 0
		.amdhsa_float_round_mode_32 0
		.amdhsa_float_round_mode_16_64 0
		.amdhsa_float_denorm_mode_32 3
		.amdhsa_float_denorm_mode_16_64 3
		.amdhsa_dx10_clamp 1
		.amdhsa_ieee_mode 1
		.amdhsa_fp16_overflow 0
		.amdhsa_tg_split 0
		.amdhsa_exception_fp_ieee_invalid_op 0
		.amdhsa_exception_fp_denorm_src 0
		.amdhsa_exception_fp_ieee_div_zero 0
		.amdhsa_exception_fp_ieee_overflow 0
		.amdhsa_exception_fp_ieee_underflow 0
		.amdhsa_exception_fp_ieee_inexact 0
		.amdhsa_exception_int_div_zero 0
	.end_amdhsa_kernel
	.section	.text._ZN9rocsolver6v33100L18trti2_kernel_smallILi22EfPKPfEEv13rocblas_fill_17rocblas_diagonal_T1_iil,"axG",@progbits,_ZN9rocsolver6v33100L18trti2_kernel_smallILi22EfPKPfEEv13rocblas_fill_17rocblas_diagonal_T1_iil,comdat
.Lfunc_end85:
	.size	_ZN9rocsolver6v33100L18trti2_kernel_smallILi22EfPKPfEEv13rocblas_fill_17rocblas_diagonal_T1_iil, .Lfunc_end85-_ZN9rocsolver6v33100L18trti2_kernel_smallILi22EfPKPfEEv13rocblas_fill_17rocblas_diagonal_T1_iil
                                        ; -- End function
	.section	.AMDGPU.csdata,"",@progbits
; Kernel info:
; codeLenInByte = 10540
; NumSgprs: 20
; NumVgprs: 62
; NumAgprs: 0
; TotalNumVgprs: 62
; ScratchSize: 96
; MemoryBound: 0
; FloatMode: 240
; IeeeMode: 1
; LDSByteSize: 184 bytes/workgroup (compile time only)
; SGPRBlocks: 2
; VGPRBlocks: 7
; NumSGPRsForWavesPerEU: 20
; NumVGPRsForWavesPerEU: 62
; AccumOffset: 64
; Occupancy: 8
; WaveLimiterHint : 1
; COMPUTE_PGM_RSRC2:SCRATCH_EN: 1
; COMPUTE_PGM_RSRC2:USER_SGPR: 8
; COMPUTE_PGM_RSRC2:TRAP_HANDLER: 0
; COMPUTE_PGM_RSRC2:TGID_X_EN: 1
; COMPUTE_PGM_RSRC2:TGID_Y_EN: 0
; COMPUTE_PGM_RSRC2:TGID_Z_EN: 0
; COMPUTE_PGM_RSRC2:TIDIG_COMP_CNT: 0
; COMPUTE_PGM_RSRC3_GFX90A:ACCUM_OFFSET: 15
; COMPUTE_PGM_RSRC3_GFX90A:TG_SPLIT: 0
	.section	.text._ZN9rocsolver6v33100L18trti2_kernel_smallILi23EfPKPfEEv13rocblas_fill_17rocblas_diagonal_T1_iil,"axG",@progbits,_ZN9rocsolver6v33100L18trti2_kernel_smallILi23EfPKPfEEv13rocblas_fill_17rocblas_diagonal_T1_iil,comdat
	.globl	_ZN9rocsolver6v33100L18trti2_kernel_smallILi23EfPKPfEEv13rocblas_fill_17rocblas_diagonal_T1_iil ; -- Begin function _ZN9rocsolver6v33100L18trti2_kernel_smallILi23EfPKPfEEv13rocblas_fill_17rocblas_diagonal_T1_iil
	.p2align	8
	.type	_ZN9rocsolver6v33100L18trti2_kernel_smallILi23EfPKPfEEv13rocblas_fill_17rocblas_diagonal_T1_iil,@function
_ZN9rocsolver6v33100L18trti2_kernel_smallILi23EfPKPfEEv13rocblas_fill_17rocblas_diagonal_T1_iil: ; @_ZN9rocsolver6v33100L18trti2_kernel_smallILi23EfPKPfEEv13rocblas_fill_17rocblas_diagonal_T1_iil
; %bb.0:
	s_add_u32 s0, s0, s9
	s_addc_u32 s1, s1, 0
	v_cmp_gt_u32_e32 vcc, 23, v0
	s_and_saveexec_b64 s[6:7], vcc
	s_cbranch_execz .LBB86_432
; %bb.1:
	s_load_dwordx2 s[6:7], s[4:5], 0x10
	s_load_dwordx4 s[12:15], s[4:5], 0x0
	s_ashr_i32 s9, s8, 31
	s_lshl_b64 s[4:5], s[8:9], 3
	v_lshlrev_b32_e32 v1, 2, v0
	s_waitcnt lgkmcnt(0)
	s_ashr_i32 s9, s6, 31
	s_add_u32 s4, s14, s4
	s_addc_u32 s5, s15, s5
	s_load_dwordx2 s[4:5], s[4:5], 0x0
	s_mov_b32 s8, s6
	s_lshl_b64 s[8:9], s[8:9], 2
	s_waitcnt lgkmcnt(0)
	s_add_u32 s4, s4, s8
	s_addc_u32 s5, s5, s9
	v_mov_b32_e32 v2, s5
	v_add_co_u32_e32 v4, vcc, s4, v1
	s_ashr_i32 s9, s7, 31
	s_mov_b32 s8, s7
	s_add_i32 s6, s7, s7
	v_addc_co_u32_e32 v5, vcc, 0, v2, vcc
	s_lshl_b64 s[8:9], s[8:9], 2
	v_add_u32_e32 v8, s6, v0
	v_mov_b32_e32 v3, s9
	v_add_co_u32_e32 v2, vcc, s8, v4
	v_ashrrev_i32_e32 v9, 31, v8
	v_addc_co_u32_e32 v3, vcc, v5, v3, vcc
	v_lshlrev_b64 v[6:7], 2, v[8:9]
	v_mov_b32_e32 v9, s5
	v_add_co_u32_e32 v6, vcc, s4, v6
	global_load_dword v31, v1, s[4:5]
	v_addc_co_u32_e32 v7, vcc, v9, v7, vcc
	global_load_dword v33, v[2:3], off
	global_load_dword v35, v[6:7], off
	v_add_u32_e32 v10, s7, v8
	v_ashrrev_i32_e32 v11, 31, v10
	v_add_u32_e32 v12, s7, v10
	v_lshlrev_b64 v[8:9], 2, v[10:11]
	v_add_u32_e32 v14, s7, v12
	v_mov_b32_e32 v11, s5
	v_add_co_u32_e32 v8, vcc, s4, v8
	v_ashrrev_i32_e32 v13, 31, v12
	v_add_u32_e32 v16, s7, v14
	v_addc_co_u32_e32 v9, vcc, v11, v9, vcc
	v_lshlrev_b64 v[10:11], 2, v[12:13]
	v_add_u32_e32 v18, s7, v16
	v_mov_b32_e32 v13, s5
	v_add_co_u32_e32 v10, vcc, s4, v10
	v_ashrrev_i32_e32 v15, 31, v14
	v_add_u32_e32 v20, s7, v18
	v_addc_co_u32_e32 v11, vcc, v13, v11, vcc
	;; [unrolled: 7-line block ×8, first 2 shown]
	v_lshlrev_b64 v[24:25], 2, v[26:27]
	v_add_u32_e32 v28, s7, v46
	v_mov_b32_e32 v27, s5
	v_add_co_u32_e32 v24, vcc, s4, v24
	v_ashrrev_i32_e32 v29, 31, v28
	v_addc_co_u32_e32 v25, vcc, v27, v25, vcc
	v_lshlrev_b64 v[26:27], 2, v[28:29]
	v_mov_b32_e32 v29, s5
	v_add_co_u32_e32 v26, vcc, s4, v26
	v_add_u32_e32 v28, s7, v28
	v_addc_co_u32_e32 v27, vcc, v29, v27, vcc
	v_ashrrev_i32_e32 v29, 31, v28
	v_lshlrev_b64 v[28:29], 2, v[28:29]
	v_mov_b32_e32 v37, s5
	v_add_co_u32_e32 v28, vcc, s4, v28
	v_addc_co_u32_e32 v29, vcc, v37, v29, vcc
	global_load_dword v48, v[8:9], off
	global_load_dword v49, v[10:11], off
	;; [unrolled: 1-line block ×7, first 2 shown]
	s_waitcnt vmcnt(9)
	buffer_store_dword v31, off, s[0:3], 0
	s_waitcnt vmcnt(9)
	buffer_store_dword v33, off, s[0:3], 0 offset:4
	s_waitcnt vmcnt(9)
	buffer_store_dword v35, off, s[0:3], 0 offset:8
	v_ashrrev_i32_e32 v31, 31, v30
	v_lshlrev_b64 v[30:31], 2, v[30:31]
	v_mov_b32_e32 v33, s5
	v_add_co_u32_e32 v30, vcc, s4, v30
	v_addc_co_u32_e32 v31, vcc, v33, v31, vcc
	v_ashrrev_i32_e32 v33, 31, v32
	v_lshlrev_b64 v[32:33], 2, v[32:33]
	v_mov_b32_e32 v35, s5
	v_add_co_u32_e32 v32, vcc, s4, v32
	v_addc_co_u32_e32 v33, vcc, v35, v33, vcc
	v_ashrrev_i32_e32 v35, 31, v34
	v_lshlrev_b64 v[34:35], 2, v[34:35]
	v_add_co_u32_e32 v34, vcc, s4, v34
	v_addc_co_u32_e32 v35, vcc, v37, v35, vcc
	v_ashrrev_i32_e32 v37, 31, v36
	v_lshlrev_b64 v[36:37], 2, v[36:37]
	v_mov_b32_e32 v39, s5
	v_add_co_u32_e32 v36, vcc, s4, v36
	v_addc_co_u32_e32 v37, vcc, v39, v37, vcc
	v_ashrrev_i32_e32 v39, 31, v38
	v_lshlrev_b64 v[38:39], 2, v[38:39]
	v_mov_b32_e32 v41, s5
	;; [unrolled: 5-line block ×6, first 2 shown]
	v_add_co_u32_e32 v46, vcc, s4, v46
	global_load_dword v55, v[20:21], off
	global_load_dword v56, v[22:23], off
	;; [unrolled: 1-line block ×8, first 2 shown]
	v_addc_co_u32_e32 v47, vcc, v59, v47, vcc
	global_load_dword v64, v[40:41], off
	global_load_dword v65, v[42:43], off
	;; [unrolled: 1-line block ×5, first 2 shown]
	s_cmpk_lg_i32 s13, 0x84
	s_waitcnt vmcnt(22)
	buffer_store_dword v48, off, s[0:3], 0 offset:12
	s_waitcnt vmcnt(22)
	buffer_store_dword v49, off, s[0:3], 0 offset:16
	;; [unrolled: 2-line block ×8, first 2 shown]
	buffer_store_dword v56, off, s[0:3], 0 offset:40
	v_mov_b32_e32 v59, 0
	s_cselect_b64 s[10:11], -1, 0
	s_cmpk_eq_i32 s13, 0x84
	v_mov_b32_e32 v48, -1.0
	s_waitcnt vmcnt(18)
	buffer_store_dword v58, off, s[0:3], 0 offset:48
	s_waitcnt vmcnt(18)
	buffer_store_dword v60, off, s[0:3], 0 offset:52
	;; [unrolled: 2-line block ×10, first 2 shown]
	buffer_store_dword v54, off, s[0:3], 0 offset:88
	s_cbranch_scc1 .LBB86_3
; %bb.2:
	v_lshl_add_u32 v48, v0, 2, v59
	buffer_load_dword v49, v48, s[0:3], 0 offen
	s_waitcnt vmcnt(0)
	v_div_scale_f32 v50, s[4:5], v49, v49, 1.0
	v_rcp_f32_e32 v51, v50
	v_div_scale_f32 v52, vcc, 1.0, v49, 1.0
	v_fma_f32 v53, -v50, v51, 1.0
	v_fmac_f32_e32 v51, v53, v51
	v_mul_f32_e32 v53, v52, v51
	v_fma_f32 v54, -v50, v53, v52
	v_fmac_f32_e32 v53, v54, v51
	v_fma_f32 v50, -v50, v53, v52
	v_div_fmas_f32 v50, v50, v51, v53
	v_div_fixup_f32 v49, v50, v49, 1.0
	buffer_store_dword v49, v48, s[0:3], 0 offen
	v_xor_b32_e32 v48, 0x80000000, v49
.LBB86_3:
	ds_write_b32 v1, v48
	s_cmpk_eq_i32 s12, 0x79
	v_add_u32_e32 v48, 0x60, v1
	v_add_u32_e32 v49, 0, v1
	s_mov_b64 s[4:5], -1
	s_cbranch_scc1 .LBB86_217
; %bb.4:
	buffer_load_dword v50, off, s[0:3], 0 offset:84
	v_cmp_eq_u32_e64 s[4:5], 22, v0
	s_waitcnt vmcnt(0)
	ds_write_b32 v48, v50
	s_waitcnt lgkmcnt(0)
	; wave barrier
	s_waitcnt lgkmcnt(0)
	s_and_saveexec_b64 s[6:7], s[4:5]
	s_cbranch_execz .LBB86_10
; %bb.5:
	s_and_b64 vcc, exec, s[10:11]
	s_cbranch_vccz .LBB86_7
; %bb.6:
	buffer_load_dword v50, v49, s[0:3], 0 offen
	ds_read_b32 v51, v48
	s_waitcnt vmcnt(0) lgkmcnt(0)
	v_mul_f32_e32 v50, v50, v51
	s_cbranch_execz .LBB86_8
	s_branch .LBB86_9
.LBB86_7:
                                        ; implicit-def: $vgpr50
.LBB86_8:
	ds_read_b32 v50, v48
.LBB86_9:
	v_mov_b32_e32 v51, 0
	ds_read_b32 v51, v51 offset:84
	s_waitcnt lgkmcnt(0)
	v_mul_f32_e32 v50, v50, v51
	buffer_store_dword v50, off, s[0:3], 0 offset:84
.LBB86_10:
	s_or_b64 exec, exec, s[6:7]
	buffer_load_dword v60, off, s[0:3], 0 offset:80
	v_or_b32_e32 v50, 8, v59
	v_add_u32_e32 v51, 16, v59
	v_add_u32_e32 v52, 24, v59
	;; [unrolled: 1-line block ×9, first 2 shown]
	v_cmp_lt_u32_e64 s[8:9], 20, v0
	s_waitcnt vmcnt(0)
	ds_write_b32 v48, v60
	s_waitcnt lgkmcnt(0)
	; wave barrier
	s_waitcnt lgkmcnt(0)
	s_and_saveexec_b64 s[6:7], s[8:9]
	s_cbranch_execz .LBB86_16
; %bb.11:
	s_andn2_b64 vcc, exec, s[10:11]
	s_cbranch_vccnz .LBB86_13
; %bb.12:
	buffer_load_dword v60, v49, s[0:3], 0 offen
	ds_read_b32 v61, v48
	s_waitcnt vmcnt(0) lgkmcnt(0)
	v_mul_f32_e32 v60, v60, v61
	s_cbranch_execz .LBB86_14
	s_branch .LBB86_15
.LBB86_13:
                                        ; implicit-def: $vgpr60
.LBB86_14:
	ds_read_b32 v60, v48
.LBB86_15:
	buffer_load_dword v61, off, s[0:3], 0 offset:84
	v_mov_b32_e32 v62, 0
	ds_read2_b32 v[62:63], v62 offset0:20 offset1:45
	s_waitcnt vmcnt(0) lgkmcnt(0)
	v_fma_f32 v61, v61, v63, v60
	v_cndmask_b32_e64 v60, v60, v61, s[4:5]
	v_mul_f32_e32 v60, v60, v62
	buffer_store_dword v60, off, s[0:3], 0 offset:80
.LBB86_16:
	s_or_b64 exec, exec, s[6:7]
	buffer_load_dword v60, off, s[0:3], 0 offset:76
	v_cmp_lt_u32_e64 s[6:7], 19, v0
	s_waitcnt vmcnt(0)
	ds_write_b32 v48, v60
	s_waitcnt lgkmcnt(0)
	; wave barrier
	s_waitcnt lgkmcnt(0)
	s_and_saveexec_b64 s[4:5], s[6:7]
	s_cbranch_execz .LBB86_26
; %bb.17:
	s_andn2_b64 vcc, exec, s[10:11]
	s_cbranch_vccnz .LBB86_19
; %bb.18:
	buffer_load_dword v60, v49, s[0:3], 0 offen
	ds_read_b32 v61, v48
	s_waitcnt vmcnt(0) lgkmcnt(0)
	v_mul_f32_e32 v60, v60, v61
	s_cbranch_execz .LBB86_20
	s_branch .LBB86_21
.LBB86_19:
                                        ; implicit-def: $vgpr60
.LBB86_20:
	ds_read_b32 v60, v48
.LBB86_21:
	s_and_saveexec_b64 s[12:13], s[8:9]
	s_cbranch_execz .LBB86_25
; %bb.22:
	v_subrev_u32_e32 v61, 20, v0
	s_movk_i32 s14, 0xb0
	s_mov_b64 s[8:9], 0
.LBB86_23:                              ; =>This Inner Loop Header: Depth=1
	buffer_load_dword v62, v59, s[0:3], 0 offen
	v_mov_b32_e32 v63, s14
	ds_read_b32 v63, v63
	v_add_u32_e32 v61, -1, v61
	s_add_i32 s14, s14, 4
	v_cmp_eq_u32_e32 vcc, 0, v61
	v_add_u32_e32 v59, 4, v59
	s_or_b64 s[8:9], vcc, s[8:9]
	s_waitcnt vmcnt(0) lgkmcnt(0)
	v_fmac_f32_e32 v60, v62, v63
	s_andn2_b64 exec, exec, s[8:9]
	s_cbranch_execnz .LBB86_23
; %bb.24:
	s_or_b64 exec, exec, s[8:9]
.LBB86_25:
	s_or_b64 exec, exec, s[12:13]
	v_mov_b32_e32 v59, 0
	ds_read_b32 v59, v59 offset:76
	s_waitcnt lgkmcnt(0)
	v_mul_f32_e32 v59, v60, v59
	buffer_store_dword v59, off, s[0:3], 0 offset:76
.LBB86_26:
	s_or_b64 exec, exec, s[4:5]
	buffer_load_dword v59, off, s[0:3], 0 offset:72
	v_cmp_lt_u32_e64 s[4:5], 18, v0
	s_waitcnt vmcnt(0)
	ds_write_b32 v48, v59
	s_waitcnt lgkmcnt(0)
	; wave barrier
	s_waitcnt lgkmcnt(0)
	s_and_saveexec_b64 s[8:9], s[4:5]
	s_cbranch_execz .LBB86_36
; %bb.27:
	s_andn2_b64 vcc, exec, s[10:11]
	s_cbranch_vccnz .LBB86_29
; %bb.28:
	buffer_load_dword v59, v49, s[0:3], 0 offen
	ds_read_b32 v60, v48
	s_waitcnt vmcnt(0) lgkmcnt(0)
	v_mul_f32_e32 v59, v59, v60
	s_cbranch_execz .LBB86_30
	s_branch .LBB86_31
.LBB86_29:
                                        ; implicit-def: $vgpr59
.LBB86_30:
	ds_read_b32 v59, v48
.LBB86_31:
	s_and_saveexec_b64 s[12:13], s[6:7]
	s_cbranch_execz .LBB86_35
; %bb.32:
	v_mov_b32_e32 v60, 0
	v_add_u32_e32 v60, 0x4c, v60
	v_subrev_u32_e32 v61, 19, v0
	s_movk_i32 s14, 0xac
	s_mov_b64 s[6:7], 0
.LBB86_33:                              ; =>This Inner Loop Header: Depth=1
	buffer_load_dword v62, v60, s[0:3], 0 offen
	v_mov_b32_e32 v63, s14
	ds_read_b32 v63, v63
	v_add_u32_e32 v61, -1, v61
	s_add_i32 s14, s14, 4
	v_cmp_eq_u32_e32 vcc, 0, v61
	v_add_u32_e32 v60, 4, v60
	s_or_b64 s[6:7], vcc, s[6:7]
	s_waitcnt vmcnt(0) lgkmcnt(0)
	v_fmac_f32_e32 v59, v62, v63
	s_andn2_b64 exec, exec, s[6:7]
	s_cbranch_execnz .LBB86_33
; %bb.34:
	s_or_b64 exec, exec, s[6:7]
.LBB86_35:
	s_or_b64 exec, exec, s[12:13]
	v_mov_b32_e32 v60, 0
	ds_read_b32 v60, v60 offset:72
	s_waitcnt lgkmcnt(0)
	v_mul_f32_e32 v59, v59, v60
	buffer_store_dword v59, off, s[0:3], 0 offset:72
.LBB86_36:
	s_or_b64 exec, exec, s[8:9]
	buffer_load_dword v59, off, s[0:3], 0 offset:68
	v_cmp_lt_u32_e64 s[6:7], 17, v0
	s_waitcnt vmcnt(0)
	ds_write_b32 v48, v59
	s_waitcnt lgkmcnt(0)
	; wave barrier
	s_waitcnt lgkmcnt(0)
	s_and_saveexec_b64 s[8:9], s[6:7]
	s_cbranch_execz .LBB86_46
; %bb.37:
	s_andn2_b64 vcc, exec, s[10:11]
	s_cbranch_vccnz .LBB86_39
; %bb.38:
	buffer_load_dword v59, v49, s[0:3], 0 offen
	ds_read_b32 v60, v48
	s_waitcnt vmcnt(0) lgkmcnt(0)
	v_mul_f32_e32 v59, v59, v60
	s_cbranch_execz .LBB86_40
	s_branch .LBB86_41
.LBB86_39:
                                        ; implicit-def: $vgpr59
.LBB86_40:
	ds_read_b32 v59, v48
.LBB86_41:
	s_and_saveexec_b64 s[12:13], s[4:5]
	s_cbranch_execz .LBB86_45
; %bb.42:
	v_subrev_u32_e32 v60, 18, v0
	s_movk_i32 s14, 0xa8
	s_mov_b64 s[4:5], 0
.LBB86_43:                              ; =>This Inner Loop Header: Depth=1
	buffer_load_dword v61, v58, s[0:3], 0 offen
	v_mov_b32_e32 v62, s14
	ds_read_b32 v62, v62
	v_add_u32_e32 v60, -1, v60
	s_add_i32 s14, s14, 4
	v_cmp_eq_u32_e32 vcc, 0, v60
	v_add_u32_e32 v58, 4, v58
	s_or_b64 s[4:5], vcc, s[4:5]
	s_waitcnt vmcnt(0) lgkmcnt(0)
	v_fmac_f32_e32 v59, v61, v62
	s_andn2_b64 exec, exec, s[4:5]
	s_cbranch_execnz .LBB86_43
; %bb.44:
	s_or_b64 exec, exec, s[4:5]
.LBB86_45:
	s_or_b64 exec, exec, s[12:13]
	v_mov_b32_e32 v58, 0
	ds_read_b32 v58, v58 offset:68
	s_waitcnt lgkmcnt(0)
	v_mul_f32_e32 v58, v59, v58
	buffer_store_dword v58, off, s[0:3], 0 offset:68
.LBB86_46:
	s_or_b64 exec, exec, s[8:9]
	buffer_load_dword v58, off, s[0:3], 0 offset:64
	v_cmp_lt_u32_e64 s[4:5], 16, v0
	s_waitcnt vmcnt(0)
	ds_write_b32 v48, v58
	s_waitcnt lgkmcnt(0)
	; wave barrier
	s_waitcnt lgkmcnt(0)
	s_and_saveexec_b64 s[8:9], s[4:5]
	s_cbranch_execz .LBB86_56
; %bb.47:
	s_andn2_b64 vcc, exec, s[10:11]
	s_cbranch_vccnz .LBB86_49
; %bb.48:
	buffer_load_dword v58, v49, s[0:3], 0 offen
	ds_read_b32 v59, v48
	s_waitcnt vmcnt(0) lgkmcnt(0)
	v_mul_f32_e32 v58, v58, v59
	s_cbranch_execz .LBB86_50
	s_branch .LBB86_51
.LBB86_49:
                                        ; implicit-def: $vgpr58
.LBB86_50:
	ds_read_b32 v58, v48
.LBB86_51:
	s_and_saveexec_b64 s[12:13], s[6:7]
	s_cbranch_execz .LBB86_55
; %bb.52:
	v_mov_b32_e32 v59, 0
	v_add_u32_e32 v59, 0x44, v59
	v_subrev_u32_e32 v60, 17, v0
	s_movk_i32 s14, 0xa4
	s_mov_b64 s[6:7], 0
.LBB86_53:                              ; =>This Inner Loop Header: Depth=1
	buffer_load_dword v61, v59, s[0:3], 0 offen
	v_mov_b32_e32 v62, s14
	ds_read_b32 v62, v62
	v_add_u32_e32 v60, -1, v60
	s_add_i32 s14, s14, 4
	v_cmp_eq_u32_e32 vcc, 0, v60
	v_add_u32_e32 v59, 4, v59
	s_or_b64 s[6:7], vcc, s[6:7]
	s_waitcnt vmcnt(0) lgkmcnt(0)
	v_fmac_f32_e32 v58, v61, v62
	s_andn2_b64 exec, exec, s[6:7]
	s_cbranch_execnz .LBB86_53
; %bb.54:
	s_or_b64 exec, exec, s[6:7]
.LBB86_55:
	s_or_b64 exec, exec, s[12:13]
	v_mov_b32_e32 v59, 0
	ds_read_b32 v59, v59 offset:64
	s_waitcnt lgkmcnt(0)
	v_mul_f32_e32 v58, v58, v59
	buffer_store_dword v58, off, s[0:3], 0 offset:64
.LBB86_56:
	s_or_b64 exec, exec, s[8:9]
	buffer_load_dword v58, off, s[0:3], 0 offset:60
	v_cmp_lt_u32_e64 s[6:7], 15, v0
	s_waitcnt vmcnt(0)
	ds_write_b32 v48, v58
	s_waitcnt lgkmcnt(0)
	; wave barrier
	s_waitcnt lgkmcnt(0)
	s_and_saveexec_b64 s[8:9], s[6:7]
	s_cbranch_execz .LBB86_66
; %bb.57:
	s_andn2_b64 vcc, exec, s[10:11]
	s_cbranch_vccnz .LBB86_59
; %bb.58:
	buffer_load_dword v58, v49, s[0:3], 0 offen
	ds_read_b32 v59, v48
	s_waitcnt vmcnt(0) lgkmcnt(0)
	v_mul_f32_e32 v58, v58, v59
	s_cbranch_execz .LBB86_60
	s_branch .LBB86_61
.LBB86_59:
                                        ; implicit-def: $vgpr58
.LBB86_60:
	ds_read_b32 v58, v48
.LBB86_61:
	s_and_saveexec_b64 s[12:13], s[4:5]
	s_cbranch_execz .LBB86_65
; %bb.62:
	v_add_u32_e32 v59, -16, v0
	s_movk_i32 s14, 0xa0
	s_mov_b64 s[4:5], 0
.LBB86_63:                              ; =>This Inner Loop Header: Depth=1
	buffer_load_dword v60, v57, s[0:3], 0 offen
	v_mov_b32_e32 v61, s14
	ds_read_b32 v61, v61
	v_add_u32_e32 v59, -1, v59
	s_add_i32 s14, s14, 4
	v_cmp_eq_u32_e32 vcc, 0, v59
	v_add_u32_e32 v57, 4, v57
	s_or_b64 s[4:5], vcc, s[4:5]
	s_waitcnt vmcnt(0) lgkmcnt(0)
	v_fmac_f32_e32 v58, v60, v61
	s_andn2_b64 exec, exec, s[4:5]
	s_cbranch_execnz .LBB86_63
; %bb.64:
	s_or_b64 exec, exec, s[4:5]
.LBB86_65:
	s_or_b64 exec, exec, s[12:13]
	v_mov_b32_e32 v57, 0
	ds_read_b32 v57, v57 offset:60
	s_waitcnt lgkmcnt(0)
	v_mul_f32_e32 v57, v58, v57
	buffer_store_dword v57, off, s[0:3], 0 offset:60
.LBB86_66:
	s_or_b64 exec, exec, s[8:9]
	buffer_load_dword v57, off, s[0:3], 0 offset:56
	v_cmp_lt_u32_e64 s[4:5], 14, v0
	s_waitcnt vmcnt(0)
	ds_write_b32 v48, v57
	s_waitcnt lgkmcnt(0)
	; wave barrier
	s_waitcnt lgkmcnt(0)
	s_and_saveexec_b64 s[8:9], s[4:5]
	s_cbranch_execz .LBB86_76
; %bb.67:
	s_andn2_b64 vcc, exec, s[10:11]
	s_cbranch_vccnz .LBB86_69
; %bb.68:
	buffer_load_dword v57, v49, s[0:3], 0 offen
	ds_read_b32 v58, v48
	s_waitcnt vmcnt(0) lgkmcnt(0)
	v_mul_f32_e32 v57, v57, v58
	s_cbranch_execz .LBB86_70
	s_branch .LBB86_71
.LBB86_69:
                                        ; implicit-def: $vgpr57
.LBB86_70:
	ds_read_b32 v57, v48
.LBB86_71:
	s_and_saveexec_b64 s[12:13], s[6:7]
	s_cbranch_execz .LBB86_75
; %bb.72:
	v_mov_b32_e32 v58, 0
	v_add_u32_e32 v58, 60, v58
	v_add_u32_e32 v59, -15, v0
	s_movk_i32 s14, 0x9c
	s_mov_b64 s[6:7], 0
.LBB86_73:                              ; =>This Inner Loop Header: Depth=1
	buffer_load_dword v60, v58, s[0:3], 0 offen
	v_mov_b32_e32 v61, s14
	ds_read_b32 v61, v61
	v_add_u32_e32 v59, -1, v59
	s_add_i32 s14, s14, 4
	v_cmp_eq_u32_e32 vcc, 0, v59
	v_add_u32_e32 v58, 4, v58
	s_or_b64 s[6:7], vcc, s[6:7]
	s_waitcnt vmcnt(0) lgkmcnt(0)
	v_fmac_f32_e32 v57, v60, v61
	s_andn2_b64 exec, exec, s[6:7]
	s_cbranch_execnz .LBB86_73
; %bb.74:
	s_or_b64 exec, exec, s[6:7]
.LBB86_75:
	s_or_b64 exec, exec, s[12:13]
	v_mov_b32_e32 v58, 0
	ds_read_b32 v58, v58 offset:56
	s_waitcnt lgkmcnt(0)
	v_mul_f32_e32 v57, v57, v58
	buffer_store_dword v57, off, s[0:3], 0 offset:56
.LBB86_76:
	s_or_b64 exec, exec, s[8:9]
	buffer_load_dword v57, off, s[0:3], 0 offset:52
	v_cmp_lt_u32_e64 s[6:7], 13, v0
	s_waitcnt vmcnt(0)
	ds_write_b32 v48, v57
	s_waitcnt lgkmcnt(0)
	; wave barrier
	s_waitcnt lgkmcnt(0)
	s_and_saveexec_b64 s[8:9], s[6:7]
	s_cbranch_execz .LBB86_86
; %bb.77:
	s_andn2_b64 vcc, exec, s[10:11]
	s_cbranch_vccnz .LBB86_79
; %bb.78:
	buffer_load_dword v57, v49, s[0:3], 0 offen
	ds_read_b32 v58, v48
	s_waitcnt vmcnt(0) lgkmcnt(0)
	v_mul_f32_e32 v57, v57, v58
	s_cbranch_execz .LBB86_80
	s_branch .LBB86_81
.LBB86_79:
                                        ; implicit-def: $vgpr57
.LBB86_80:
	ds_read_b32 v57, v48
.LBB86_81:
	s_and_saveexec_b64 s[12:13], s[4:5]
	s_cbranch_execz .LBB86_85
; %bb.82:
	v_add_u32_e32 v58, -14, v0
	s_movk_i32 s14, 0x98
	s_mov_b64 s[4:5], 0
.LBB86_83:                              ; =>This Inner Loop Header: Depth=1
	buffer_load_dword v59, v56, s[0:3], 0 offen
	v_mov_b32_e32 v60, s14
	ds_read_b32 v60, v60
	v_add_u32_e32 v58, -1, v58
	s_add_i32 s14, s14, 4
	v_cmp_eq_u32_e32 vcc, 0, v58
	v_add_u32_e32 v56, 4, v56
	s_or_b64 s[4:5], vcc, s[4:5]
	s_waitcnt vmcnt(0) lgkmcnt(0)
	v_fmac_f32_e32 v57, v59, v60
	s_andn2_b64 exec, exec, s[4:5]
	s_cbranch_execnz .LBB86_83
; %bb.84:
	s_or_b64 exec, exec, s[4:5]
.LBB86_85:
	s_or_b64 exec, exec, s[12:13]
	v_mov_b32_e32 v56, 0
	ds_read_b32 v56, v56 offset:52
	s_waitcnt lgkmcnt(0)
	v_mul_f32_e32 v56, v57, v56
	buffer_store_dword v56, off, s[0:3], 0 offset:52
.LBB86_86:
	s_or_b64 exec, exec, s[8:9]
	buffer_load_dword v56, off, s[0:3], 0 offset:48
	v_cmp_lt_u32_e64 s[4:5], 12, v0
	s_waitcnt vmcnt(0)
	ds_write_b32 v48, v56
	s_waitcnt lgkmcnt(0)
	; wave barrier
	s_waitcnt lgkmcnt(0)
	s_and_saveexec_b64 s[8:9], s[4:5]
	s_cbranch_execz .LBB86_96
; %bb.87:
	s_andn2_b64 vcc, exec, s[10:11]
	s_cbranch_vccnz .LBB86_89
; %bb.88:
	buffer_load_dword v56, v49, s[0:3], 0 offen
	ds_read_b32 v57, v48
	s_waitcnt vmcnt(0) lgkmcnt(0)
	v_mul_f32_e32 v56, v56, v57
	s_cbranch_execz .LBB86_90
	s_branch .LBB86_91
.LBB86_89:
                                        ; implicit-def: $vgpr56
.LBB86_90:
	ds_read_b32 v56, v48
.LBB86_91:
	s_and_saveexec_b64 s[12:13], s[6:7]
	s_cbranch_execz .LBB86_95
; %bb.92:
	v_mov_b32_e32 v57, 0
	v_add_u32_e32 v57, 52, v57
	v_add_u32_e32 v58, -13, v0
	s_movk_i32 s14, 0x94
	s_mov_b64 s[6:7], 0
.LBB86_93:                              ; =>This Inner Loop Header: Depth=1
	buffer_load_dword v59, v57, s[0:3], 0 offen
	v_mov_b32_e32 v60, s14
	ds_read_b32 v60, v60
	v_add_u32_e32 v58, -1, v58
	s_add_i32 s14, s14, 4
	v_cmp_eq_u32_e32 vcc, 0, v58
	v_add_u32_e32 v57, 4, v57
	s_or_b64 s[6:7], vcc, s[6:7]
	s_waitcnt vmcnt(0) lgkmcnt(0)
	v_fmac_f32_e32 v56, v59, v60
	s_andn2_b64 exec, exec, s[6:7]
	s_cbranch_execnz .LBB86_93
; %bb.94:
	s_or_b64 exec, exec, s[6:7]
.LBB86_95:
	s_or_b64 exec, exec, s[12:13]
	v_mov_b32_e32 v57, 0
	ds_read_b32 v57, v57 offset:48
	s_waitcnt lgkmcnt(0)
	v_mul_f32_e32 v56, v56, v57
	buffer_store_dword v56, off, s[0:3], 0 offset:48
.LBB86_96:
	s_or_b64 exec, exec, s[8:9]
	buffer_load_dword v56, off, s[0:3], 0 offset:44
	v_cmp_lt_u32_e64 s[6:7], 11, v0
	s_waitcnt vmcnt(0)
	ds_write_b32 v48, v56
	s_waitcnt lgkmcnt(0)
	; wave barrier
	s_waitcnt lgkmcnt(0)
	s_and_saveexec_b64 s[8:9], s[6:7]
	s_cbranch_execz .LBB86_106
; %bb.97:
	s_andn2_b64 vcc, exec, s[10:11]
	s_cbranch_vccnz .LBB86_99
; %bb.98:
	buffer_load_dword v56, v49, s[0:3], 0 offen
	ds_read_b32 v57, v48
	s_waitcnt vmcnt(0) lgkmcnt(0)
	v_mul_f32_e32 v56, v56, v57
	s_cbranch_execz .LBB86_100
	s_branch .LBB86_101
.LBB86_99:
                                        ; implicit-def: $vgpr56
.LBB86_100:
	ds_read_b32 v56, v48
.LBB86_101:
	s_and_saveexec_b64 s[12:13], s[4:5]
	s_cbranch_execz .LBB86_105
; %bb.102:
	v_add_u32_e32 v57, -12, v0
	s_movk_i32 s14, 0x90
	s_mov_b64 s[4:5], 0
.LBB86_103:                             ; =>This Inner Loop Header: Depth=1
	buffer_load_dword v58, v55, s[0:3], 0 offen
	v_mov_b32_e32 v59, s14
	ds_read_b32 v59, v59
	v_add_u32_e32 v57, -1, v57
	s_add_i32 s14, s14, 4
	v_cmp_eq_u32_e32 vcc, 0, v57
	v_add_u32_e32 v55, 4, v55
	s_or_b64 s[4:5], vcc, s[4:5]
	s_waitcnt vmcnt(0) lgkmcnt(0)
	v_fmac_f32_e32 v56, v58, v59
	s_andn2_b64 exec, exec, s[4:5]
	s_cbranch_execnz .LBB86_103
; %bb.104:
	s_or_b64 exec, exec, s[4:5]
.LBB86_105:
	s_or_b64 exec, exec, s[12:13]
	v_mov_b32_e32 v55, 0
	ds_read_b32 v55, v55 offset:44
	s_waitcnt lgkmcnt(0)
	v_mul_f32_e32 v55, v56, v55
	buffer_store_dword v55, off, s[0:3], 0 offset:44
.LBB86_106:
	s_or_b64 exec, exec, s[8:9]
	buffer_load_dword v55, off, s[0:3], 0 offset:40
	v_cmp_lt_u32_e64 s[4:5], 10, v0
	s_waitcnt vmcnt(0)
	ds_write_b32 v48, v55
	s_waitcnt lgkmcnt(0)
	; wave barrier
	s_waitcnt lgkmcnt(0)
	s_and_saveexec_b64 s[8:9], s[4:5]
	s_cbranch_execz .LBB86_116
; %bb.107:
	s_andn2_b64 vcc, exec, s[10:11]
	s_cbranch_vccnz .LBB86_109
; %bb.108:
	buffer_load_dword v55, v49, s[0:3], 0 offen
	ds_read_b32 v56, v48
	s_waitcnt vmcnt(0) lgkmcnt(0)
	v_mul_f32_e32 v55, v55, v56
	s_cbranch_execz .LBB86_110
	s_branch .LBB86_111
.LBB86_109:
                                        ; implicit-def: $vgpr55
.LBB86_110:
	ds_read_b32 v55, v48
.LBB86_111:
	s_and_saveexec_b64 s[12:13], s[6:7]
	s_cbranch_execz .LBB86_115
; %bb.112:
	v_mov_b32_e32 v56, 0
	v_add_u32_e32 v56, 44, v56
	v_add_u32_e32 v57, -11, v0
	s_movk_i32 s14, 0x8c
	s_mov_b64 s[6:7], 0
.LBB86_113:                             ; =>This Inner Loop Header: Depth=1
	buffer_load_dword v58, v56, s[0:3], 0 offen
	v_mov_b32_e32 v59, s14
	ds_read_b32 v59, v59
	v_add_u32_e32 v57, -1, v57
	s_add_i32 s14, s14, 4
	v_cmp_eq_u32_e32 vcc, 0, v57
	v_add_u32_e32 v56, 4, v56
	s_or_b64 s[6:7], vcc, s[6:7]
	s_waitcnt vmcnt(0) lgkmcnt(0)
	v_fmac_f32_e32 v55, v58, v59
	s_andn2_b64 exec, exec, s[6:7]
	s_cbranch_execnz .LBB86_113
; %bb.114:
	s_or_b64 exec, exec, s[6:7]
.LBB86_115:
	s_or_b64 exec, exec, s[12:13]
	v_mov_b32_e32 v56, 0
	ds_read_b32 v56, v56 offset:40
	s_waitcnt lgkmcnt(0)
	v_mul_f32_e32 v55, v55, v56
	buffer_store_dword v55, off, s[0:3], 0 offset:40
.LBB86_116:
	s_or_b64 exec, exec, s[8:9]
	buffer_load_dword v55, off, s[0:3], 0 offset:36
	v_cmp_lt_u32_e64 s[6:7], 9, v0
	s_waitcnt vmcnt(0)
	ds_write_b32 v48, v55
	s_waitcnt lgkmcnt(0)
	; wave barrier
	s_waitcnt lgkmcnt(0)
	s_and_saveexec_b64 s[8:9], s[6:7]
	s_cbranch_execz .LBB86_126
; %bb.117:
	s_andn2_b64 vcc, exec, s[10:11]
	s_cbranch_vccnz .LBB86_119
; %bb.118:
	buffer_load_dword v55, v49, s[0:3], 0 offen
	ds_read_b32 v56, v48
	s_waitcnt vmcnt(0) lgkmcnt(0)
	v_mul_f32_e32 v55, v55, v56
	s_cbranch_execz .LBB86_120
	s_branch .LBB86_121
.LBB86_119:
                                        ; implicit-def: $vgpr55
.LBB86_120:
	ds_read_b32 v55, v48
.LBB86_121:
	s_and_saveexec_b64 s[12:13], s[4:5]
	s_cbranch_execz .LBB86_125
; %bb.122:
	v_add_u32_e32 v56, -10, v0
	s_movk_i32 s14, 0x88
	s_mov_b64 s[4:5], 0
.LBB86_123:                             ; =>This Inner Loop Header: Depth=1
	buffer_load_dword v57, v54, s[0:3], 0 offen
	v_mov_b32_e32 v58, s14
	ds_read_b32 v58, v58
	v_add_u32_e32 v56, -1, v56
	s_add_i32 s14, s14, 4
	v_cmp_eq_u32_e32 vcc, 0, v56
	v_add_u32_e32 v54, 4, v54
	s_or_b64 s[4:5], vcc, s[4:5]
	s_waitcnt vmcnt(0) lgkmcnt(0)
	v_fmac_f32_e32 v55, v57, v58
	s_andn2_b64 exec, exec, s[4:5]
	s_cbranch_execnz .LBB86_123
; %bb.124:
	s_or_b64 exec, exec, s[4:5]
.LBB86_125:
	s_or_b64 exec, exec, s[12:13]
	v_mov_b32_e32 v54, 0
	ds_read_b32 v54, v54 offset:36
	s_waitcnt lgkmcnt(0)
	v_mul_f32_e32 v54, v55, v54
	buffer_store_dword v54, off, s[0:3], 0 offset:36
.LBB86_126:
	s_or_b64 exec, exec, s[8:9]
	buffer_load_dword v54, off, s[0:3], 0 offset:32
	v_cmp_lt_u32_e64 s[4:5], 8, v0
	s_waitcnt vmcnt(0)
	ds_write_b32 v48, v54
	s_waitcnt lgkmcnt(0)
	; wave barrier
	s_waitcnt lgkmcnt(0)
	s_and_saveexec_b64 s[8:9], s[4:5]
	s_cbranch_execz .LBB86_136
; %bb.127:
	s_andn2_b64 vcc, exec, s[10:11]
	s_cbranch_vccnz .LBB86_129
; %bb.128:
	buffer_load_dword v54, v49, s[0:3], 0 offen
	ds_read_b32 v55, v48
	s_waitcnt vmcnt(0) lgkmcnt(0)
	v_mul_f32_e32 v54, v54, v55
	s_cbranch_execz .LBB86_130
	s_branch .LBB86_131
.LBB86_129:
                                        ; implicit-def: $vgpr54
.LBB86_130:
	ds_read_b32 v54, v48
.LBB86_131:
	s_and_saveexec_b64 s[12:13], s[6:7]
	s_cbranch_execz .LBB86_135
; %bb.132:
	v_mov_b32_e32 v55, 0
	v_add_u32_e32 v55, 36, v55
	v_add_u32_e32 v56, -9, v0
	s_movk_i32 s14, 0x84
	s_mov_b64 s[6:7], 0
.LBB86_133:                             ; =>This Inner Loop Header: Depth=1
	buffer_load_dword v57, v55, s[0:3], 0 offen
	v_mov_b32_e32 v58, s14
	ds_read_b32 v58, v58
	v_add_u32_e32 v56, -1, v56
	s_add_i32 s14, s14, 4
	v_cmp_eq_u32_e32 vcc, 0, v56
	v_add_u32_e32 v55, 4, v55
	s_or_b64 s[6:7], vcc, s[6:7]
	s_waitcnt vmcnt(0) lgkmcnt(0)
	v_fmac_f32_e32 v54, v57, v58
	s_andn2_b64 exec, exec, s[6:7]
	s_cbranch_execnz .LBB86_133
; %bb.134:
	s_or_b64 exec, exec, s[6:7]
.LBB86_135:
	s_or_b64 exec, exec, s[12:13]
	v_mov_b32_e32 v55, 0
	ds_read_b32 v55, v55 offset:32
	s_waitcnt lgkmcnt(0)
	v_mul_f32_e32 v54, v54, v55
	buffer_store_dword v54, off, s[0:3], 0 offset:32
.LBB86_136:
	s_or_b64 exec, exec, s[8:9]
	buffer_load_dword v54, off, s[0:3], 0 offset:28
	v_cmp_lt_u32_e64 s[6:7], 7, v0
	s_waitcnt vmcnt(0)
	ds_write_b32 v48, v54
	s_waitcnt lgkmcnt(0)
	; wave barrier
	s_waitcnt lgkmcnt(0)
	s_and_saveexec_b64 s[8:9], s[6:7]
	s_cbranch_execz .LBB86_146
; %bb.137:
	s_andn2_b64 vcc, exec, s[10:11]
	s_cbranch_vccnz .LBB86_139
; %bb.138:
	buffer_load_dword v54, v49, s[0:3], 0 offen
	ds_read_b32 v55, v48
	s_waitcnt vmcnt(0) lgkmcnt(0)
	v_mul_f32_e32 v54, v54, v55
	s_cbranch_execz .LBB86_140
	s_branch .LBB86_141
.LBB86_139:
                                        ; implicit-def: $vgpr54
.LBB86_140:
	ds_read_b32 v54, v48
.LBB86_141:
	s_and_saveexec_b64 s[12:13], s[4:5]
	s_cbranch_execz .LBB86_145
; %bb.142:
	v_add_u32_e32 v55, -8, v0
	s_movk_i32 s14, 0x80
	s_mov_b64 s[4:5], 0
.LBB86_143:                             ; =>This Inner Loop Header: Depth=1
	buffer_load_dword v56, v53, s[0:3], 0 offen
	v_mov_b32_e32 v57, s14
	ds_read_b32 v57, v57
	v_add_u32_e32 v55, -1, v55
	s_add_i32 s14, s14, 4
	v_cmp_eq_u32_e32 vcc, 0, v55
	v_add_u32_e32 v53, 4, v53
	s_or_b64 s[4:5], vcc, s[4:5]
	s_waitcnt vmcnt(0) lgkmcnt(0)
	v_fmac_f32_e32 v54, v56, v57
	s_andn2_b64 exec, exec, s[4:5]
	s_cbranch_execnz .LBB86_143
; %bb.144:
	s_or_b64 exec, exec, s[4:5]
.LBB86_145:
	s_or_b64 exec, exec, s[12:13]
	v_mov_b32_e32 v53, 0
	ds_read_b32 v53, v53 offset:28
	s_waitcnt lgkmcnt(0)
	v_mul_f32_e32 v53, v54, v53
	buffer_store_dword v53, off, s[0:3], 0 offset:28
.LBB86_146:
	s_or_b64 exec, exec, s[8:9]
	buffer_load_dword v53, off, s[0:3], 0 offset:24
	v_cmp_lt_u32_e64 s[4:5], 6, v0
	s_waitcnt vmcnt(0)
	ds_write_b32 v48, v53
	s_waitcnt lgkmcnt(0)
	; wave barrier
	s_waitcnt lgkmcnt(0)
	s_and_saveexec_b64 s[8:9], s[4:5]
	s_cbranch_execz .LBB86_156
; %bb.147:
	s_andn2_b64 vcc, exec, s[10:11]
	s_cbranch_vccnz .LBB86_149
; %bb.148:
	buffer_load_dword v53, v49, s[0:3], 0 offen
	ds_read_b32 v54, v48
	s_waitcnt vmcnt(0) lgkmcnt(0)
	v_mul_f32_e32 v53, v53, v54
	s_cbranch_execz .LBB86_150
	s_branch .LBB86_151
.LBB86_149:
                                        ; implicit-def: $vgpr53
.LBB86_150:
	ds_read_b32 v53, v48
.LBB86_151:
	s_and_saveexec_b64 s[12:13], s[6:7]
	s_cbranch_execz .LBB86_155
; %bb.152:
	v_mov_b32_e32 v54, 0
	v_add_u32_e32 v54, 28, v54
	v_add_u32_e32 v55, -7, v0
	s_movk_i32 s14, 0x7c
	s_mov_b64 s[6:7], 0
.LBB86_153:                             ; =>This Inner Loop Header: Depth=1
	buffer_load_dword v56, v54, s[0:3], 0 offen
	v_mov_b32_e32 v57, s14
	ds_read_b32 v57, v57
	v_add_u32_e32 v55, -1, v55
	s_add_i32 s14, s14, 4
	v_cmp_eq_u32_e32 vcc, 0, v55
	v_add_u32_e32 v54, 4, v54
	s_or_b64 s[6:7], vcc, s[6:7]
	s_waitcnt vmcnt(0) lgkmcnt(0)
	v_fmac_f32_e32 v53, v56, v57
	s_andn2_b64 exec, exec, s[6:7]
	s_cbranch_execnz .LBB86_153
; %bb.154:
	s_or_b64 exec, exec, s[6:7]
.LBB86_155:
	s_or_b64 exec, exec, s[12:13]
	v_mov_b32_e32 v54, 0
	ds_read_b32 v54, v54 offset:24
	s_waitcnt lgkmcnt(0)
	v_mul_f32_e32 v53, v53, v54
	buffer_store_dword v53, off, s[0:3], 0 offset:24
.LBB86_156:
	s_or_b64 exec, exec, s[8:9]
	buffer_load_dword v53, off, s[0:3], 0 offset:20
	v_cmp_lt_u32_e64 s[6:7], 5, v0
	s_waitcnt vmcnt(0)
	ds_write_b32 v48, v53
	s_waitcnt lgkmcnt(0)
	; wave barrier
	s_waitcnt lgkmcnt(0)
	s_and_saveexec_b64 s[8:9], s[6:7]
	s_cbranch_execz .LBB86_166
; %bb.157:
	s_andn2_b64 vcc, exec, s[10:11]
	s_cbranch_vccnz .LBB86_159
; %bb.158:
	buffer_load_dword v53, v49, s[0:3], 0 offen
	ds_read_b32 v54, v48
	s_waitcnt vmcnt(0) lgkmcnt(0)
	v_mul_f32_e32 v53, v53, v54
	s_cbranch_execz .LBB86_160
	s_branch .LBB86_161
.LBB86_159:
                                        ; implicit-def: $vgpr53
.LBB86_160:
	ds_read_b32 v53, v48
.LBB86_161:
	s_and_saveexec_b64 s[12:13], s[4:5]
	s_cbranch_execz .LBB86_165
; %bb.162:
	v_add_u32_e32 v54, -6, v0
	s_movk_i32 s14, 0x78
	s_mov_b64 s[4:5], 0
.LBB86_163:                             ; =>This Inner Loop Header: Depth=1
	buffer_load_dword v55, v52, s[0:3], 0 offen
	v_mov_b32_e32 v56, s14
	ds_read_b32 v56, v56
	v_add_u32_e32 v54, -1, v54
	s_add_i32 s14, s14, 4
	v_cmp_eq_u32_e32 vcc, 0, v54
	v_add_u32_e32 v52, 4, v52
	s_or_b64 s[4:5], vcc, s[4:5]
	s_waitcnt vmcnt(0) lgkmcnt(0)
	v_fmac_f32_e32 v53, v55, v56
	s_andn2_b64 exec, exec, s[4:5]
	s_cbranch_execnz .LBB86_163
; %bb.164:
	s_or_b64 exec, exec, s[4:5]
.LBB86_165:
	s_or_b64 exec, exec, s[12:13]
	v_mov_b32_e32 v52, 0
	ds_read_b32 v52, v52 offset:20
	s_waitcnt lgkmcnt(0)
	v_mul_f32_e32 v52, v53, v52
	buffer_store_dword v52, off, s[0:3], 0 offset:20
.LBB86_166:
	s_or_b64 exec, exec, s[8:9]
	buffer_load_dword v52, off, s[0:3], 0 offset:16
	v_cmp_lt_u32_e64 s[4:5], 4, v0
	s_waitcnt vmcnt(0)
	ds_write_b32 v48, v52
	s_waitcnt lgkmcnt(0)
	; wave barrier
	s_waitcnt lgkmcnt(0)
	s_and_saveexec_b64 s[8:9], s[4:5]
	s_cbranch_execz .LBB86_176
; %bb.167:
	s_andn2_b64 vcc, exec, s[10:11]
	s_cbranch_vccnz .LBB86_169
; %bb.168:
	buffer_load_dword v52, v49, s[0:3], 0 offen
	ds_read_b32 v53, v48
	s_waitcnt vmcnt(0) lgkmcnt(0)
	v_mul_f32_e32 v52, v52, v53
	s_cbranch_execz .LBB86_170
	s_branch .LBB86_171
.LBB86_169:
                                        ; implicit-def: $vgpr52
.LBB86_170:
	ds_read_b32 v52, v48
.LBB86_171:
	s_and_saveexec_b64 s[12:13], s[6:7]
	s_cbranch_execz .LBB86_175
; %bb.172:
	v_mov_b32_e32 v53, 0
	v_add_u32_e32 v53, 20, v53
	v_add_u32_e32 v54, -5, v0
	s_movk_i32 s14, 0x74
	s_mov_b64 s[6:7], 0
.LBB86_173:                             ; =>This Inner Loop Header: Depth=1
	buffer_load_dword v55, v53, s[0:3], 0 offen
	v_mov_b32_e32 v56, s14
	ds_read_b32 v56, v56
	v_add_u32_e32 v54, -1, v54
	s_add_i32 s14, s14, 4
	v_cmp_eq_u32_e32 vcc, 0, v54
	v_add_u32_e32 v53, 4, v53
	s_or_b64 s[6:7], vcc, s[6:7]
	s_waitcnt vmcnt(0) lgkmcnt(0)
	v_fmac_f32_e32 v52, v55, v56
	s_andn2_b64 exec, exec, s[6:7]
	s_cbranch_execnz .LBB86_173
; %bb.174:
	s_or_b64 exec, exec, s[6:7]
.LBB86_175:
	s_or_b64 exec, exec, s[12:13]
	v_mov_b32_e32 v53, 0
	ds_read_b32 v53, v53 offset:16
	s_waitcnt lgkmcnt(0)
	v_mul_f32_e32 v52, v52, v53
	buffer_store_dword v52, off, s[0:3], 0 offset:16
.LBB86_176:
	s_or_b64 exec, exec, s[8:9]
	buffer_load_dword v52, off, s[0:3], 0 offset:12
	v_cmp_lt_u32_e64 s[6:7], 3, v0
	s_waitcnt vmcnt(0)
	ds_write_b32 v48, v52
	s_waitcnt lgkmcnt(0)
	; wave barrier
	s_waitcnt lgkmcnt(0)
	s_and_saveexec_b64 s[8:9], s[6:7]
	s_cbranch_execz .LBB86_186
; %bb.177:
	s_andn2_b64 vcc, exec, s[10:11]
	s_cbranch_vccnz .LBB86_179
; %bb.178:
	buffer_load_dword v52, v49, s[0:3], 0 offen
	ds_read_b32 v53, v48
	s_waitcnt vmcnt(0) lgkmcnt(0)
	v_mul_f32_e32 v52, v52, v53
	s_cbranch_execz .LBB86_180
	s_branch .LBB86_181
.LBB86_179:
                                        ; implicit-def: $vgpr52
.LBB86_180:
	ds_read_b32 v52, v48
.LBB86_181:
	s_and_saveexec_b64 s[12:13], s[4:5]
	s_cbranch_execz .LBB86_185
; %bb.182:
	v_add_u32_e32 v53, -4, v0
	s_movk_i32 s14, 0x70
	s_mov_b64 s[4:5], 0
.LBB86_183:                             ; =>This Inner Loop Header: Depth=1
	buffer_load_dword v54, v51, s[0:3], 0 offen
	v_mov_b32_e32 v55, s14
	ds_read_b32 v55, v55
	v_add_u32_e32 v53, -1, v53
	s_add_i32 s14, s14, 4
	v_cmp_eq_u32_e32 vcc, 0, v53
	v_add_u32_e32 v51, 4, v51
	s_or_b64 s[4:5], vcc, s[4:5]
	s_waitcnt vmcnt(0) lgkmcnt(0)
	v_fmac_f32_e32 v52, v54, v55
	s_andn2_b64 exec, exec, s[4:5]
	s_cbranch_execnz .LBB86_183
; %bb.184:
	s_or_b64 exec, exec, s[4:5]
.LBB86_185:
	s_or_b64 exec, exec, s[12:13]
	v_mov_b32_e32 v51, 0
	ds_read_b32 v51, v51 offset:12
	s_waitcnt lgkmcnt(0)
	v_mul_f32_e32 v51, v52, v51
	buffer_store_dword v51, off, s[0:3], 0 offset:12
.LBB86_186:
	s_or_b64 exec, exec, s[8:9]
	buffer_load_dword v51, off, s[0:3], 0 offset:8
	v_cmp_lt_u32_e64 s[4:5], 2, v0
	s_waitcnt vmcnt(0)
	ds_write_b32 v48, v51
	s_waitcnt lgkmcnt(0)
	; wave barrier
	s_waitcnt lgkmcnt(0)
	s_and_saveexec_b64 s[8:9], s[4:5]
	s_cbranch_execz .LBB86_196
; %bb.187:
	s_andn2_b64 vcc, exec, s[10:11]
	s_cbranch_vccnz .LBB86_189
; %bb.188:
	buffer_load_dword v51, v49, s[0:3], 0 offen
	ds_read_b32 v52, v48
	s_waitcnt vmcnt(0) lgkmcnt(0)
	v_mul_f32_e32 v51, v51, v52
	s_cbranch_execz .LBB86_190
	s_branch .LBB86_191
.LBB86_189:
                                        ; implicit-def: $vgpr51
.LBB86_190:
	ds_read_b32 v51, v48
.LBB86_191:
	s_and_saveexec_b64 s[12:13], s[6:7]
	s_cbranch_execz .LBB86_195
; %bb.192:
	v_mov_b32_e32 v52, 0
	v_or_b32_e32 v52, 12, v52
	v_add_u32_e32 v53, -3, v0
	s_movk_i32 s14, 0x6c
	s_mov_b64 s[6:7], 0
.LBB86_193:                             ; =>This Inner Loop Header: Depth=1
	buffer_load_dword v54, v52, s[0:3], 0 offen
	v_mov_b32_e32 v55, s14
	ds_read_b32 v55, v55
	v_add_u32_e32 v53, -1, v53
	s_add_i32 s14, s14, 4
	v_cmp_eq_u32_e32 vcc, 0, v53
	v_add_u32_e32 v52, 4, v52
	s_or_b64 s[6:7], vcc, s[6:7]
	s_waitcnt vmcnt(0) lgkmcnt(0)
	v_fmac_f32_e32 v51, v54, v55
	s_andn2_b64 exec, exec, s[6:7]
	s_cbranch_execnz .LBB86_193
; %bb.194:
	s_or_b64 exec, exec, s[6:7]
.LBB86_195:
	s_or_b64 exec, exec, s[12:13]
	v_mov_b32_e32 v52, 0
	ds_read_b32 v52, v52 offset:8
	s_waitcnt lgkmcnt(0)
	v_mul_f32_e32 v51, v51, v52
	buffer_store_dword v51, off, s[0:3], 0 offset:8
.LBB86_196:
	s_or_b64 exec, exec, s[8:9]
	buffer_load_dword v51, off, s[0:3], 0 offset:4
	v_cmp_lt_u32_e64 s[6:7], 1, v0
	s_waitcnt vmcnt(0)
	ds_write_b32 v48, v51
	s_waitcnt lgkmcnt(0)
	; wave barrier
	s_waitcnt lgkmcnt(0)
	s_and_saveexec_b64 s[8:9], s[6:7]
	s_cbranch_execz .LBB86_206
; %bb.197:
	s_andn2_b64 vcc, exec, s[10:11]
	s_cbranch_vccnz .LBB86_199
; %bb.198:
	buffer_load_dword v51, v49, s[0:3], 0 offen
	ds_read_b32 v52, v48
	s_waitcnt vmcnt(0) lgkmcnt(0)
	v_mul_f32_e32 v51, v51, v52
	s_cbranch_execz .LBB86_200
	s_branch .LBB86_201
.LBB86_199:
                                        ; implicit-def: $vgpr51
.LBB86_200:
	ds_read_b32 v51, v48
.LBB86_201:
	s_and_saveexec_b64 s[12:13], s[4:5]
	s_cbranch_execz .LBB86_205
; %bb.202:
	v_add_u32_e32 v52, -2, v0
	s_movk_i32 s14, 0x68
	s_mov_b64 s[4:5], 0
.LBB86_203:                             ; =>This Inner Loop Header: Depth=1
	buffer_load_dword v53, v50, s[0:3], 0 offen
	v_mov_b32_e32 v54, s14
	ds_read_b32 v54, v54
	v_add_u32_e32 v52, -1, v52
	s_add_i32 s14, s14, 4
	v_cmp_eq_u32_e32 vcc, 0, v52
	v_add_u32_e32 v50, 4, v50
	s_or_b64 s[4:5], vcc, s[4:5]
	s_waitcnt vmcnt(0) lgkmcnt(0)
	v_fmac_f32_e32 v51, v53, v54
	s_andn2_b64 exec, exec, s[4:5]
	s_cbranch_execnz .LBB86_203
; %bb.204:
	s_or_b64 exec, exec, s[4:5]
.LBB86_205:
	s_or_b64 exec, exec, s[12:13]
	v_mov_b32_e32 v50, 0
	ds_read_b32 v50, v50 offset:4
	s_waitcnt lgkmcnt(0)
	v_mul_f32_e32 v50, v51, v50
	buffer_store_dword v50, off, s[0:3], 0 offset:4
.LBB86_206:
	s_or_b64 exec, exec, s[8:9]
	buffer_load_dword v50, off, s[0:3], 0
	v_cmp_ne_u32_e32 vcc, 0, v0
	s_waitcnt vmcnt(0)
	ds_write_b32 v48, v50
	s_waitcnt lgkmcnt(0)
	; wave barrier
	s_waitcnt lgkmcnt(0)
	s_and_saveexec_b64 s[4:5], vcc
	s_cbranch_execz .LBB86_216
; %bb.207:
	s_andn2_b64 vcc, exec, s[10:11]
	s_cbranch_vccnz .LBB86_209
; %bb.208:
	buffer_load_dword v50, v49, s[0:3], 0 offen
	ds_read_b32 v51, v48
	s_waitcnt vmcnt(0) lgkmcnt(0)
	v_mul_f32_e32 v50, v50, v51
	s_cbranch_execz .LBB86_210
	s_branch .LBB86_211
.LBB86_209:
                                        ; implicit-def: $vgpr50
.LBB86_210:
	ds_read_b32 v50, v48
.LBB86_211:
	s_and_saveexec_b64 s[8:9], s[6:7]
	s_cbranch_execz .LBB86_215
; %bb.212:
	v_mov_b32_e32 v51, 0
	v_or_b32_e32 v51, 4, v51
	v_add_u32_e32 v52, -1, v0
	s_movk_i32 s12, 0x64
	s_mov_b64 s[6:7], 0
.LBB86_213:                             ; =>This Inner Loop Header: Depth=1
	buffer_load_dword v53, v51, s[0:3], 0 offen
	v_mov_b32_e32 v54, s12
	ds_read_b32 v54, v54
	v_add_u32_e32 v52, -1, v52
	s_add_i32 s12, s12, 4
	v_cmp_eq_u32_e32 vcc, 0, v52
	v_add_u32_e32 v51, 4, v51
	s_or_b64 s[6:7], vcc, s[6:7]
	s_waitcnt vmcnt(0) lgkmcnt(0)
	v_fmac_f32_e32 v50, v53, v54
	s_andn2_b64 exec, exec, s[6:7]
	s_cbranch_execnz .LBB86_213
; %bb.214:
	s_or_b64 exec, exec, s[6:7]
.LBB86_215:
	s_or_b64 exec, exec, s[8:9]
	v_mov_b32_e32 v51, 0
	ds_read_b32 v51, v51
	s_waitcnt lgkmcnt(0)
	v_mul_f32_e32 v50, v50, v51
	buffer_store_dword v50, off, s[0:3], 0
.LBB86_216:
	s_or_b64 exec, exec, s[4:5]
	s_mov_b64 s[4:5], 0
.LBB86_217:
	s_and_b64 vcc, exec, s[4:5]
	s_cbranch_vccz .LBB86_431
; %bb.218:
	buffer_load_dword v50, off, s[0:3], 0 offset:4
	v_cmp_eq_u32_e64 s[6:7], 0, v0
	s_waitcnt vmcnt(0)
	ds_write_b32 v48, v50
	s_waitcnt lgkmcnt(0)
	; wave barrier
	s_waitcnt lgkmcnt(0)
	s_and_saveexec_b64 s[4:5], s[6:7]
	s_cbranch_execz .LBB86_224
; %bb.219:
	s_and_b64 vcc, exec, s[10:11]
	s_cbranch_vccz .LBB86_221
; %bb.220:
	buffer_load_dword v50, v49, s[0:3], 0 offen
	ds_read_b32 v51, v48
	s_waitcnt vmcnt(0) lgkmcnt(0)
	v_mul_f32_e32 v50, v50, v51
	s_cbranch_execz .LBB86_222
	s_branch .LBB86_223
.LBB86_221:
                                        ; implicit-def: $vgpr50
.LBB86_222:
	ds_read_b32 v50, v48
.LBB86_223:
	v_mov_b32_e32 v51, 0
	ds_read_b32 v51, v51 offset:4
	s_waitcnt lgkmcnt(0)
	v_mul_f32_e32 v50, v50, v51
	buffer_store_dword v50, off, s[0:3], 0 offset:4
.LBB86_224:
	s_or_b64 exec, exec, s[4:5]
	buffer_load_dword v50, off, s[0:3], 0 offset:8
	v_cndmask_b32_e64 v51, 0, 1, s[10:11]
	v_cmp_gt_u32_e32 vcc, 2, v0
	v_cmp_ne_u32_e64 s[4:5], 1, v51
	s_waitcnt vmcnt(0)
	ds_write_b32 v48, v50
	s_waitcnt lgkmcnt(0)
	; wave barrier
	s_waitcnt lgkmcnt(0)
	s_and_saveexec_b64 s[8:9], vcc
	s_cbranch_execz .LBB86_232
; %bb.225:
	s_and_b64 vcc, exec, s[4:5]
	s_cbranch_vccnz .LBB86_227
; %bb.226:
	buffer_load_dword v50, v49, s[0:3], 0 offen
	ds_read_b32 v51, v48
	s_waitcnt vmcnt(0) lgkmcnt(0)
	v_mul_f32_e32 v50, v50, v51
	s_cbranch_execz .LBB86_228
	s_branch .LBB86_229
.LBB86_227:
                                        ; implicit-def: $vgpr50
.LBB86_228:
	ds_read_b32 v50, v48
.LBB86_229:
	s_and_saveexec_b64 s[10:11], s[6:7]
	s_cbranch_execz .LBB86_231
; %bb.230:
	buffer_load_dword v51, v49, s[0:3], 0 offen offset:4
	ds_read_b32 v52, v48 offset:4
	s_waitcnt vmcnt(0) lgkmcnt(0)
	v_fmac_f32_e32 v50, v51, v52
.LBB86_231:
	s_or_b64 exec, exec, s[10:11]
	v_mov_b32_e32 v51, 0
	ds_read_b32 v51, v51 offset:8
	s_waitcnt lgkmcnt(0)
	v_mul_f32_e32 v50, v50, v51
	buffer_store_dword v50, off, s[0:3], 0 offset:8
.LBB86_232:
	s_or_b64 exec, exec, s[8:9]
	buffer_load_dword v50, off, s[0:3], 0 offset:12
	v_cmp_gt_u32_e32 vcc, 3, v0
	s_waitcnt vmcnt(0)
	ds_write_b32 v48, v50
	s_waitcnt lgkmcnt(0)
	; wave barrier
	s_waitcnt lgkmcnt(0)
	s_and_saveexec_b64 s[8:9], vcc
	s_cbranch_execz .LBB86_240
; %bb.233:
	s_and_b64 vcc, exec, s[4:5]
	s_cbranch_vccnz .LBB86_235
; %bb.234:
	buffer_load_dword v50, v49, s[0:3], 0 offen
	ds_read_b32 v51, v48
	s_waitcnt vmcnt(0) lgkmcnt(0)
	v_mul_f32_e32 v50, v50, v51
	s_cbranch_execz .LBB86_236
	s_branch .LBB86_237
.LBB86_235:
                                        ; implicit-def: $vgpr50
.LBB86_236:
	ds_read_b32 v50, v48
.LBB86_237:
	v_cmp_ne_u32_e32 vcc, 2, v0
	s_and_saveexec_b64 s[10:11], vcc
	s_cbranch_execz .LBB86_239
; %bb.238:
	buffer_load_dword v51, v49, s[0:3], 0 offen offset:4
	buffer_load_dword v52, off, s[0:3], 0 offset:8
	v_mov_b32_e32 v53, 0
	ds_read_b32 v54, v48 offset:4
	ds_read_b32 v53, v53 offset:104
	s_waitcnt vmcnt(1) lgkmcnt(1)
	v_fmac_f32_e32 v50, v51, v54
	s_waitcnt vmcnt(0) lgkmcnt(0)
	v_fma_f32 v51, v52, v53, v50
	v_cndmask_b32_e64 v50, v50, v51, s[6:7]
.LBB86_239:
	s_or_b64 exec, exec, s[10:11]
	v_mov_b32_e32 v51, 0
	ds_read_b32 v51, v51 offset:12
	s_waitcnt lgkmcnt(0)
	v_mul_f32_e32 v50, v50, v51
	buffer_store_dword v50, off, s[0:3], 0 offset:12
.LBB86_240:
	s_or_b64 exec, exec, s[8:9]
	buffer_load_dword v50, off, s[0:3], 0 offset:16
	v_cmp_gt_u32_e32 vcc, 4, v0
	s_waitcnt vmcnt(0)
	ds_write_b32 v48, v50
	s_waitcnt lgkmcnt(0)
	; wave barrier
	s_waitcnt lgkmcnt(0)
	s_and_saveexec_b64 s[6:7], vcc
	s_cbranch_execz .LBB86_250
; %bb.241:
	s_and_b64 vcc, exec, s[4:5]
	s_cbranch_vccnz .LBB86_243
; %bb.242:
	buffer_load_dword v50, v49, s[0:3], 0 offen
	ds_read_b32 v51, v48
	s_waitcnt vmcnt(0) lgkmcnt(0)
	v_mul_f32_e32 v50, v50, v51
	s_cbranch_execz .LBB86_244
	s_branch .LBB86_245
.LBB86_243:
                                        ; implicit-def: $vgpr50
.LBB86_244:
	ds_read_b32 v50, v48
.LBB86_245:
	v_cmp_ne_u32_e32 vcc, 3, v0
	s_and_saveexec_b64 s[8:9], vcc
	s_cbranch_execz .LBB86_249
; %bb.246:
	v_mov_b32_e32 v52, 0
	v_add_u32_e32 v51, 0x64, v1
	v_add3_u32 v52, v1, v52, 4
	s_mov_b64 s[10:11], 0
	v_mov_b32_e32 v53, v0
.LBB86_247:                             ; =>This Inner Loop Header: Depth=1
	buffer_load_dword v54, v52, s[0:3], 0 offen
	ds_read_b32 v55, v51
	v_add_u32_e32 v53, 1, v53
	v_cmp_lt_u32_e32 vcc, 2, v53
	v_add_u32_e32 v51, 4, v51
	v_add_u32_e32 v52, 4, v52
	s_or_b64 s[10:11], vcc, s[10:11]
	s_waitcnt vmcnt(0) lgkmcnt(0)
	v_fmac_f32_e32 v50, v54, v55
	s_andn2_b64 exec, exec, s[10:11]
	s_cbranch_execnz .LBB86_247
; %bb.248:
	s_or_b64 exec, exec, s[10:11]
.LBB86_249:
	s_or_b64 exec, exec, s[8:9]
	v_mov_b32_e32 v51, 0
	ds_read_b32 v51, v51 offset:16
	s_waitcnt lgkmcnt(0)
	v_mul_f32_e32 v50, v50, v51
	buffer_store_dword v50, off, s[0:3], 0 offset:16
.LBB86_250:
	s_or_b64 exec, exec, s[6:7]
	buffer_load_dword v50, off, s[0:3], 0 offset:20
	v_cmp_gt_u32_e32 vcc, 5, v0
	s_waitcnt vmcnt(0)
	ds_write_b32 v48, v50
	s_waitcnt lgkmcnt(0)
	; wave barrier
	s_waitcnt lgkmcnt(0)
	s_and_saveexec_b64 s[6:7], vcc
	s_cbranch_execz .LBB86_260
; %bb.251:
	s_and_b64 vcc, exec, s[4:5]
	s_cbranch_vccnz .LBB86_253
; %bb.252:
	buffer_load_dword v50, v49, s[0:3], 0 offen
	ds_read_b32 v51, v48
	s_waitcnt vmcnt(0) lgkmcnt(0)
	v_mul_f32_e32 v50, v50, v51
	s_cbranch_execz .LBB86_254
	s_branch .LBB86_255
.LBB86_253:
                                        ; implicit-def: $vgpr50
.LBB86_254:
	ds_read_b32 v50, v48
.LBB86_255:
	v_cmp_ne_u32_e32 vcc, 4, v0
	s_and_saveexec_b64 s[8:9], vcc
	s_cbranch_execz .LBB86_259
; %bb.256:
	v_mov_b32_e32 v52, 0
	v_add_u32_e32 v51, 0x64, v1
	v_add3_u32 v52, v1, v52, 4
	s_mov_b64 s[10:11], 0
	v_mov_b32_e32 v53, v0
.LBB86_257:                             ; =>This Inner Loop Header: Depth=1
	buffer_load_dword v54, v52, s[0:3], 0 offen
	ds_read_b32 v55, v51
	v_add_u32_e32 v53, 1, v53
	v_cmp_lt_u32_e32 vcc, 3, v53
	v_add_u32_e32 v51, 4, v51
	v_add_u32_e32 v52, 4, v52
	s_or_b64 s[10:11], vcc, s[10:11]
	s_waitcnt vmcnt(0) lgkmcnt(0)
	v_fmac_f32_e32 v50, v54, v55
	s_andn2_b64 exec, exec, s[10:11]
	s_cbranch_execnz .LBB86_257
; %bb.258:
	s_or_b64 exec, exec, s[10:11]
.LBB86_259:
	s_or_b64 exec, exec, s[8:9]
	v_mov_b32_e32 v51, 0
	ds_read_b32 v51, v51 offset:20
	s_waitcnt lgkmcnt(0)
	v_mul_f32_e32 v50, v50, v51
	buffer_store_dword v50, off, s[0:3], 0 offset:20
.LBB86_260:
	;; [unrolled: 56-line block ×17, first 2 shown]
	s_or_b64 exec, exec, s[6:7]
	buffer_load_dword v50, off, s[0:3], 0 offset:84
	v_cmp_gt_u32_e64 s[6:7], 21, v0
	s_waitcnt vmcnt(0)
	ds_write_b32 v48, v50
	s_waitcnt lgkmcnt(0)
	; wave barrier
	s_waitcnt lgkmcnt(0)
	s_and_saveexec_b64 s[8:9], s[6:7]
	s_cbranch_execz .LBB86_420
; %bb.411:
	s_and_b64 vcc, exec, s[4:5]
	s_cbranch_vccnz .LBB86_413
; %bb.412:
	buffer_load_dword v50, v49, s[0:3], 0 offen
	ds_read_b32 v51, v48
	s_waitcnt vmcnt(0) lgkmcnt(0)
	v_mul_f32_e32 v50, v50, v51
	s_cbranch_execz .LBB86_414
	s_branch .LBB86_415
.LBB86_413:
                                        ; implicit-def: $vgpr50
.LBB86_414:
	ds_read_b32 v50, v48
.LBB86_415:
	v_cmp_ne_u32_e32 vcc, 20, v0
	s_and_saveexec_b64 s[10:11], vcc
	s_cbranch_execz .LBB86_419
; %bb.416:
	v_mov_b32_e32 v52, 0
	v_add_u32_e32 v51, 0x64, v1
	v_add3_u32 v52, v1, v52, 4
	s_mov_b64 s[12:13], 0
	v_mov_b32_e32 v53, v0
.LBB86_417:                             ; =>This Inner Loop Header: Depth=1
	buffer_load_dword v54, v52, s[0:3], 0 offen
	ds_read_b32 v55, v51
	v_add_u32_e32 v53, 1, v53
	v_cmp_lt_u32_e32 vcc, 19, v53
	v_add_u32_e32 v51, 4, v51
	v_add_u32_e32 v52, 4, v52
	s_or_b64 s[12:13], vcc, s[12:13]
	s_waitcnt vmcnt(0) lgkmcnt(0)
	v_fmac_f32_e32 v50, v54, v55
	s_andn2_b64 exec, exec, s[12:13]
	s_cbranch_execnz .LBB86_417
; %bb.418:
	s_or_b64 exec, exec, s[12:13]
.LBB86_419:
	s_or_b64 exec, exec, s[10:11]
	v_mov_b32_e32 v51, 0
	ds_read_b32 v51, v51 offset:84
	s_waitcnt lgkmcnt(0)
	v_mul_f32_e32 v50, v50, v51
	buffer_store_dword v50, off, s[0:3], 0 offset:84
.LBB86_420:
	s_or_b64 exec, exec, s[8:9]
	buffer_load_dword v50, off, s[0:3], 0 offset:88
	v_cmp_ne_u32_e32 vcc, 22, v0
	s_waitcnt vmcnt(0)
	ds_write_b32 v48, v50
	s_waitcnt lgkmcnt(0)
	; wave barrier
	s_waitcnt lgkmcnt(0)
	s_and_saveexec_b64 s[8:9], vcc
	s_cbranch_execz .LBB86_430
; %bb.421:
	s_and_b64 vcc, exec, s[4:5]
	s_cbranch_vccnz .LBB86_423
; %bb.422:
	buffer_load_dword v49, v49, s[0:3], 0 offen
	ds_read_b32 v50, v48
	s_waitcnt vmcnt(0) lgkmcnt(0)
	v_mul_f32_e32 v49, v49, v50
	s_cbranch_execz .LBB86_424
	s_branch .LBB86_425
.LBB86_423:
                                        ; implicit-def: $vgpr49
.LBB86_424:
	ds_read_b32 v49, v48
.LBB86_425:
	s_and_saveexec_b64 s[4:5], s[6:7]
	s_cbranch_execz .LBB86_429
; %bb.426:
	v_mov_b32_e32 v50, 0
	v_add_u32_e32 v48, 0x64, v1
	v_add3_u32 v1, v1, v50, 4
	s_mov_b64 s[6:7], 0
.LBB86_427:                             ; =>This Inner Loop Header: Depth=1
	buffer_load_dword v50, v1, s[0:3], 0 offen
	ds_read_b32 v51, v48
	v_add_u32_e32 v0, 1, v0
	v_cmp_lt_u32_e32 vcc, 20, v0
	v_add_u32_e32 v48, 4, v48
	v_add_u32_e32 v1, 4, v1
	s_or_b64 s[6:7], vcc, s[6:7]
	s_waitcnt vmcnt(0) lgkmcnt(0)
	v_fmac_f32_e32 v49, v50, v51
	s_andn2_b64 exec, exec, s[6:7]
	s_cbranch_execnz .LBB86_427
; %bb.428:
	s_or_b64 exec, exec, s[6:7]
.LBB86_429:
	s_or_b64 exec, exec, s[4:5]
	v_mov_b32_e32 v0, 0
	ds_read_b32 v0, v0 offset:88
	s_waitcnt lgkmcnt(0)
	v_mul_f32_e32 v0, v49, v0
	buffer_store_dword v0, off, s[0:3], 0 offset:88
.LBB86_430:
	s_or_b64 exec, exec, s[8:9]
.LBB86_431:
	buffer_load_dword v0, off, s[0:3], 0
	buffer_load_dword v1, off, s[0:3], 0 offset:4
	buffer_load_dword v48, off, s[0:3], 0 offset:8
	;; [unrolled: 1-line block ×15, first 2 shown]
	s_waitcnt vmcnt(15)
	global_store_dword v[4:5], v0, off
	buffer_load_dword v0, off, s[0:3], 0 offset:64
	s_nop 0
	buffer_load_dword v4, off, s[0:3], 0 offset:68
	buffer_load_dword v5, off, s[0:3], 0 offset:72
	;; [unrolled: 1-line block ×6, first 2 shown]
	s_waitcnt vmcnt(22)
	global_store_dword v[2:3], v1, off
	s_waitcnt vmcnt(22)
	global_store_dword v[6:7], v48, off
	;; [unrolled: 2-line block ×22, first 2 shown]
.LBB86_432:
	s_endpgm
	.section	.rodata,"a",@progbits
	.p2align	6, 0x0
	.amdhsa_kernel _ZN9rocsolver6v33100L18trti2_kernel_smallILi23EfPKPfEEv13rocblas_fill_17rocblas_diagonal_T1_iil
		.amdhsa_group_segment_fixed_size 188
		.amdhsa_private_segment_fixed_size 96
		.amdhsa_kernarg_size 32
		.amdhsa_user_sgpr_count 8
		.amdhsa_user_sgpr_private_segment_buffer 1
		.amdhsa_user_sgpr_dispatch_ptr 0
		.amdhsa_user_sgpr_queue_ptr 0
		.amdhsa_user_sgpr_kernarg_segment_ptr 1
		.amdhsa_user_sgpr_dispatch_id 0
		.amdhsa_user_sgpr_flat_scratch_init 1
		.amdhsa_user_sgpr_kernarg_preload_length 0
		.amdhsa_user_sgpr_kernarg_preload_offset 0
		.amdhsa_user_sgpr_private_segment_size 0
		.amdhsa_uses_dynamic_stack 0
		.amdhsa_system_sgpr_private_segment_wavefront_offset 1
		.amdhsa_system_sgpr_workgroup_id_x 1
		.amdhsa_system_sgpr_workgroup_id_y 0
		.amdhsa_system_sgpr_workgroup_id_z 0
		.amdhsa_system_sgpr_workgroup_info 0
		.amdhsa_system_vgpr_workitem_id 0
		.amdhsa_next_free_vgpr 69
		.amdhsa_next_free_sgpr 16
		.amdhsa_accum_offset 72
		.amdhsa_reserve_vcc 1
		.amdhsa_reserve_flat_scratch 0
		.amdhsa_float_round_mode_32 0
		.amdhsa_float_round_mode_16_64 0
		.amdhsa_float_denorm_mode_32 3
		.amdhsa_float_denorm_mode_16_64 3
		.amdhsa_dx10_clamp 1
		.amdhsa_ieee_mode 1
		.amdhsa_fp16_overflow 0
		.amdhsa_tg_split 0
		.amdhsa_exception_fp_ieee_invalid_op 0
		.amdhsa_exception_fp_denorm_src 0
		.amdhsa_exception_fp_ieee_div_zero 0
		.amdhsa_exception_fp_ieee_overflow 0
		.amdhsa_exception_fp_ieee_underflow 0
		.amdhsa_exception_fp_ieee_inexact 0
		.amdhsa_exception_int_div_zero 0
	.end_amdhsa_kernel
	.section	.text._ZN9rocsolver6v33100L18trti2_kernel_smallILi23EfPKPfEEv13rocblas_fill_17rocblas_diagonal_T1_iil,"axG",@progbits,_ZN9rocsolver6v33100L18trti2_kernel_smallILi23EfPKPfEEv13rocblas_fill_17rocblas_diagonal_T1_iil,comdat
.Lfunc_end86:
	.size	_ZN9rocsolver6v33100L18trti2_kernel_smallILi23EfPKPfEEv13rocblas_fill_17rocblas_diagonal_T1_iil, .Lfunc_end86-_ZN9rocsolver6v33100L18trti2_kernel_smallILi23EfPKPfEEv13rocblas_fill_17rocblas_diagonal_T1_iil
                                        ; -- End function
	.section	.AMDGPU.csdata,"",@progbits
; Kernel info:
; codeLenInByte = 11048
; NumSgprs: 20
; NumVgprs: 69
; NumAgprs: 0
; TotalNumVgprs: 69
; ScratchSize: 96
; MemoryBound: 0
; FloatMode: 240
; IeeeMode: 1
; LDSByteSize: 188 bytes/workgroup (compile time only)
; SGPRBlocks: 2
; VGPRBlocks: 8
; NumSGPRsForWavesPerEU: 20
; NumVGPRsForWavesPerEU: 69
; AccumOffset: 72
; Occupancy: 7
; WaveLimiterHint : 1
; COMPUTE_PGM_RSRC2:SCRATCH_EN: 1
; COMPUTE_PGM_RSRC2:USER_SGPR: 8
; COMPUTE_PGM_RSRC2:TRAP_HANDLER: 0
; COMPUTE_PGM_RSRC2:TGID_X_EN: 1
; COMPUTE_PGM_RSRC2:TGID_Y_EN: 0
; COMPUTE_PGM_RSRC2:TGID_Z_EN: 0
; COMPUTE_PGM_RSRC2:TIDIG_COMP_CNT: 0
; COMPUTE_PGM_RSRC3_GFX90A:ACCUM_OFFSET: 17
; COMPUTE_PGM_RSRC3_GFX90A:TG_SPLIT: 0
	.section	.text._ZN9rocsolver6v33100L18trti2_kernel_smallILi24EfPKPfEEv13rocblas_fill_17rocblas_diagonal_T1_iil,"axG",@progbits,_ZN9rocsolver6v33100L18trti2_kernel_smallILi24EfPKPfEEv13rocblas_fill_17rocblas_diagonal_T1_iil,comdat
	.globl	_ZN9rocsolver6v33100L18trti2_kernel_smallILi24EfPKPfEEv13rocblas_fill_17rocblas_diagonal_T1_iil ; -- Begin function _ZN9rocsolver6v33100L18trti2_kernel_smallILi24EfPKPfEEv13rocblas_fill_17rocblas_diagonal_T1_iil
	.p2align	8
	.type	_ZN9rocsolver6v33100L18trti2_kernel_smallILi24EfPKPfEEv13rocblas_fill_17rocblas_diagonal_T1_iil,@function
_ZN9rocsolver6v33100L18trti2_kernel_smallILi24EfPKPfEEv13rocblas_fill_17rocblas_diagonal_T1_iil: ; @_ZN9rocsolver6v33100L18trti2_kernel_smallILi24EfPKPfEEv13rocblas_fill_17rocblas_diagonal_T1_iil
; %bb.0:
	s_add_u32 s0, s0, s9
	s_addc_u32 s1, s1, 0
	v_cmp_gt_u32_e32 vcc, 24, v0
	s_and_saveexec_b64 s[6:7], vcc
	s_cbranch_execz .LBB87_452
; %bb.1:
	s_load_dwordx2 s[6:7], s[4:5], 0x10
	s_load_dwordx4 s[12:15], s[4:5], 0x0
	s_ashr_i32 s9, s8, 31
	s_lshl_b64 s[4:5], s[8:9], 3
	v_lshlrev_b32_e32 v1, 2, v0
	s_waitcnt lgkmcnt(0)
	s_ashr_i32 s9, s6, 31
	s_add_u32 s4, s14, s4
	s_addc_u32 s5, s15, s5
	s_load_dwordx2 s[4:5], s[4:5], 0x0
	s_mov_b32 s8, s6
	s_lshl_b64 s[8:9], s[8:9], 2
	s_mov_b32 s10, s7
	s_waitcnt lgkmcnt(0)
	s_add_u32 s4, s4, s8
	s_addc_u32 s5, s5, s9
	global_load_dword v19, v1, s[4:5]
	s_ashr_i32 s11, s7, 31
	s_add_i32 s6, s7, s7
	v_mov_b32_e32 v2, s5
	v_add_co_u32_e32 v4, vcc, s4, v1
	s_lshl_b64 s[8:9], s[10:11], 2
	v_add_u32_e32 v8, s6, v0
	v_addc_co_u32_e32 v5, vcc, 0, v2, vcc
	v_mov_b32_e32 v2, s9
	v_ashrrev_i32_e32 v9, 31, v8
	v_add_co_u32_e32 v6, vcc, s8, v4
	v_addc_co_u32_e32 v7, vcc, v5, v2, vcc
	v_lshlrev_b64 v[2:3], 2, v[8:9]
	v_mov_b32_e32 v10, s5
	v_add_co_u32_e32 v2, vcc, s4, v2
	v_addc_co_u32_e32 v3, vcc, v10, v3, vcc
	global_load_dword v23, v[6:7], off
	global_load_dword v25, v[2:3], off
	v_add_u32_e32 v8, s7, v8
	v_ashrrev_i32_e32 v9, 31, v8
	v_add_u32_e32 v10, s7, v8
	v_lshlrev_b64 v[8:9], 2, v[8:9]
	v_mov_b32_e32 v13, s5
	v_ashrrev_i32_e32 v11, 31, v10
	v_add_co_u32_e32 v8, vcc, s4, v8
	v_add_u32_e32 v12, s7, v10
	v_addc_co_u32_e32 v9, vcc, v13, v9, vcc
	v_lshlrev_b64 v[10:11], 2, v[10:11]
	v_mov_b32_e32 v15, s5
	v_ashrrev_i32_e32 v13, 31, v12
	v_add_co_u32_e32 v10, vcc, s4, v10
	v_add_u32_e32 v14, s7, v12
	v_addc_co_u32_e32 v11, vcc, v15, v11, vcc
	v_lshlrev_b64 v[12:13], 2, v[12:13]
	v_mov_b32_e32 v16, s5
	v_add_co_u32_e32 v12, vcc, s4, v12
	v_addc_co_u32_e32 v13, vcc, v16, v13, vcc
	global_load_dword v33, v[8:9], off
	global_load_dword v35, v[10:11], off
	;; [unrolled: 1-line block ×3, first 2 shown]
	v_add_u32_e32 v18, s7, v14
	v_add_u32_e32 v20, s7, v18
	;; [unrolled: 1-line block ×15, first 2 shown]
	v_ashrrev_i32_e32 v15, 31, v14
	v_add_u32_e32 v48, s7, v46
	v_lshlrev_b64 v[16:17], 2, v[14:15]
	v_add_u32_e32 v14, s7, v48
	v_ashrrev_i32_e32 v15, 31, v14
	v_lshlrev_b64 v[14:15], 2, v[14:15]
	v_mov_b32_e32 v27, s5
	v_add_co_u32_e32 v14, vcc, s4, v14
	v_addc_co_u32_e32 v15, vcc, v27, v15, vcc
	v_mov_b32_e32 v21, s5
	v_add_co_u32_e32 v16, vcc, s4, v16
	v_addc_co_u32_e32 v17, vcc, v21, v17, vcc
	s_waitcnt vmcnt(5)
	buffer_store_dword v19, off, s[0:3], 0
	v_ashrrev_i32_e32 v19, 31, v18
	v_lshlrev_b64 v[18:19], 2, v[18:19]
	v_add_co_u32_e32 v18, vcc, s4, v18
	v_addc_co_u32_e32 v19, vcc, v21, v19, vcc
	v_ashrrev_i32_e32 v21, 31, v20
	v_lshlrev_b64 v[20:21], 2, v[20:21]
	v_add_co_u32_e32 v20, vcc, s4, v20
	global_load_dword v50, v[14:15], off
	v_addc_co_u32_e32 v21, vcc, v27, v21, vcc
	global_load_dword v51, v[16:17], off
	global_load_dword v52, v[18:19], off
	;; [unrolled: 1-line block ×3, first 2 shown]
	s_waitcnt vmcnt(9)
	buffer_store_dword v23, off, s[0:3], 0 offset:4
	s_waitcnt vmcnt(9)
	buffer_store_dword v25, off, s[0:3], 0 offset:8
	v_ashrrev_i32_e32 v23, 31, v22
	v_lshlrev_b64 v[22:23], 2, v[22:23]
	v_mov_b32_e32 v25, s5
	v_add_co_u32_e32 v22, vcc, s4, v22
	v_addc_co_u32_e32 v23, vcc, v25, v23, vcc
	v_ashrrev_i32_e32 v25, 31, v24
	v_lshlrev_b64 v[24:25], 2, v[24:25]
	v_add_co_u32_e32 v24, vcc, s4, v24
	v_addc_co_u32_e32 v25, vcc, v27, v25, vcc
	v_ashrrev_i32_e32 v27, 31, v26
	v_lshlrev_b64 v[26:27], 2, v[26:27]
	v_mov_b32_e32 v29, s5
	v_add_co_u32_e32 v26, vcc, s4, v26
	v_addc_co_u32_e32 v27, vcc, v29, v27, vcc
	v_ashrrev_i32_e32 v29, 31, v28
	v_lshlrev_b64 v[28:29], 2, v[28:29]
	v_mov_b32_e32 v31, s5
	;; [unrolled: 5-line block ×3, first 2 shown]
	v_add_co_u32_e32 v30, vcc, s4, v30
	s_waitcnt vmcnt(9)
	buffer_store_dword v33, off, s[0:3], 0 offset:12
	s_waitcnt vmcnt(9)
	buffer_store_dword v35, off, s[0:3], 0 offset:16
	;; [unrolled: 2-line block ×3, first 2 shown]
	v_ashrrev_i32_e32 v33, 31, v32
	v_addc_co_u32_e32 v31, vcc, v39, v31, vcc
	v_lshlrev_b64 v[32:33], 2, v[32:33]
	v_mov_b32_e32 v35, s5
	v_add_co_u32_e32 v32, vcc, s4, v32
	v_addc_co_u32_e32 v33, vcc, v35, v33, vcc
	v_ashrrev_i32_e32 v35, 31, v34
	v_lshlrev_b64 v[34:35], 2, v[34:35]
	v_mov_b32_e32 v37, s5
	v_add_co_u32_e32 v34, vcc, s4, v34
	v_addc_co_u32_e32 v35, vcc, v37, v35, vcc
	v_ashrrev_i32_e32 v37, 31, v36
	v_lshlrev_b64 v[36:37], 2, v[36:37]
	v_add_co_u32_e32 v36, vcc, s4, v36
	v_addc_co_u32_e32 v37, vcc, v39, v37, vcc
	v_ashrrev_i32_e32 v39, 31, v38
	v_lshlrev_b64 v[38:39], 2, v[38:39]
	v_mov_b32_e32 v41, s5
	v_add_co_u32_e32 v38, vcc, s4, v38
	v_addc_co_u32_e32 v39, vcc, v41, v39, vcc
	v_ashrrev_i32_e32 v41, 31, v40
	v_lshlrev_b64 v[40:41], 2, v[40:41]
	v_mov_b32_e32 v43, s5
	;; [unrolled: 5-line block ×6, first 2 shown]
	v_add_co_u32_e32 v48, vcc, s4, v48
	global_load_dword v54, v[22:23], off
	global_load_dword v55, v[24:25], off
	;; [unrolled: 1-line block ×8, first 2 shown]
	v_addc_co_u32_e32 v49, vcc, v61, v49, vcc
	global_load_dword v63, v[38:39], off
	global_load_dword v64, v[40:41], off
	;; [unrolled: 1-line block ×6, first 2 shown]
	s_cmpk_lg_i32 s13, 0x84
	s_waitcnt vmcnt(21)
	buffer_store_dword v51, off, s[0:3], 0 offset:24
	s_waitcnt vmcnt(21)
	buffer_store_dword v52, off, s[0:3], 0 offset:28
	;; [unrolled: 2-line block ×5, first 2 shown]
	buffer_store_dword v55, off, s[0:3], 0 offset:40
	s_waitcnt vmcnt(16)
	buffer_store_dword v57, off, s[0:3], 0 offset:48
	s_waitcnt vmcnt(16)
	;; [unrolled: 2-line block ×3, first 2 shown]
	buffer_store_dword v59, off, s[0:3], 0 offset:56
	v_mov_b32_e32 v61, 0
	s_waitcnt vmcnt(16)
	buffer_store_dword v60, off, s[0:3], 0 offset:60
	s_waitcnt vmcnt(16)
	buffer_store_dword v62, off, s[0:3], 0 offset:64
	;; [unrolled: 2-line block ×7, first 2 shown]
	buffer_store_dword v50, off, s[0:3], 0 offset:92
	buffer_store_dword v66, off, s[0:3], 0 offset:88
	s_cselect_b64 s[8:9], -1, 0
	s_cmpk_eq_i32 s13, 0x84
	v_mov_b32_e32 v50, -1.0
	s_cbranch_scc1 .LBB87_3
; %bb.2:
	v_lshl_add_u32 v50, v0, 2, v61
	buffer_load_dword v51, v50, s[0:3], 0 offen
	s_waitcnt vmcnt(0)
	v_div_scale_f32 v52, s[4:5], v51, v51, 1.0
	v_rcp_f32_e32 v53, v52
	v_div_scale_f32 v54, vcc, 1.0, v51, 1.0
	v_fma_f32 v55, -v52, v53, 1.0
	v_fmac_f32_e32 v53, v55, v53
	v_mul_f32_e32 v55, v54, v53
	v_fma_f32 v56, -v52, v55, v54
	v_fmac_f32_e32 v55, v56, v53
	v_fma_f32 v52, -v52, v55, v54
	v_div_fmas_f32 v52, v52, v53, v55
	v_div_fixup_f32 v51, v52, v51, 1.0
	buffer_store_dword v51, v50, s[0:3], 0 offen
	v_xor_b32_e32 v50, 0x80000000, v51
.LBB87_3:
	ds_write_b32 v1, v50
	s_cmpk_eq_i32 s12, 0x79
	v_add_u32_e32 v50, 0x60, v1
	v_add_u32_e32 v51, 0, v1
	s_mov_b64 s[4:5], -1
	s_cbranch_scc1 .LBB87_227
; %bb.4:
	buffer_load_dword v52, off, s[0:3], 0 offset:88
	v_cmp_eq_u32_e64 s[4:5], 23, v0
	s_waitcnt vmcnt(0)
	ds_write_b32 v50, v52
	s_waitcnt lgkmcnt(0)
	; wave barrier
	s_waitcnt lgkmcnt(0)
	s_and_saveexec_b64 s[6:7], s[4:5]
	s_cbranch_execz .LBB87_10
; %bb.5:
	s_and_b64 vcc, exec, s[8:9]
	s_cbranch_vccz .LBB87_7
; %bb.6:
	buffer_load_dword v52, v51, s[0:3], 0 offen
	ds_read_b32 v53, v50
	s_waitcnt vmcnt(0) lgkmcnt(0)
	v_mul_f32_e32 v52, v52, v53
	s_cbranch_execz .LBB87_8
	s_branch .LBB87_9
.LBB87_7:
                                        ; implicit-def: $vgpr52
.LBB87_8:
	ds_read_b32 v52, v50
.LBB87_9:
	v_mov_b32_e32 v53, 0
	ds_read_b32 v53, v53 offset:88
	s_waitcnt lgkmcnt(0)
	v_mul_f32_e32 v52, v52, v53
	buffer_store_dword v52, off, s[0:3], 0 offset:88
.LBB87_10:
	s_or_b64 exec, exec, s[6:7]
	buffer_load_dword v62, off, s[0:3], 0 offset:84
	v_or_b32_e32 v52, 8, v61
	v_add_u32_e32 v53, 16, v61
	v_add_u32_e32 v54, 24, v61
	;; [unrolled: 1-line block ×9, first 2 shown]
	v_cmp_lt_u32_e64 s[6:7], 21, v0
	s_waitcnt vmcnt(0)
	ds_write_b32 v50, v62
	s_waitcnt lgkmcnt(0)
	; wave barrier
	s_waitcnt lgkmcnt(0)
	s_and_saveexec_b64 s[10:11], s[6:7]
	s_cbranch_execz .LBB87_16
; %bb.11:
	s_andn2_b64 vcc, exec, s[8:9]
	s_cbranch_vccnz .LBB87_13
; %bb.12:
	buffer_load_dword v62, v51, s[0:3], 0 offen
	ds_read_b32 v63, v50
	s_waitcnt vmcnt(0) lgkmcnt(0)
	v_mul_f32_e32 v62, v62, v63
	s_cbranch_execz .LBB87_14
	s_branch .LBB87_15
.LBB87_13:
                                        ; implicit-def: $vgpr62
.LBB87_14:
	ds_read_b32 v62, v50
.LBB87_15:
	buffer_load_dword v63, off, s[0:3], 0 offset:88
	v_mov_b32_e32 v64, 0
	ds_read2_b32 v[64:65], v64 offset0:21 offset1:46
	s_waitcnt vmcnt(0) lgkmcnt(0)
	v_fma_f32 v63, v63, v65, v62
	v_cndmask_b32_e64 v62, v62, v63, s[4:5]
	v_mul_f32_e32 v62, v62, v64
	buffer_store_dword v62, off, s[0:3], 0 offset:84
.LBB87_16:
	s_or_b64 exec, exec, s[10:11]
	buffer_load_dword v62, off, s[0:3], 0 offset:80
	v_cmp_lt_u32_e64 s[4:5], 20, v0
	s_waitcnt vmcnt(0)
	ds_write_b32 v50, v62
	s_waitcnt lgkmcnt(0)
	; wave barrier
	s_waitcnt lgkmcnt(0)
	s_and_saveexec_b64 s[10:11], s[4:5]
	s_cbranch_execz .LBB87_26
; %bb.17:
	s_andn2_b64 vcc, exec, s[8:9]
	s_cbranch_vccnz .LBB87_19
; %bb.18:
	buffer_load_dword v62, v51, s[0:3], 0 offen
	ds_read_b32 v63, v50
	s_waitcnt vmcnt(0) lgkmcnt(0)
	v_mul_f32_e32 v62, v62, v63
	s_cbranch_execz .LBB87_20
	s_branch .LBB87_21
.LBB87_19:
                                        ; implicit-def: $vgpr62
.LBB87_20:
	ds_read_b32 v62, v50
.LBB87_21:
	s_and_saveexec_b64 s[12:13], s[6:7]
	s_cbranch_execz .LBB87_25
; %bb.22:
	v_mov_b32_e32 v63, 0
	v_add_u32_e32 v63, 0x54, v63
	v_subrev_u32_e32 v64, 21, v0
	s_movk_i32 s14, 0xb4
	s_mov_b64 s[6:7], 0
.LBB87_23:                              ; =>This Inner Loop Header: Depth=1
	buffer_load_dword v65, v63, s[0:3], 0 offen
	v_mov_b32_e32 v66, s14
	ds_read_b32 v66, v66
	v_add_u32_e32 v64, -1, v64
	s_add_i32 s14, s14, 4
	v_cmp_eq_u32_e32 vcc, 0, v64
	v_add_u32_e32 v63, 4, v63
	s_or_b64 s[6:7], vcc, s[6:7]
	s_waitcnt vmcnt(0) lgkmcnt(0)
	v_fmac_f32_e32 v62, v65, v66
	s_andn2_b64 exec, exec, s[6:7]
	s_cbranch_execnz .LBB87_23
; %bb.24:
	s_or_b64 exec, exec, s[6:7]
.LBB87_25:
	s_or_b64 exec, exec, s[12:13]
	v_mov_b32_e32 v63, 0
	ds_read_b32 v63, v63 offset:80
	s_waitcnt lgkmcnt(0)
	v_mul_f32_e32 v62, v62, v63
	buffer_store_dword v62, off, s[0:3], 0 offset:80
.LBB87_26:
	s_or_b64 exec, exec, s[10:11]
	buffer_load_dword v62, off, s[0:3], 0 offset:76
	v_cmp_lt_u32_e64 s[6:7], 19, v0
	s_waitcnt vmcnt(0)
	ds_write_b32 v50, v62
	s_waitcnt lgkmcnt(0)
	; wave barrier
	s_waitcnt lgkmcnt(0)
	s_and_saveexec_b64 s[10:11], s[6:7]
	s_cbranch_execz .LBB87_36
; %bb.27:
	s_andn2_b64 vcc, exec, s[8:9]
	s_cbranch_vccnz .LBB87_29
; %bb.28:
	buffer_load_dword v62, v51, s[0:3], 0 offen
	ds_read_b32 v63, v50
	s_waitcnt vmcnt(0) lgkmcnt(0)
	v_mul_f32_e32 v62, v62, v63
	s_cbranch_execz .LBB87_30
	s_branch .LBB87_31
.LBB87_29:
                                        ; implicit-def: $vgpr62
.LBB87_30:
	ds_read_b32 v62, v50
.LBB87_31:
	s_and_saveexec_b64 s[12:13], s[4:5]
	s_cbranch_execz .LBB87_35
; %bb.32:
	v_subrev_u32_e32 v63, 20, v0
	s_movk_i32 s14, 0xb0
	s_mov_b64 s[4:5], 0
.LBB87_33:                              ; =>This Inner Loop Header: Depth=1
	buffer_load_dword v64, v61, s[0:3], 0 offen
	v_mov_b32_e32 v65, s14
	ds_read_b32 v65, v65
	v_add_u32_e32 v63, -1, v63
	s_add_i32 s14, s14, 4
	v_cmp_eq_u32_e32 vcc, 0, v63
	v_add_u32_e32 v61, 4, v61
	s_or_b64 s[4:5], vcc, s[4:5]
	s_waitcnt vmcnt(0) lgkmcnt(0)
	v_fmac_f32_e32 v62, v64, v65
	s_andn2_b64 exec, exec, s[4:5]
	s_cbranch_execnz .LBB87_33
; %bb.34:
	s_or_b64 exec, exec, s[4:5]
.LBB87_35:
	s_or_b64 exec, exec, s[12:13]
	v_mov_b32_e32 v61, 0
	ds_read_b32 v61, v61 offset:76
	s_waitcnt lgkmcnt(0)
	v_mul_f32_e32 v61, v62, v61
	buffer_store_dword v61, off, s[0:3], 0 offset:76
.LBB87_36:
	s_or_b64 exec, exec, s[10:11]
	buffer_load_dword v61, off, s[0:3], 0 offset:72
	v_cmp_lt_u32_e64 s[4:5], 18, v0
	s_waitcnt vmcnt(0)
	ds_write_b32 v50, v61
	s_waitcnt lgkmcnt(0)
	; wave barrier
	s_waitcnt lgkmcnt(0)
	s_and_saveexec_b64 s[10:11], s[4:5]
	s_cbranch_execz .LBB87_46
; %bb.37:
	s_andn2_b64 vcc, exec, s[8:9]
	s_cbranch_vccnz .LBB87_39
; %bb.38:
	buffer_load_dword v61, v51, s[0:3], 0 offen
	ds_read_b32 v62, v50
	s_waitcnt vmcnt(0) lgkmcnt(0)
	v_mul_f32_e32 v61, v61, v62
	s_cbranch_execz .LBB87_40
	s_branch .LBB87_41
.LBB87_39:
                                        ; implicit-def: $vgpr61
.LBB87_40:
	ds_read_b32 v61, v50
.LBB87_41:
	s_and_saveexec_b64 s[12:13], s[6:7]
	s_cbranch_execz .LBB87_45
; %bb.42:
	v_mov_b32_e32 v62, 0
	v_add_u32_e32 v62, 0x4c, v62
	v_subrev_u32_e32 v63, 19, v0
	s_movk_i32 s14, 0xac
	s_mov_b64 s[6:7], 0
.LBB87_43:                              ; =>This Inner Loop Header: Depth=1
	buffer_load_dword v64, v62, s[0:3], 0 offen
	v_mov_b32_e32 v65, s14
	ds_read_b32 v65, v65
	v_add_u32_e32 v63, -1, v63
	s_add_i32 s14, s14, 4
	v_cmp_eq_u32_e32 vcc, 0, v63
	v_add_u32_e32 v62, 4, v62
	s_or_b64 s[6:7], vcc, s[6:7]
	s_waitcnt vmcnt(0) lgkmcnt(0)
	v_fmac_f32_e32 v61, v64, v65
	s_andn2_b64 exec, exec, s[6:7]
	s_cbranch_execnz .LBB87_43
; %bb.44:
	s_or_b64 exec, exec, s[6:7]
.LBB87_45:
	s_or_b64 exec, exec, s[12:13]
	v_mov_b32_e32 v62, 0
	ds_read_b32 v62, v62 offset:72
	s_waitcnt lgkmcnt(0)
	v_mul_f32_e32 v61, v61, v62
	buffer_store_dword v61, off, s[0:3], 0 offset:72
.LBB87_46:
	s_or_b64 exec, exec, s[10:11]
	buffer_load_dword v61, off, s[0:3], 0 offset:68
	v_cmp_lt_u32_e64 s[6:7], 17, v0
	s_waitcnt vmcnt(0)
	ds_write_b32 v50, v61
	s_waitcnt lgkmcnt(0)
	; wave barrier
	s_waitcnt lgkmcnt(0)
	s_and_saveexec_b64 s[10:11], s[6:7]
	s_cbranch_execz .LBB87_56
; %bb.47:
	s_andn2_b64 vcc, exec, s[8:9]
	s_cbranch_vccnz .LBB87_49
; %bb.48:
	buffer_load_dword v61, v51, s[0:3], 0 offen
	ds_read_b32 v62, v50
	s_waitcnt vmcnt(0) lgkmcnt(0)
	v_mul_f32_e32 v61, v61, v62
	s_cbranch_execz .LBB87_50
	s_branch .LBB87_51
.LBB87_49:
                                        ; implicit-def: $vgpr61
.LBB87_50:
	ds_read_b32 v61, v50
.LBB87_51:
	s_and_saveexec_b64 s[12:13], s[4:5]
	s_cbranch_execz .LBB87_55
; %bb.52:
	v_subrev_u32_e32 v62, 18, v0
	s_movk_i32 s14, 0xa8
	s_mov_b64 s[4:5], 0
.LBB87_53:                              ; =>This Inner Loop Header: Depth=1
	buffer_load_dword v63, v60, s[0:3], 0 offen
	v_mov_b32_e32 v64, s14
	ds_read_b32 v64, v64
	v_add_u32_e32 v62, -1, v62
	s_add_i32 s14, s14, 4
	v_cmp_eq_u32_e32 vcc, 0, v62
	v_add_u32_e32 v60, 4, v60
	s_or_b64 s[4:5], vcc, s[4:5]
	s_waitcnt vmcnt(0) lgkmcnt(0)
	v_fmac_f32_e32 v61, v63, v64
	s_andn2_b64 exec, exec, s[4:5]
	s_cbranch_execnz .LBB87_53
; %bb.54:
	s_or_b64 exec, exec, s[4:5]
.LBB87_55:
	s_or_b64 exec, exec, s[12:13]
	v_mov_b32_e32 v60, 0
	ds_read_b32 v60, v60 offset:68
	s_waitcnt lgkmcnt(0)
	v_mul_f32_e32 v60, v61, v60
	buffer_store_dword v60, off, s[0:3], 0 offset:68
.LBB87_56:
	s_or_b64 exec, exec, s[10:11]
	buffer_load_dword v60, off, s[0:3], 0 offset:64
	v_cmp_lt_u32_e64 s[4:5], 16, v0
	s_waitcnt vmcnt(0)
	ds_write_b32 v50, v60
	s_waitcnt lgkmcnt(0)
	; wave barrier
	s_waitcnt lgkmcnt(0)
	s_and_saveexec_b64 s[10:11], s[4:5]
	s_cbranch_execz .LBB87_66
; %bb.57:
	s_andn2_b64 vcc, exec, s[8:9]
	s_cbranch_vccnz .LBB87_59
; %bb.58:
	buffer_load_dword v60, v51, s[0:3], 0 offen
	ds_read_b32 v61, v50
	s_waitcnt vmcnt(0) lgkmcnt(0)
	v_mul_f32_e32 v60, v60, v61
	s_cbranch_execz .LBB87_60
	s_branch .LBB87_61
.LBB87_59:
                                        ; implicit-def: $vgpr60
.LBB87_60:
	ds_read_b32 v60, v50
.LBB87_61:
	s_and_saveexec_b64 s[12:13], s[6:7]
	s_cbranch_execz .LBB87_65
; %bb.62:
	v_mov_b32_e32 v61, 0
	v_add_u32_e32 v61, 0x44, v61
	v_subrev_u32_e32 v62, 17, v0
	s_movk_i32 s14, 0xa4
	s_mov_b64 s[6:7], 0
.LBB87_63:                              ; =>This Inner Loop Header: Depth=1
	buffer_load_dword v63, v61, s[0:3], 0 offen
	v_mov_b32_e32 v64, s14
	ds_read_b32 v64, v64
	v_add_u32_e32 v62, -1, v62
	s_add_i32 s14, s14, 4
	v_cmp_eq_u32_e32 vcc, 0, v62
	v_add_u32_e32 v61, 4, v61
	s_or_b64 s[6:7], vcc, s[6:7]
	s_waitcnt vmcnt(0) lgkmcnt(0)
	v_fmac_f32_e32 v60, v63, v64
	s_andn2_b64 exec, exec, s[6:7]
	s_cbranch_execnz .LBB87_63
; %bb.64:
	s_or_b64 exec, exec, s[6:7]
.LBB87_65:
	s_or_b64 exec, exec, s[12:13]
	v_mov_b32_e32 v61, 0
	ds_read_b32 v61, v61 offset:64
	s_waitcnt lgkmcnt(0)
	v_mul_f32_e32 v60, v60, v61
	buffer_store_dword v60, off, s[0:3], 0 offset:64
.LBB87_66:
	s_or_b64 exec, exec, s[10:11]
	buffer_load_dword v60, off, s[0:3], 0 offset:60
	v_cmp_lt_u32_e64 s[6:7], 15, v0
	s_waitcnt vmcnt(0)
	ds_write_b32 v50, v60
	s_waitcnt lgkmcnt(0)
	; wave barrier
	s_waitcnt lgkmcnt(0)
	s_and_saveexec_b64 s[10:11], s[6:7]
	s_cbranch_execz .LBB87_76
; %bb.67:
	s_andn2_b64 vcc, exec, s[8:9]
	s_cbranch_vccnz .LBB87_69
; %bb.68:
	buffer_load_dword v60, v51, s[0:3], 0 offen
	ds_read_b32 v61, v50
	s_waitcnt vmcnt(0) lgkmcnt(0)
	v_mul_f32_e32 v60, v60, v61
	s_cbranch_execz .LBB87_70
	s_branch .LBB87_71
.LBB87_69:
                                        ; implicit-def: $vgpr60
.LBB87_70:
	ds_read_b32 v60, v50
.LBB87_71:
	s_and_saveexec_b64 s[12:13], s[4:5]
	s_cbranch_execz .LBB87_75
; %bb.72:
	v_add_u32_e32 v61, -16, v0
	s_movk_i32 s14, 0xa0
	s_mov_b64 s[4:5], 0
.LBB87_73:                              ; =>This Inner Loop Header: Depth=1
	buffer_load_dword v62, v59, s[0:3], 0 offen
	v_mov_b32_e32 v63, s14
	ds_read_b32 v63, v63
	v_add_u32_e32 v61, -1, v61
	s_add_i32 s14, s14, 4
	v_cmp_eq_u32_e32 vcc, 0, v61
	v_add_u32_e32 v59, 4, v59
	s_or_b64 s[4:5], vcc, s[4:5]
	s_waitcnt vmcnt(0) lgkmcnt(0)
	v_fmac_f32_e32 v60, v62, v63
	s_andn2_b64 exec, exec, s[4:5]
	s_cbranch_execnz .LBB87_73
; %bb.74:
	s_or_b64 exec, exec, s[4:5]
.LBB87_75:
	s_or_b64 exec, exec, s[12:13]
	v_mov_b32_e32 v59, 0
	ds_read_b32 v59, v59 offset:60
	s_waitcnt lgkmcnt(0)
	v_mul_f32_e32 v59, v60, v59
	buffer_store_dword v59, off, s[0:3], 0 offset:60
.LBB87_76:
	s_or_b64 exec, exec, s[10:11]
	buffer_load_dword v59, off, s[0:3], 0 offset:56
	v_cmp_lt_u32_e64 s[4:5], 14, v0
	s_waitcnt vmcnt(0)
	ds_write_b32 v50, v59
	s_waitcnt lgkmcnt(0)
	; wave barrier
	s_waitcnt lgkmcnt(0)
	s_and_saveexec_b64 s[10:11], s[4:5]
	s_cbranch_execz .LBB87_86
; %bb.77:
	s_andn2_b64 vcc, exec, s[8:9]
	s_cbranch_vccnz .LBB87_79
; %bb.78:
	buffer_load_dword v59, v51, s[0:3], 0 offen
	ds_read_b32 v60, v50
	s_waitcnt vmcnt(0) lgkmcnt(0)
	v_mul_f32_e32 v59, v59, v60
	s_cbranch_execz .LBB87_80
	s_branch .LBB87_81
.LBB87_79:
                                        ; implicit-def: $vgpr59
.LBB87_80:
	ds_read_b32 v59, v50
.LBB87_81:
	s_and_saveexec_b64 s[12:13], s[6:7]
	s_cbranch_execz .LBB87_85
; %bb.82:
	v_mov_b32_e32 v60, 0
	v_add_u32_e32 v60, 60, v60
	v_add_u32_e32 v61, -15, v0
	s_movk_i32 s14, 0x9c
	s_mov_b64 s[6:7], 0
.LBB87_83:                              ; =>This Inner Loop Header: Depth=1
	buffer_load_dword v62, v60, s[0:3], 0 offen
	v_mov_b32_e32 v63, s14
	ds_read_b32 v63, v63
	v_add_u32_e32 v61, -1, v61
	s_add_i32 s14, s14, 4
	v_cmp_eq_u32_e32 vcc, 0, v61
	v_add_u32_e32 v60, 4, v60
	s_or_b64 s[6:7], vcc, s[6:7]
	s_waitcnt vmcnt(0) lgkmcnt(0)
	v_fmac_f32_e32 v59, v62, v63
	s_andn2_b64 exec, exec, s[6:7]
	s_cbranch_execnz .LBB87_83
; %bb.84:
	s_or_b64 exec, exec, s[6:7]
.LBB87_85:
	s_or_b64 exec, exec, s[12:13]
	v_mov_b32_e32 v60, 0
	ds_read_b32 v60, v60 offset:56
	s_waitcnt lgkmcnt(0)
	v_mul_f32_e32 v59, v59, v60
	buffer_store_dword v59, off, s[0:3], 0 offset:56
.LBB87_86:
	s_or_b64 exec, exec, s[10:11]
	buffer_load_dword v59, off, s[0:3], 0 offset:52
	v_cmp_lt_u32_e64 s[6:7], 13, v0
	s_waitcnt vmcnt(0)
	ds_write_b32 v50, v59
	s_waitcnt lgkmcnt(0)
	; wave barrier
	s_waitcnt lgkmcnt(0)
	s_and_saveexec_b64 s[10:11], s[6:7]
	s_cbranch_execz .LBB87_96
; %bb.87:
	s_andn2_b64 vcc, exec, s[8:9]
	s_cbranch_vccnz .LBB87_89
; %bb.88:
	buffer_load_dword v59, v51, s[0:3], 0 offen
	ds_read_b32 v60, v50
	s_waitcnt vmcnt(0) lgkmcnt(0)
	v_mul_f32_e32 v59, v59, v60
	s_cbranch_execz .LBB87_90
	s_branch .LBB87_91
.LBB87_89:
                                        ; implicit-def: $vgpr59
.LBB87_90:
	ds_read_b32 v59, v50
.LBB87_91:
	s_and_saveexec_b64 s[12:13], s[4:5]
	s_cbranch_execz .LBB87_95
; %bb.92:
	v_add_u32_e32 v60, -14, v0
	s_movk_i32 s14, 0x98
	s_mov_b64 s[4:5], 0
.LBB87_93:                              ; =>This Inner Loop Header: Depth=1
	buffer_load_dword v61, v58, s[0:3], 0 offen
	v_mov_b32_e32 v62, s14
	ds_read_b32 v62, v62
	v_add_u32_e32 v60, -1, v60
	s_add_i32 s14, s14, 4
	v_cmp_eq_u32_e32 vcc, 0, v60
	v_add_u32_e32 v58, 4, v58
	s_or_b64 s[4:5], vcc, s[4:5]
	s_waitcnt vmcnt(0) lgkmcnt(0)
	v_fmac_f32_e32 v59, v61, v62
	s_andn2_b64 exec, exec, s[4:5]
	s_cbranch_execnz .LBB87_93
; %bb.94:
	s_or_b64 exec, exec, s[4:5]
.LBB87_95:
	s_or_b64 exec, exec, s[12:13]
	v_mov_b32_e32 v58, 0
	ds_read_b32 v58, v58 offset:52
	s_waitcnt lgkmcnt(0)
	v_mul_f32_e32 v58, v59, v58
	buffer_store_dword v58, off, s[0:3], 0 offset:52
.LBB87_96:
	s_or_b64 exec, exec, s[10:11]
	buffer_load_dword v58, off, s[0:3], 0 offset:48
	v_cmp_lt_u32_e64 s[4:5], 12, v0
	s_waitcnt vmcnt(0)
	ds_write_b32 v50, v58
	s_waitcnt lgkmcnt(0)
	; wave barrier
	s_waitcnt lgkmcnt(0)
	s_and_saveexec_b64 s[10:11], s[4:5]
	s_cbranch_execz .LBB87_106
; %bb.97:
	s_andn2_b64 vcc, exec, s[8:9]
	s_cbranch_vccnz .LBB87_99
; %bb.98:
	buffer_load_dword v58, v51, s[0:3], 0 offen
	ds_read_b32 v59, v50
	s_waitcnt vmcnt(0) lgkmcnt(0)
	v_mul_f32_e32 v58, v58, v59
	s_cbranch_execz .LBB87_100
	s_branch .LBB87_101
.LBB87_99:
                                        ; implicit-def: $vgpr58
.LBB87_100:
	ds_read_b32 v58, v50
.LBB87_101:
	s_and_saveexec_b64 s[12:13], s[6:7]
	s_cbranch_execz .LBB87_105
; %bb.102:
	v_mov_b32_e32 v59, 0
	v_add_u32_e32 v59, 52, v59
	v_add_u32_e32 v60, -13, v0
	s_movk_i32 s14, 0x94
	s_mov_b64 s[6:7], 0
.LBB87_103:                             ; =>This Inner Loop Header: Depth=1
	buffer_load_dword v61, v59, s[0:3], 0 offen
	v_mov_b32_e32 v62, s14
	ds_read_b32 v62, v62
	v_add_u32_e32 v60, -1, v60
	s_add_i32 s14, s14, 4
	v_cmp_eq_u32_e32 vcc, 0, v60
	v_add_u32_e32 v59, 4, v59
	s_or_b64 s[6:7], vcc, s[6:7]
	s_waitcnt vmcnt(0) lgkmcnt(0)
	v_fmac_f32_e32 v58, v61, v62
	s_andn2_b64 exec, exec, s[6:7]
	s_cbranch_execnz .LBB87_103
; %bb.104:
	s_or_b64 exec, exec, s[6:7]
.LBB87_105:
	s_or_b64 exec, exec, s[12:13]
	v_mov_b32_e32 v59, 0
	ds_read_b32 v59, v59 offset:48
	s_waitcnt lgkmcnt(0)
	v_mul_f32_e32 v58, v58, v59
	buffer_store_dword v58, off, s[0:3], 0 offset:48
.LBB87_106:
	s_or_b64 exec, exec, s[10:11]
	buffer_load_dword v58, off, s[0:3], 0 offset:44
	v_cmp_lt_u32_e64 s[6:7], 11, v0
	s_waitcnt vmcnt(0)
	ds_write_b32 v50, v58
	s_waitcnt lgkmcnt(0)
	; wave barrier
	s_waitcnt lgkmcnt(0)
	s_and_saveexec_b64 s[10:11], s[6:7]
	s_cbranch_execz .LBB87_116
; %bb.107:
	s_andn2_b64 vcc, exec, s[8:9]
	s_cbranch_vccnz .LBB87_109
; %bb.108:
	buffer_load_dword v58, v51, s[0:3], 0 offen
	ds_read_b32 v59, v50
	s_waitcnt vmcnt(0) lgkmcnt(0)
	v_mul_f32_e32 v58, v58, v59
	s_cbranch_execz .LBB87_110
	s_branch .LBB87_111
.LBB87_109:
                                        ; implicit-def: $vgpr58
.LBB87_110:
	ds_read_b32 v58, v50
.LBB87_111:
	s_and_saveexec_b64 s[12:13], s[4:5]
	s_cbranch_execz .LBB87_115
; %bb.112:
	v_add_u32_e32 v59, -12, v0
	s_movk_i32 s14, 0x90
	s_mov_b64 s[4:5], 0
.LBB87_113:                             ; =>This Inner Loop Header: Depth=1
	buffer_load_dword v60, v57, s[0:3], 0 offen
	v_mov_b32_e32 v61, s14
	ds_read_b32 v61, v61
	v_add_u32_e32 v59, -1, v59
	s_add_i32 s14, s14, 4
	v_cmp_eq_u32_e32 vcc, 0, v59
	v_add_u32_e32 v57, 4, v57
	s_or_b64 s[4:5], vcc, s[4:5]
	s_waitcnt vmcnt(0) lgkmcnt(0)
	v_fmac_f32_e32 v58, v60, v61
	s_andn2_b64 exec, exec, s[4:5]
	s_cbranch_execnz .LBB87_113
; %bb.114:
	s_or_b64 exec, exec, s[4:5]
.LBB87_115:
	s_or_b64 exec, exec, s[12:13]
	v_mov_b32_e32 v57, 0
	ds_read_b32 v57, v57 offset:44
	s_waitcnt lgkmcnt(0)
	v_mul_f32_e32 v57, v58, v57
	buffer_store_dword v57, off, s[0:3], 0 offset:44
.LBB87_116:
	s_or_b64 exec, exec, s[10:11]
	buffer_load_dword v57, off, s[0:3], 0 offset:40
	v_cmp_lt_u32_e64 s[4:5], 10, v0
	s_waitcnt vmcnt(0)
	ds_write_b32 v50, v57
	s_waitcnt lgkmcnt(0)
	; wave barrier
	s_waitcnt lgkmcnt(0)
	s_and_saveexec_b64 s[10:11], s[4:5]
	s_cbranch_execz .LBB87_126
; %bb.117:
	s_andn2_b64 vcc, exec, s[8:9]
	s_cbranch_vccnz .LBB87_119
; %bb.118:
	buffer_load_dword v57, v51, s[0:3], 0 offen
	ds_read_b32 v58, v50
	s_waitcnt vmcnt(0) lgkmcnt(0)
	v_mul_f32_e32 v57, v57, v58
	s_cbranch_execz .LBB87_120
	s_branch .LBB87_121
.LBB87_119:
                                        ; implicit-def: $vgpr57
.LBB87_120:
	ds_read_b32 v57, v50
.LBB87_121:
	s_and_saveexec_b64 s[12:13], s[6:7]
	s_cbranch_execz .LBB87_125
; %bb.122:
	v_mov_b32_e32 v58, 0
	v_add_u32_e32 v58, 44, v58
	v_add_u32_e32 v59, -11, v0
	s_movk_i32 s14, 0x8c
	s_mov_b64 s[6:7], 0
.LBB87_123:                             ; =>This Inner Loop Header: Depth=1
	buffer_load_dword v60, v58, s[0:3], 0 offen
	v_mov_b32_e32 v61, s14
	ds_read_b32 v61, v61
	v_add_u32_e32 v59, -1, v59
	s_add_i32 s14, s14, 4
	v_cmp_eq_u32_e32 vcc, 0, v59
	v_add_u32_e32 v58, 4, v58
	s_or_b64 s[6:7], vcc, s[6:7]
	s_waitcnt vmcnt(0) lgkmcnt(0)
	v_fmac_f32_e32 v57, v60, v61
	s_andn2_b64 exec, exec, s[6:7]
	s_cbranch_execnz .LBB87_123
; %bb.124:
	s_or_b64 exec, exec, s[6:7]
.LBB87_125:
	s_or_b64 exec, exec, s[12:13]
	v_mov_b32_e32 v58, 0
	ds_read_b32 v58, v58 offset:40
	s_waitcnt lgkmcnt(0)
	v_mul_f32_e32 v57, v57, v58
	buffer_store_dword v57, off, s[0:3], 0 offset:40
.LBB87_126:
	s_or_b64 exec, exec, s[10:11]
	buffer_load_dword v57, off, s[0:3], 0 offset:36
	v_cmp_lt_u32_e64 s[6:7], 9, v0
	s_waitcnt vmcnt(0)
	ds_write_b32 v50, v57
	s_waitcnt lgkmcnt(0)
	; wave barrier
	s_waitcnt lgkmcnt(0)
	s_and_saveexec_b64 s[10:11], s[6:7]
	s_cbranch_execz .LBB87_136
; %bb.127:
	s_andn2_b64 vcc, exec, s[8:9]
	s_cbranch_vccnz .LBB87_129
; %bb.128:
	buffer_load_dword v57, v51, s[0:3], 0 offen
	ds_read_b32 v58, v50
	s_waitcnt vmcnt(0) lgkmcnt(0)
	v_mul_f32_e32 v57, v57, v58
	s_cbranch_execz .LBB87_130
	s_branch .LBB87_131
.LBB87_129:
                                        ; implicit-def: $vgpr57
.LBB87_130:
	ds_read_b32 v57, v50
.LBB87_131:
	s_and_saveexec_b64 s[12:13], s[4:5]
	s_cbranch_execz .LBB87_135
; %bb.132:
	v_add_u32_e32 v58, -10, v0
	s_movk_i32 s14, 0x88
	s_mov_b64 s[4:5], 0
.LBB87_133:                             ; =>This Inner Loop Header: Depth=1
	buffer_load_dword v59, v56, s[0:3], 0 offen
	v_mov_b32_e32 v60, s14
	ds_read_b32 v60, v60
	v_add_u32_e32 v58, -1, v58
	s_add_i32 s14, s14, 4
	v_cmp_eq_u32_e32 vcc, 0, v58
	v_add_u32_e32 v56, 4, v56
	s_or_b64 s[4:5], vcc, s[4:5]
	s_waitcnt vmcnt(0) lgkmcnt(0)
	v_fmac_f32_e32 v57, v59, v60
	s_andn2_b64 exec, exec, s[4:5]
	s_cbranch_execnz .LBB87_133
; %bb.134:
	s_or_b64 exec, exec, s[4:5]
.LBB87_135:
	s_or_b64 exec, exec, s[12:13]
	v_mov_b32_e32 v56, 0
	ds_read_b32 v56, v56 offset:36
	s_waitcnt lgkmcnt(0)
	v_mul_f32_e32 v56, v57, v56
	buffer_store_dword v56, off, s[0:3], 0 offset:36
.LBB87_136:
	s_or_b64 exec, exec, s[10:11]
	buffer_load_dword v56, off, s[0:3], 0 offset:32
	v_cmp_lt_u32_e64 s[4:5], 8, v0
	s_waitcnt vmcnt(0)
	ds_write_b32 v50, v56
	s_waitcnt lgkmcnt(0)
	; wave barrier
	s_waitcnt lgkmcnt(0)
	s_and_saveexec_b64 s[10:11], s[4:5]
	s_cbranch_execz .LBB87_146
; %bb.137:
	s_andn2_b64 vcc, exec, s[8:9]
	s_cbranch_vccnz .LBB87_139
; %bb.138:
	buffer_load_dword v56, v51, s[0:3], 0 offen
	ds_read_b32 v57, v50
	s_waitcnt vmcnt(0) lgkmcnt(0)
	v_mul_f32_e32 v56, v56, v57
	s_cbranch_execz .LBB87_140
	s_branch .LBB87_141
.LBB87_139:
                                        ; implicit-def: $vgpr56
.LBB87_140:
	ds_read_b32 v56, v50
.LBB87_141:
	s_and_saveexec_b64 s[12:13], s[6:7]
	s_cbranch_execz .LBB87_145
; %bb.142:
	v_mov_b32_e32 v57, 0
	v_add_u32_e32 v57, 36, v57
	v_add_u32_e32 v58, -9, v0
	s_movk_i32 s14, 0x84
	s_mov_b64 s[6:7], 0
.LBB87_143:                             ; =>This Inner Loop Header: Depth=1
	buffer_load_dword v59, v57, s[0:3], 0 offen
	v_mov_b32_e32 v60, s14
	ds_read_b32 v60, v60
	v_add_u32_e32 v58, -1, v58
	s_add_i32 s14, s14, 4
	v_cmp_eq_u32_e32 vcc, 0, v58
	v_add_u32_e32 v57, 4, v57
	s_or_b64 s[6:7], vcc, s[6:7]
	s_waitcnt vmcnt(0) lgkmcnt(0)
	v_fmac_f32_e32 v56, v59, v60
	s_andn2_b64 exec, exec, s[6:7]
	s_cbranch_execnz .LBB87_143
; %bb.144:
	s_or_b64 exec, exec, s[6:7]
.LBB87_145:
	s_or_b64 exec, exec, s[12:13]
	v_mov_b32_e32 v57, 0
	ds_read_b32 v57, v57 offset:32
	s_waitcnt lgkmcnt(0)
	v_mul_f32_e32 v56, v56, v57
	buffer_store_dword v56, off, s[0:3], 0 offset:32
.LBB87_146:
	s_or_b64 exec, exec, s[10:11]
	buffer_load_dword v56, off, s[0:3], 0 offset:28
	v_cmp_lt_u32_e64 s[6:7], 7, v0
	s_waitcnt vmcnt(0)
	ds_write_b32 v50, v56
	s_waitcnt lgkmcnt(0)
	; wave barrier
	s_waitcnt lgkmcnt(0)
	s_and_saveexec_b64 s[10:11], s[6:7]
	s_cbranch_execz .LBB87_156
; %bb.147:
	s_andn2_b64 vcc, exec, s[8:9]
	s_cbranch_vccnz .LBB87_149
; %bb.148:
	buffer_load_dword v56, v51, s[0:3], 0 offen
	ds_read_b32 v57, v50
	s_waitcnt vmcnt(0) lgkmcnt(0)
	v_mul_f32_e32 v56, v56, v57
	s_cbranch_execz .LBB87_150
	s_branch .LBB87_151
.LBB87_149:
                                        ; implicit-def: $vgpr56
.LBB87_150:
	ds_read_b32 v56, v50
.LBB87_151:
	s_and_saveexec_b64 s[12:13], s[4:5]
	s_cbranch_execz .LBB87_155
; %bb.152:
	v_add_u32_e32 v57, -8, v0
	s_movk_i32 s14, 0x80
	s_mov_b64 s[4:5], 0
.LBB87_153:                             ; =>This Inner Loop Header: Depth=1
	buffer_load_dword v58, v55, s[0:3], 0 offen
	v_mov_b32_e32 v59, s14
	ds_read_b32 v59, v59
	v_add_u32_e32 v57, -1, v57
	s_add_i32 s14, s14, 4
	v_cmp_eq_u32_e32 vcc, 0, v57
	v_add_u32_e32 v55, 4, v55
	s_or_b64 s[4:5], vcc, s[4:5]
	s_waitcnt vmcnt(0) lgkmcnt(0)
	v_fmac_f32_e32 v56, v58, v59
	s_andn2_b64 exec, exec, s[4:5]
	s_cbranch_execnz .LBB87_153
; %bb.154:
	s_or_b64 exec, exec, s[4:5]
.LBB87_155:
	s_or_b64 exec, exec, s[12:13]
	v_mov_b32_e32 v55, 0
	ds_read_b32 v55, v55 offset:28
	s_waitcnt lgkmcnt(0)
	v_mul_f32_e32 v55, v56, v55
	buffer_store_dword v55, off, s[0:3], 0 offset:28
.LBB87_156:
	s_or_b64 exec, exec, s[10:11]
	buffer_load_dword v55, off, s[0:3], 0 offset:24
	v_cmp_lt_u32_e64 s[4:5], 6, v0
	s_waitcnt vmcnt(0)
	ds_write_b32 v50, v55
	s_waitcnt lgkmcnt(0)
	; wave barrier
	s_waitcnt lgkmcnt(0)
	s_and_saveexec_b64 s[10:11], s[4:5]
	s_cbranch_execz .LBB87_166
; %bb.157:
	s_andn2_b64 vcc, exec, s[8:9]
	s_cbranch_vccnz .LBB87_159
; %bb.158:
	buffer_load_dword v55, v51, s[0:3], 0 offen
	ds_read_b32 v56, v50
	s_waitcnt vmcnt(0) lgkmcnt(0)
	v_mul_f32_e32 v55, v55, v56
	s_cbranch_execz .LBB87_160
	s_branch .LBB87_161
.LBB87_159:
                                        ; implicit-def: $vgpr55
.LBB87_160:
	ds_read_b32 v55, v50
.LBB87_161:
	s_and_saveexec_b64 s[12:13], s[6:7]
	s_cbranch_execz .LBB87_165
; %bb.162:
	v_mov_b32_e32 v56, 0
	v_add_u32_e32 v56, 28, v56
	v_add_u32_e32 v57, -7, v0
	s_movk_i32 s14, 0x7c
	s_mov_b64 s[6:7], 0
.LBB87_163:                             ; =>This Inner Loop Header: Depth=1
	buffer_load_dword v58, v56, s[0:3], 0 offen
	v_mov_b32_e32 v59, s14
	ds_read_b32 v59, v59
	v_add_u32_e32 v57, -1, v57
	s_add_i32 s14, s14, 4
	v_cmp_eq_u32_e32 vcc, 0, v57
	v_add_u32_e32 v56, 4, v56
	s_or_b64 s[6:7], vcc, s[6:7]
	s_waitcnt vmcnt(0) lgkmcnt(0)
	v_fmac_f32_e32 v55, v58, v59
	s_andn2_b64 exec, exec, s[6:7]
	s_cbranch_execnz .LBB87_163
; %bb.164:
	s_or_b64 exec, exec, s[6:7]
.LBB87_165:
	s_or_b64 exec, exec, s[12:13]
	v_mov_b32_e32 v56, 0
	ds_read_b32 v56, v56 offset:24
	s_waitcnt lgkmcnt(0)
	v_mul_f32_e32 v55, v55, v56
	buffer_store_dword v55, off, s[0:3], 0 offset:24
.LBB87_166:
	s_or_b64 exec, exec, s[10:11]
	buffer_load_dword v55, off, s[0:3], 0 offset:20
	v_cmp_lt_u32_e64 s[6:7], 5, v0
	s_waitcnt vmcnt(0)
	ds_write_b32 v50, v55
	s_waitcnt lgkmcnt(0)
	; wave barrier
	s_waitcnt lgkmcnt(0)
	s_and_saveexec_b64 s[10:11], s[6:7]
	s_cbranch_execz .LBB87_176
; %bb.167:
	s_andn2_b64 vcc, exec, s[8:9]
	s_cbranch_vccnz .LBB87_169
; %bb.168:
	buffer_load_dword v55, v51, s[0:3], 0 offen
	ds_read_b32 v56, v50
	s_waitcnt vmcnt(0) lgkmcnt(0)
	v_mul_f32_e32 v55, v55, v56
	s_cbranch_execz .LBB87_170
	s_branch .LBB87_171
.LBB87_169:
                                        ; implicit-def: $vgpr55
.LBB87_170:
	ds_read_b32 v55, v50
.LBB87_171:
	s_and_saveexec_b64 s[12:13], s[4:5]
	s_cbranch_execz .LBB87_175
; %bb.172:
	v_add_u32_e32 v56, -6, v0
	s_movk_i32 s14, 0x78
	s_mov_b64 s[4:5], 0
.LBB87_173:                             ; =>This Inner Loop Header: Depth=1
	buffer_load_dword v57, v54, s[0:3], 0 offen
	v_mov_b32_e32 v58, s14
	ds_read_b32 v58, v58
	v_add_u32_e32 v56, -1, v56
	s_add_i32 s14, s14, 4
	v_cmp_eq_u32_e32 vcc, 0, v56
	v_add_u32_e32 v54, 4, v54
	s_or_b64 s[4:5], vcc, s[4:5]
	s_waitcnt vmcnt(0) lgkmcnt(0)
	v_fmac_f32_e32 v55, v57, v58
	s_andn2_b64 exec, exec, s[4:5]
	s_cbranch_execnz .LBB87_173
; %bb.174:
	s_or_b64 exec, exec, s[4:5]
.LBB87_175:
	s_or_b64 exec, exec, s[12:13]
	v_mov_b32_e32 v54, 0
	ds_read_b32 v54, v54 offset:20
	s_waitcnt lgkmcnt(0)
	v_mul_f32_e32 v54, v55, v54
	buffer_store_dword v54, off, s[0:3], 0 offset:20
.LBB87_176:
	s_or_b64 exec, exec, s[10:11]
	buffer_load_dword v54, off, s[0:3], 0 offset:16
	v_cmp_lt_u32_e64 s[4:5], 4, v0
	s_waitcnt vmcnt(0)
	ds_write_b32 v50, v54
	s_waitcnt lgkmcnt(0)
	; wave barrier
	s_waitcnt lgkmcnt(0)
	s_and_saveexec_b64 s[10:11], s[4:5]
	s_cbranch_execz .LBB87_186
; %bb.177:
	s_andn2_b64 vcc, exec, s[8:9]
	s_cbranch_vccnz .LBB87_179
; %bb.178:
	buffer_load_dword v54, v51, s[0:3], 0 offen
	ds_read_b32 v55, v50
	s_waitcnt vmcnt(0) lgkmcnt(0)
	v_mul_f32_e32 v54, v54, v55
	s_cbranch_execz .LBB87_180
	s_branch .LBB87_181
.LBB87_179:
                                        ; implicit-def: $vgpr54
.LBB87_180:
	ds_read_b32 v54, v50
.LBB87_181:
	s_and_saveexec_b64 s[12:13], s[6:7]
	s_cbranch_execz .LBB87_185
; %bb.182:
	v_mov_b32_e32 v55, 0
	v_add_u32_e32 v55, 20, v55
	v_add_u32_e32 v56, -5, v0
	s_movk_i32 s14, 0x74
	s_mov_b64 s[6:7], 0
.LBB87_183:                             ; =>This Inner Loop Header: Depth=1
	buffer_load_dword v57, v55, s[0:3], 0 offen
	v_mov_b32_e32 v58, s14
	ds_read_b32 v58, v58
	v_add_u32_e32 v56, -1, v56
	s_add_i32 s14, s14, 4
	v_cmp_eq_u32_e32 vcc, 0, v56
	v_add_u32_e32 v55, 4, v55
	s_or_b64 s[6:7], vcc, s[6:7]
	s_waitcnt vmcnt(0) lgkmcnt(0)
	v_fmac_f32_e32 v54, v57, v58
	s_andn2_b64 exec, exec, s[6:7]
	s_cbranch_execnz .LBB87_183
; %bb.184:
	s_or_b64 exec, exec, s[6:7]
.LBB87_185:
	s_or_b64 exec, exec, s[12:13]
	v_mov_b32_e32 v55, 0
	ds_read_b32 v55, v55 offset:16
	s_waitcnt lgkmcnt(0)
	v_mul_f32_e32 v54, v54, v55
	buffer_store_dword v54, off, s[0:3], 0 offset:16
.LBB87_186:
	s_or_b64 exec, exec, s[10:11]
	buffer_load_dword v54, off, s[0:3], 0 offset:12
	v_cmp_lt_u32_e64 s[6:7], 3, v0
	s_waitcnt vmcnt(0)
	ds_write_b32 v50, v54
	s_waitcnt lgkmcnt(0)
	; wave barrier
	s_waitcnt lgkmcnt(0)
	s_and_saveexec_b64 s[10:11], s[6:7]
	s_cbranch_execz .LBB87_196
; %bb.187:
	s_andn2_b64 vcc, exec, s[8:9]
	s_cbranch_vccnz .LBB87_189
; %bb.188:
	buffer_load_dword v54, v51, s[0:3], 0 offen
	ds_read_b32 v55, v50
	s_waitcnt vmcnt(0) lgkmcnt(0)
	v_mul_f32_e32 v54, v54, v55
	s_cbranch_execz .LBB87_190
	s_branch .LBB87_191
.LBB87_189:
                                        ; implicit-def: $vgpr54
.LBB87_190:
	ds_read_b32 v54, v50
.LBB87_191:
	s_and_saveexec_b64 s[12:13], s[4:5]
	s_cbranch_execz .LBB87_195
; %bb.192:
	v_add_u32_e32 v55, -4, v0
	s_movk_i32 s14, 0x70
	s_mov_b64 s[4:5], 0
.LBB87_193:                             ; =>This Inner Loop Header: Depth=1
	buffer_load_dword v56, v53, s[0:3], 0 offen
	v_mov_b32_e32 v57, s14
	ds_read_b32 v57, v57
	v_add_u32_e32 v55, -1, v55
	s_add_i32 s14, s14, 4
	v_cmp_eq_u32_e32 vcc, 0, v55
	v_add_u32_e32 v53, 4, v53
	s_or_b64 s[4:5], vcc, s[4:5]
	s_waitcnt vmcnt(0) lgkmcnt(0)
	v_fmac_f32_e32 v54, v56, v57
	s_andn2_b64 exec, exec, s[4:5]
	s_cbranch_execnz .LBB87_193
; %bb.194:
	s_or_b64 exec, exec, s[4:5]
.LBB87_195:
	s_or_b64 exec, exec, s[12:13]
	v_mov_b32_e32 v53, 0
	ds_read_b32 v53, v53 offset:12
	s_waitcnt lgkmcnt(0)
	v_mul_f32_e32 v53, v54, v53
	buffer_store_dword v53, off, s[0:3], 0 offset:12
.LBB87_196:
	s_or_b64 exec, exec, s[10:11]
	buffer_load_dword v53, off, s[0:3], 0 offset:8
	v_cmp_lt_u32_e64 s[4:5], 2, v0
	s_waitcnt vmcnt(0)
	ds_write_b32 v50, v53
	s_waitcnt lgkmcnt(0)
	; wave barrier
	s_waitcnt lgkmcnt(0)
	s_and_saveexec_b64 s[10:11], s[4:5]
	s_cbranch_execz .LBB87_206
; %bb.197:
	s_andn2_b64 vcc, exec, s[8:9]
	s_cbranch_vccnz .LBB87_199
; %bb.198:
	buffer_load_dword v53, v51, s[0:3], 0 offen
	ds_read_b32 v54, v50
	s_waitcnt vmcnt(0) lgkmcnt(0)
	v_mul_f32_e32 v53, v53, v54
	s_cbranch_execz .LBB87_200
	s_branch .LBB87_201
.LBB87_199:
                                        ; implicit-def: $vgpr53
.LBB87_200:
	ds_read_b32 v53, v50
.LBB87_201:
	s_and_saveexec_b64 s[12:13], s[6:7]
	s_cbranch_execz .LBB87_205
; %bb.202:
	v_mov_b32_e32 v54, 0
	v_or_b32_e32 v54, 12, v54
	v_add_u32_e32 v55, -3, v0
	s_movk_i32 s14, 0x6c
	s_mov_b64 s[6:7], 0
.LBB87_203:                             ; =>This Inner Loop Header: Depth=1
	buffer_load_dword v56, v54, s[0:3], 0 offen
	v_mov_b32_e32 v57, s14
	ds_read_b32 v57, v57
	v_add_u32_e32 v55, -1, v55
	s_add_i32 s14, s14, 4
	v_cmp_eq_u32_e32 vcc, 0, v55
	v_add_u32_e32 v54, 4, v54
	s_or_b64 s[6:7], vcc, s[6:7]
	s_waitcnt vmcnt(0) lgkmcnt(0)
	v_fmac_f32_e32 v53, v56, v57
	s_andn2_b64 exec, exec, s[6:7]
	s_cbranch_execnz .LBB87_203
; %bb.204:
	s_or_b64 exec, exec, s[6:7]
.LBB87_205:
	s_or_b64 exec, exec, s[12:13]
	v_mov_b32_e32 v54, 0
	ds_read_b32 v54, v54 offset:8
	s_waitcnt lgkmcnt(0)
	v_mul_f32_e32 v53, v53, v54
	buffer_store_dword v53, off, s[0:3], 0 offset:8
.LBB87_206:
	s_or_b64 exec, exec, s[10:11]
	buffer_load_dword v53, off, s[0:3], 0 offset:4
	v_cmp_lt_u32_e64 s[6:7], 1, v0
	s_waitcnt vmcnt(0)
	ds_write_b32 v50, v53
	s_waitcnt lgkmcnt(0)
	; wave barrier
	s_waitcnt lgkmcnt(0)
	s_and_saveexec_b64 s[10:11], s[6:7]
	s_cbranch_execz .LBB87_216
; %bb.207:
	s_andn2_b64 vcc, exec, s[8:9]
	s_cbranch_vccnz .LBB87_209
; %bb.208:
	buffer_load_dword v53, v51, s[0:3], 0 offen
	ds_read_b32 v54, v50
	s_waitcnt vmcnt(0) lgkmcnt(0)
	v_mul_f32_e32 v53, v53, v54
	s_cbranch_execz .LBB87_210
	s_branch .LBB87_211
.LBB87_209:
                                        ; implicit-def: $vgpr53
.LBB87_210:
	ds_read_b32 v53, v50
.LBB87_211:
	s_and_saveexec_b64 s[12:13], s[4:5]
	s_cbranch_execz .LBB87_215
; %bb.212:
	v_add_u32_e32 v54, -2, v0
	s_movk_i32 s14, 0x68
	s_mov_b64 s[4:5], 0
.LBB87_213:                             ; =>This Inner Loop Header: Depth=1
	buffer_load_dword v55, v52, s[0:3], 0 offen
	v_mov_b32_e32 v56, s14
	ds_read_b32 v56, v56
	v_add_u32_e32 v54, -1, v54
	s_add_i32 s14, s14, 4
	v_cmp_eq_u32_e32 vcc, 0, v54
	v_add_u32_e32 v52, 4, v52
	s_or_b64 s[4:5], vcc, s[4:5]
	s_waitcnt vmcnt(0) lgkmcnt(0)
	v_fmac_f32_e32 v53, v55, v56
	s_andn2_b64 exec, exec, s[4:5]
	s_cbranch_execnz .LBB87_213
; %bb.214:
	s_or_b64 exec, exec, s[4:5]
.LBB87_215:
	s_or_b64 exec, exec, s[12:13]
	v_mov_b32_e32 v52, 0
	ds_read_b32 v52, v52 offset:4
	s_waitcnt lgkmcnt(0)
	v_mul_f32_e32 v52, v53, v52
	buffer_store_dword v52, off, s[0:3], 0 offset:4
.LBB87_216:
	s_or_b64 exec, exec, s[10:11]
	buffer_load_dword v52, off, s[0:3], 0
	v_cmp_ne_u32_e32 vcc, 0, v0
	s_waitcnt vmcnt(0)
	ds_write_b32 v50, v52
	s_waitcnt lgkmcnt(0)
	; wave barrier
	s_waitcnt lgkmcnt(0)
	s_and_saveexec_b64 s[4:5], vcc
	s_cbranch_execz .LBB87_226
; %bb.217:
	s_andn2_b64 vcc, exec, s[8:9]
	s_cbranch_vccnz .LBB87_219
; %bb.218:
	buffer_load_dword v52, v51, s[0:3], 0 offen
	ds_read_b32 v53, v50
	s_waitcnt vmcnt(0) lgkmcnt(0)
	v_mul_f32_e32 v52, v52, v53
	s_cbranch_execz .LBB87_220
	s_branch .LBB87_221
.LBB87_219:
                                        ; implicit-def: $vgpr52
.LBB87_220:
	ds_read_b32 v52, v50
.LBB87_221:
	s_and_saveexec_b64 s[10:11], s[6:7]
	s_cbranch_execz .LBB87_225
; %bb.222:
	v_mov_b32_e32 v53, 0
	v_or_b32_e32 v53, 4, v53
	v_add_u32_e32 v54, -1, v0
	s_movk_i32 s12, 0x64
	s_mov_b64 s[6:7], 0
.LBB87_223:                             ; =>This Inner Loop Header: Depth=1
	buffer_load_dword v55, v53, s[0:3], 0 offen
	v_mov_b32_e32 v56, s12
	ds_read_b32 v56, v56
	v_add_u32_e32 v54, -1, v54
	s_add_i32 s12, s12, 4
	v_cmp_eq_u32_e32 vcc, 0, v54
	v_add_u32_e32 v53, 4, v53
	s_or_b64 s[6:7], vcc, s[6:7]
	s_waitcnt vmcnt(0) lgkmcnt(0)
	v_fmac_f32_e32 v52, v55, v56
	s_andn2_b64 exec, exec, s[6:7]
	s_cbranch_execnz .LBB87_223
; %bb.224:
	s_or_b64 exec, exec, s[6:7]
.LBB87_225:
	s_or_b64 exec, exec, s[10:11]
	v_mov_b32_e32 v53, 0
	ds_read_b32 v53, v53
	s_waitcnt lgkmcnt(0)
	v_mul_f32_e32 v52, v52, v53
	buffer_store_dword v52, off, s[0:3], 0
.LBB87_226:
	s_or_b64 exec, exec, s[4:5]
	s_mov_b64 s[4:5], 0
.LBB87_227:
	s_and_b64 vcc, exec, s[4:5]
	s_cbranch_vccz .LBB87_451
; %bb.228:
	buffer_load_dword v52, off, s[0:3], 0 offset:4
	v_cmp_eq_u32_e64 s[6:7], 0, v0
	s_waitcnt vmcnt(0)
	ds_write_b32 v50, v52
	s_waitcnt lgkmcnt(0)
	; wave barrier
	s_waitcnt lgkmcnt(0)
	s_and_saveexec_b64 s[4:5], s[6:7]
	s_cbranch_execz .LBB87_234
; %bb.229:
	s_and_b64 vcc, exec, s[8:9]
	s_cbranch_vccz .LBB87_231
; %bb.230:
	buffer_load_dword v52, v51, s[0:3], 0 offen
	ds_read_b32 v53, v50
	s_waitcnt vmcnt(0) lgkmcnt(0)
	v_mul_f32_e32 v52, v52, v53
	s_cbranch_execz .LBB87_232
	s_branch .LBB87_233
.LBB87_231:
                                        ; implicit-def: $vgpr52
.LBB87_232:
	ds_read_b32 v52, v50
.LBB87_233:
	v_mov_b32_e32 v53, 0
	ds_read_b32 v53, v53 offset:4
	s_waitcnt lgkmcnt(0)
	v_mul_f32_e32 v52, v52, v53
	buffer_store_dword v52, off, s[0:3], 0 offset:4
.LBB87_234:
	s_or_b64 exec, exec, s[4:5]
	buffer_load_dword v52, off, s[0:3], 0 offset:8
	v_cndmask_b32_e64 v53, 0, 1, s[8:9]
	v_cmp_gt_u32_e32 vcc, 2, v0
	v_cmp_ne_u32_e64 s[4:5], 1, v53
	s_waitcnt vmcnt(0)
	ds_write_b32 v50, v52
	s_waitcnt lgkmcnt(0)
	; wave barrier
	s_waitcnt lgkmcnt(0)
	s_and_saveexec_b64 s[8:9], vcc
	s_cbranch_execz .LBB87_242
; %bb.235:
	s_and_b64 vcc, exec, s[4:5]
	s_cbranch_vccnz .LBB87_237
; %bb.236:
	buffer_load_dword v52, v51, s[0:3], 0 offen
	ds_read_b32 v53, v50
	s_waitcnt vmcnt(0) lgkmcnt(0)
	v_mul_f32_e32 v52, v52, v53
	s_cbranch_execz .LBB87_238
	s_branch .LBB87_239
.LBB87_237:
                                        ; implicit-def: $vgpr52
.LBB87_238:
	ds_read_b32 v52, v50
.LBB87_239:
	s_and_saveexec_b64 s[10:11], s[6:7]
	s_cbranch_execz .LBB87_241
; %bb.240:
	buffer_load_dword v53, v51, s[0:3], 0 offen offset:4
	ds_read_b32 v54, v50 offset:4
	s_waitcnt vmcnt(0) lgkmcnt(0)
	v_fmac_f32_e32 v52, v53, v54
.LBB87_241:
	s_or_b64 exec, exec, s[10:11]
	v_mov_b32_e32 v53, 0
	ds_read_b32 v53, v53 offset:8
	s_waitcnt lgkmcnt(0)
	v_mul_f32_e32 v52, v52, v53
	buffer_store_dword v52, off, s[0:3], 0 offset:8
.LBB87_242:
	s_or_b64 exec, exec, s[8:9]
	buffer_load_dword v52, off, s[0:3], 0 offset:12
	v_cmp_gt_u32_e32 vcc, 3, v0
	s_waitcnt vmcnt(0)
	ds_write_b32 v50, v52
	s_waitcnt lgkmcnt(0)
	; wave barrier
	s_waitcnt lgkmcnt(0)
	s_and_saveexec_b64 s[8:9], vcc
	s_cbranch_execz .LBB87_250
; %bb.243:
	s_and_b64 vcc, exec, s[4:5]
	s_cbranch_vccnz .LBB87_245
; %bb.244:
	buffer_load_dword v52, v51, s[0:3], 0 offen
	ds_read_b32 v53, v50
	s_waitcnt vmcnt(0) lgkmcnt(0)
	v_mul_f32_e32 v52, v52, v53
	s_cbranch_execz .LBB87_246
	s_branch .LBB87_247
.LBB87_245:
                                        ; implicit-def: $vgpr52
.LBB87_246:
	ds_read_b32 v52, v50
.LBB87_247:
	v_cmp_ne_u32_e32 vcc, 2, v0
	s_and_saveexec_b64 s[10:11], vcc
	s_cbranch_execz .LBB87_249
; %bb.248:
	buffer_load_dword v53, v51, s[0:3], 0 offen offset:4
	buffer_load_dword v54, off, s[0:3], 0 offset:8
	v_mov_b32_e32 v55, 0
	ds_read_b32 v56, v50 offset:4
	ds_read_b32 v55, v55 offset:104
	s_waitcnt vmcnt(1) lgkmcnt(1)
	v_fmac_f32_e32 v52, v53, v56
	s_waitcnt vmcnt(0) lgkmcnt(0)
	v_fma_f32 v53, v54, v55, v52
	v_cndmask_b32_e64 v52, v52, v53, s[6:7]
.LBB87_249:
	s_or_b64 exec, exec, s[10:11]
	v_mov_b32_e32 v53, 0
	ds_read_b32 v53, v53 offset:12
	s_waitcnt lgkmcnt(0)
	v_mul_f32_e32 v52, v52, v53
	buffer_store_dword v52, off, s[0:3], 0 offset:12
.LBB87_250:
	s_or_b64 exec, exec, s[8:9]
	buffer_load_dword v52, off, s[0:3], 0 offset:16
	v_cmp_gt_u32_e32 vcc, 4, v0
	s_waitcnt vmcnt(0)
	ds_write_b32 v50, v52
	s_waitcnt lgkmcnt(0)
	; wave barrier
	s_waitcnt lgkmcnt(0)
	s_and_saveexec_b64 s[6:7], vcc
	s_cbranch_execz .LBB87_260
; %bb.251:
	s_and_b64 vcc, exec, s[4:5]
	s_cbranch_vccnz .LBB87_253
; %bb.252:
	buffer_load_dword v52, v51, s[0:3], 0 offen
	ds_read_b32 v53, v50
	s_waitcnt vmcnt(0) lgkmcnt(0)
	v_mul_f32_e32 v52, v52, v53
	s_cbranch_execz .LBB87_254
	s_branch .LBB87_255
.LBB87_253:
                                        ; implicit-def: $vgpr52
.LBB87_254:
	ds_read_b32 v52, v50
.LBB87_255:
	v_cmp_ne_u32_e32 vcc, 3, v0
	s_and_saveexec_b64 s[8:9], vcc
	s_cbranch_execz .LBB87_259
; %bb.256:
	v_mov_b32_e32 v54, 0
	v_add_u32_e32 v53, 0x64, v1
	v_add3_u32 v54, v1, v54, 4
	s_mov_b64 s[10:11], 0
	v_mov_b32_e32 v55, v0
.LBB87_257:                             ; =>This Inner Loop Header: Depth=1
	buffer_load_dword v56, v54, s[0:3], 0 offen
	ds_read_b32 v57, v53
	v_add_u32_e32 v55, 1, v55
	v_cmp_lt_u32_e32 vcc, 2, v55
	v_add_u32_e32 v53, 4, v53
	v_add_u32_e32 v54, 4, v54
	s_or_b64 s[10:11], vcc, s[10:11]
	s_waitcnt vmcnt(0) lgkmcnt(0)
	v_fmac_f32_e32 v52, v56, v57
	s_andn2_b64 exec, exec, s[10:11]
	s_cbranch_execnz .LBB87_257
; %bb.258:
	s_or_b64 exec, exec, s[10:11]
.LBB87_259:
	s_or_b64 exec, exec, s[8:9]
	v_mov_b32_e32 v53, 0
	ds_read_b32 v53, v53 offset:16
	s_waitcnt lgkmcnt(0)
	v_mul_f32_e32 v52, v52, v53
	buffer_store_dword v52, off, s[0:3], 0 offset:16
.LBB87_260:
	s_or_b64 exec, exec, s[6:7]
	buffer_load_dword v52, off, s[0:3], 0 offset:20
	v_cmp_gt_u32_e32 vcc, 5, v0
	s_waitcnt vmcnt(0)
	ds_write_b32 v50, v52
	s_waitcnt lgkmcnt(0)
	; wave barrier
	s_waitcnt lgkmcnt(0)
	s_and_saveexec_b64 s[6:7], vcc
	s_cbranch_execz .LBB87_270
; %bb.261:
	s_and_b64 vcc, exec, s[4:5]
	s_cbranch_vccnz .LBB87_263
; %bb.262:
	buffer_load_dword v52, v51, s[0:3], 0 offen
	ds_read_b32 v53, v50
	s_waitcnt vmcnt(0) lgkmcnt(0)
	v_mul_f32_e32 v52, v52, v53
	s_cbranch_execz .LBB87_264
	s_branch .LBB87_265
.LBB87_263:
                                        ; implicit-def: $vgpr52
.LBB87_264:
	ds_read_b32 v52, v50
.LBB87_265:
	v_cmp_ne_u32_e32 vcc, 4, v0
	s_and_saveexec_b64 s[8:9], vcc
	s_cbranch_execz .LBB87_269
; %bb.266:
	v_mov_b32_e32 v54, 0
	v_add_u32_e32 v53, 0x64, v1
	v_add3_u32 v54, v1, v54, 4
	s_mov_b64 s[10:11], 0
	v_mov_b32_e32 v55, v0
.LBB87_267:                             ; =>This Inner Loop Header: Depth=1
	buffer_load_dword v56, v54, s[0:3], 0 offen
	ds_read_b32 v57, v53
	v_add_u32_e32 v55, 1, v55
	v_cmp_lt_u32_e32 vcc, 3, v55
	v_add_u32_e32 v53, 4, v53
	v_add_u32_e32 v54, 4, v54
	s_or_b64 s[10:11], vcc, s[10:11]
	s_waitcnt vmcnt(0) lgkmcnt(0)
	v_fmac_f32_e32 v52, v56, v57
	s_andn2_b64 exec, exec, s[10:11]
	s_cbranch_execnz .LBB87_267
; %bb.268:
	s_or_b64 exec, exec, s[10:11]
.LBB87_269:
	s_or_b64 exec, exec, s[8:9]
	v_mov_b32_e32 v53, 0
	ds_read_b32 v53, v53 offset:20
	s_waitcnt lgkmcnt(0)
	v_mul_f32_e32 v52, v52, v53
	buffer_store_dword v52, off, s[0:3], 0 offset:20
.LBB87_270:
	;; [unrolled: 56-line block ×18, first 2 shown]
	s_or_b64 exec, exec, s[6:7]
	buffer_load_dword v52, off, s[0:3], 0 offset:88
	v_cmp_gt_u32_e64 s[6:7], 22, v0
	s_waitcnt vmcnt(0)
	ds_write_b32 v50, v52
	s_waitcnt lgkmcnt(0)
	; wave barrier
	s_waitcnt lgkmcnt(0)
	s_and_saveexec_b64 s[8:9], s[6:7]
	s_cbranch_execz .LBB87_440
; %bb.431:
	s_and_b64 vcc, exec, s[4:5]
	s_cbranch_vccnz .LBB87_433
; %bb.432:
	buffer_load_dword v52, v51, s[0:3], 0 offen
	ds_read_b32 v53, v50
	s_waitcnt vmcnt(0) lgkmcnt(0)
	v_mul_f32_e32 v52, v52, v53
	s_cbranch_execz .LBB87_434
	s_branch .LBB87_435
.LBB87_433:
                                        ; implicit-def: $vgpr52
.LBB87_434:
	ds_read_b32 v52, v50
.LBB87_435:
	v_cmp_ne_u32_e32 vcc, 21, v0
	s_and_saveexec_b64 s[10:11], vcc
	s_cbranch_execz .LBB87_439
; %bb.436:
	v_mov_b32_e32 v54, 0
	v_add_u32_e32 v53, 0x64, v1
	v_add3_u32 v54, v1, v54, 4
	s_mov_b64 s[12:13], 0
	v_mov_b32_e32 v55, v0
.LBB87_437:                             ; =>This Inner Loop Header: Depth=1
	buffer_load_dword v56, v54, s[0:3], 0 offen
	ds_read_b32 v57, v53
	v_add_u32_e32 v55, 1, v55
	v_cmp_lt_u32_e32 vcc, 20, v55
	v_add_u32_e32 v53, 4, v53
	v_add_u32_e32 v54, 4, v54
	s_or_b64 s[12:13], vcc, s[12:13]
	s_waitcnt vmcnt(0) lgkmcnt(0)
	v_fmac_f32_e32 v52, v56, v57
	s_andn2_b64 exec, exec, s[12:13]
	s_cbranch_execnz .LBB87_437
; %bb.438:
	s_or_b64 exec, exec, s[12:13]
.LBB87_439:
	s_or_b64 exec, exec, s[10:11]
	v_mov_b32_e32 v53, 0
	ds_read_b32 v53, v53 offset:88
	s_waitcnt lgkmcnt(0)
	v_mul_f32_e32 v52, v52, v53
	buffer_store_dword v52, off, s[0:3], 0 offset:88
.LBB87_440:
	s_or_b64 exec, exec, s[8:9]
	buffer_load_dword v52, off, s[0:3], 0 offset:92
	v_cmp_ne_u32_e32 vcc, 23, v0
	s_waitcnt vmcnt(0)
	ds_write_b32 v50, v52
	s_waitcnt lgkmcnt(0)
	; wave barrier
	s_waitcnt lgkmcnt(0)
	s_and_saveexec_b64 s[8:9], vcc
	s_cbranch_execz .LBB87_450
; %bb.441:
	s_and_b64 vcc, exec, s[4:5]
	s_cbranch_vccnz .LBB87_443
; %bb.442:
	buffer_load_dword v51, v51, s[0:3], 0 offen
	ds_read_b32 v52, v50
	s_waitcnt vmcnt(0) lgkmcnt(0)
	v_mul_f32_e32 v51, v51, v52
	s_cbranch_execz .LBB87_444
	s_branch .LBB87_445
.LBB87_443:
                                        ; implicit-def: $vgpr51
.LBB87_444:
	ds_read_b32 v51, v50
.LBB87_445:
	s_and_saveexec_b64 s[4:5], s[6:7]
	s_cbranch_execz .LBB87_449
; %bb.446:
	v_mov_b32_e32 v52, 0
	v_add_u32_e32 v50, 0x64, v1
	v_add3_u32 v1, v1, v52, 4
	s_mov_b64 s[6:7], 0
.LBB87_447:                             ; =>This Inner Loop Header: Depth=1
	buffer_load_dword v52, v1, s[0:3], 0 offen
	ds_read_b32 v53, v50
	v_add_u32_e32 v0, 1, v0
	v_cmp_lt_u32_e32 vcc, 21, v0
	v_add_u32_e32 v50, 4, v50
	v_add_u32_e32 v1, 4, v1
	s_or_b64 s[6:7], vcc, s[6:7]
	s_waitcnt vmcnt(0) lgkmcnt(0)
	v_fmac_f32_e32 v51, v52, v53
	s_andn2_b64 exec, exec, s[6:7]
	s_cbranch_execnz .LBB87_447
; %bb.448:
	s_or_b64 exec, exec, s[6:7]
.LBB87_449:
	s_or_b64 exec, exec, s[4:5]
	v_mov_b32_e32 v0, 0
	ds_read_b32 v0, v0 offset:92
	s_waitcnt lgkmcnt(0)
	v_mul_f32_e32 v0, v51, v0
	buffer_store_dword v0, off, s[0:3], 0 offset:92
.LBB87_450:
	s_or_b64 exec, exec, s[8:9]
.LBB87_451:
	buffer_load_dword v0, off, s[0:3], 0
	buffer_load_dword v1, off, s[0:3], 0 offset:4
	buffer_load_dword v50, off, s[0:3], 0 offset:8
	;; [unrolled: 1-line block ×15, first 2 shown]
	s_waitcnt vmcnt(15)
	global_store_dword v[4:5], v0, off
	s_waitcnt vmcnt(15)
	global_store_dword v[6:7], v1, off
	buffer_load_dword v0, off, s[0:3], 0 offset:64
	s_nop 0
	buffer_load_dword v1, off, s[0:3], 0 offset:68
	buffer_load_dword v4, off, s[0:3], 0 offset:72
	;; [unrolled: 1-line block ×7, first 2 shown]
	s_waitcnt vmcnt(23)
	global_store_dword v[2:3], v50, off
	s_waitcnt vmcnt(23)
	global_store_dword v[8:9], v51, off
	;; [unrolled: 2-line block ×22, first 2 shown]
.LBB87_452:
	s_endpgm
	.section	.rodata,"a",@progbits
	.p2align	6, 0x0
	.amdhsa_kernel _ZN9rocsolver6v33100L18trti2_kernel_smallILi24EfPKPfEEv13rocblas_fill_17rocblas_diagonal_T1_iil
		.amdhsa_group_segment_fixed_size 192
		.amdhsa_private_segment_fixed_size 112
		.amdhsa_kernarg_size 32
		.amdhsa_user_sgpr_count 8
		.amdhsa_user_sgpr_private_segment_buffer 1
		.amdhsa_user_sgpr_dispatch_ptr 0
		.amdhsa_user_sgpr_queue_ptr 0
		.amdhsa_user_sgpr_kernarg_segment_ptr 1
		.amdhsa_user_sgpr_dispatch_id 0
		.amdhsa_user_sgpr_flat_scratch_init 1
		.amdhsa_user_sgpr_kernarg_preload_length 0
		.amdhsa_user_sgpr_kernarg_preload_offset 0
		.amdhsa_user_sgpr_private_segment_size 0
		.amdhsa_uses_dynamic_stack 0
		.amdhsa_system_sgpr_private_segment_wavefront_offset 1
		.amdhsa_system_sgpr_workgroup_id_x 1
		.amdhsa_system_sgpr_workgroup_id_y 0
		.amdhsa_system_sgpr_workgroup_id_z 0
		.amdhsa_system_sgpr_workgroup_info 0
		.amdhsa_system_vgpr_workitem_id 0
		.amdhsa_next_free_vgpr 69
		.amdhsa_next_free_sgpr 16
		.amdhsa_accum_offset 72
		.amdhsa_reserve_vcc 1
		.amdhsa_reserve_flat_scratch 0
		.amdhsa_float_round_mode_32 0
		.amdhsa_float_round_mode_16_64 0
		.amdhsa_float_denorm_mode_32 3
		.amdhsa_float_denorm_mode_16_64 3
		.amdhsa_dx10_clamp 1
		.amdhsa_ieee_mode 1
		.amdhsa_fp16_overflow 0
		.amdhsa_tg_split 0
		.amdhsa_exception_fp_ieee_invalid_op 0
		.amdhsa_exception_fp_denorm_src 0
		.amdhsa_exception_fp_ieee_div_zero 0
		.amdhsa_exception_fp_ieee_overflow 0
		.amdhsa_exception_fp_ieee_underflow 0
		.amdhsa_exception_fp_ieee_inexact 0
		.amdhsa_exception_int_div_zero 0
	.end_amdhsa_kernel
	.section	.text._ZN9rocsolver6v33100L18trti2_kernel_smallILi24EfPKPfEEv13rocblas_fill_17rocblas_diagonal_T1_iil,"axG",@progbits,_ZN9rocsolver6v33100L18trti2_kernel_smallILi24EfPKPfEEv13rocblas_fill_17rocblas_diagonal_T1_iil,comdat
.Lfunc_end87:
	.size	_ZN9rocsolver6v33100L18trti2_kernel_smallILi24EfPKPfEEv13rocblas_fill_17rocblas_diagonal_T1_iil, .Lfunc_end87-_ZN9rocsolver6v33100L18trti2_kernel_smallILi24EfPKPfEEv13rocblas_fill_17rocblas_diagonal_T1_iil
                                        ; -- End function
	.section	.AMDGPU.csdata,"",@progbits
; Kernel info:
; codeLenInByte = 11540
; NumSgprs: 20
; NumVgprs: 69
; NumAgprs: 0
; TotalNumVgprs: 69
; ScratchSize: 112
; MemoryBound: 0
; FloatMode: 240
; IeeeMode: 1
; LDSByteSize: 192 bytes/workgroup (compile time only)
; SGPRBlocks: 2
; VGPRBlocks: 8
; NumSGPRsForWavesPerEU: 20
; NumVGPRsForWavesPerEU: 69
; AccumOffset: 72
; Occupancy: 7
; WaveLimiterHint : 1
; COMPUTE_PGM_RSRC2:SCRATCH_EN: 1
; COMPUTE_PGM_RSRC2:USER_SGPR: 8
; COMPUTE_PGM_RSRC2:TRAP_HANDLER: 0
; COMPUTE_PGM_RSRC2:TGID_X_EN: 1
; COMPUTE_PGM_RSRC2:TGID_Y_EN: 0
; COMPUTE_PGM_RSRC2:TGID_Z_EN: 0
; COMPUTE_PGM_RSRC2:TIDIG_COMP_CNT: 0
; COMPUTE_PGM_RSRC3_GFX90A:ACCUM_OFFSET: 17
; COMPUTE_PGM_RSRC3_GFX90A:TG_SPLIT: 0
	.section	.text._ZN9rocsolver6v33100L18trti2_kernel_smallILi25EfPKPfEEv13rocblas_fill_17rocblas_diagonal_T1_iil,"axG",@progbits,_ZN9rocsolver6v33100L18trti2_kernel_smallILi25EfPKPfEEv13rocblas_fill_17rocblas_diagonal_T1_iil,comdat
	.globl	_ZN9rocsolver6v33100L18trti2_kernel_smallILi25EfPKPfEEv13rocblas_fill_17rocblas_diagonal_T1_iil ; -- Begin function _ZN9rocsolver6v33100L18trti2_kernel_smallILi25EfPKPfEEv13rocblas_fill_17rocblas_diagonal_T1_iil
	.p2align	8
	.type	_ZN9rocsolver6v33100L18trti2_kernel_smallILi25EfPKPfEEv13rocblas_fill_17rocblas_diagonal_T1_iil,@function
_ZN9rocsolver6v33100L18trti2_kernel_smallILi25EfPKPfEEv13rocblas_fill_17rocblas_diagonal_T1_iil: ; @_ZN9rocsolver6v33100L18trti2_kernel_smallILi25EfPKPfEEv13rocblas_fill_17rocblas_diagonal_T1_iil
; %bb.0:
	s_add_u32 s0, s0, s9
	s_addc_u32 s1, s1, 0
	v_cmp_gt_u32_e32 vcc, 25, v0
	s_and_saveexec_b64 s[6:7], vcc
	s_cbranch_execz .LBB88_472
; %bb.1:
	s_load_dwordx2 s[6:7], s[4:5], 0x10
	s_load_dwordx4 s[12:15], s[4:5], 0x0
	s_ashr_i32 s9, s8, 31
	s_lshl_b64 s[4:5], s[8:9], 3
	v_lshlrev_b32_e32 v1, 2, v0
	s_waitcnt lgkmcnt(0)
	s_ashr_i32 s9, s6, 31
	s_add_u32 s4, s14, s4
	s_addc_u32 s5, s15, s5
	s_load_dwordx2 s[4:5], s[4:5], 0x0
	s_mov_b32 s8, s6
	s_lshl_b64 s[8:9], s[8:9], 2
	v_mov_b32_e32 v64, 0
	s_waitcnt lgkmcnt(0)
	s_add_u32 s4, s4, s8
	s_addc_u32 s5, s5, s9
	v_mov_b32_e32 v3, s5
	v_add_co_u32_e32 v2, vcc, s4, v1
	s_ashr_i32 s9, s7, 31
	s_mov_b32 s8, s7
	s_add_i32 s6, s7, s7
	v_addc_co_u32_e32 v3, vcc, 0, v3, vcc
	s_lshl_b64 s[8:9], s[8:9], 2
	v_add_u32_e32 v8, s6, v0
	v_mov_b32_e32 v4, s9
	v_add_co_u32_e32 v6, vcc, s8, v2
	v_ashrrev_i32_e32 v9, 31, v8
	v_addc_co_u32_e32 v7, vcc, v3, v4, vcc
	v_lshlrev_b64 v[4:5], 2, v[8:9]
	v_add_u32_e32 v10, s7, v8
	v_mov_b32_e32 v9, s5
	v_add_co_u32_e32 v4, vcc, s4, v4
	v_ashrrev_i32_e32 v11, 31, v10
	v_addc_co_u32_e32 v5, vcc, v9, v5, vcc
	v_lshlrev_b64 v[8:9], 2, v[10:11]
	;; [unrolled: 6-line block ×6, first 2 shown]
	v_mov_b32_e32 v19, s5
	v_add_co_u32_e32 v16, vcc, s4, v16
	global_load_dword v36, v1, s[4:5]
	v_addc_co_u32_e32 v17, vcc, v19, v17, vcc
	global_load_dword v37, v[6:7], off
	global_load_dword v38, v[4:5], off
	;; [unrolled: 1-line block ×7, first 2 shown]
	v_add_u32_e32 v20, s7, v18
	v_ashrrev_i32_e32 v21, 31, v20
	v_lshlrev_b64 v[18:19], 2, v[20:21]
	v_mov_b32_e32 v21, s5
	v_add_co_u32_e32 v18, vcc, s4, v18
	v_addc_co_u32_e32 v19, vcc, v21, v19, vcc
	global_load_dword v52, v[18:19], off
	v_add_u32_e32 v22, s7, v20
	v_ashrrev_i32_e32 v23, 31, v22
	v_lshlrev_b64 v[20:21], 2, v[22:23]
	v_add_u32_e32 v24, s7, v22
	v_mov_b32_e32 v23, s5
	v_add_co_u32_e32 v20, vcc, s4, v20
	v_ashrrev_i32_e32 v25, 31, v24
	v_addc_co_u32_e32 v21, vcc, v23, v21, vcc
	v_lshlrev_b64 v[22:23], 2, v[24:25]
	v_add_u32_e32 v26, s7, v24
	v_mov_b32_e32 v25, s5
	v_add_co_u32_e32 v22, vcc, s4, v22
	v_ashrrev_i32_e32 v27, 31, v26
	v_addc_co_u32_e32 v23, vcc, v25, v23, vcc
	;; [unrolled: 6-line block ×6, first 2 shown]
	v_lshlrev_b64 v[32:33], 2, v[34:35]
	s_waitcnt vmcnt(8)
	buffer_store_dword v36, off, s[0:3], 0
	s_waitcnt vmcnt(8)
	buffer_store_dword v37, off, s[0:3], 0 offset:4
	s_waitcnt vmcnt(8)
	buffer_store_dword v38, off, s[0:3], 0 offset:8
	;; [unrolled: 2-line block ×7, first 2 shown]
	v_add_u32_e32 v36, s7, v34
	v_mov_b32_e32 v35, s5
	v_add_co_u32_e32 v32, vcc, s4, v32
	v_ashrrev_i32_e32 v37, 31, v36
	v_addc_co_u32_e32 v33, vcc, v35, v33, vcc
	v_lshlrev_b64 v[34:35], 2, v[36:37]
	v_add_u32_e32 v38, s7, v36
	v_mov_b32_e32 v37, s5
	v_add_co_u32_e32 v34, vcc, s4, v34
	v_ashrrev_i32_e32 v39, 31, v38
	v_addc_co_u32_e32 v35, vcc, v37, v35, vcc
	v_lshlrev_b64 v[36:37], 2, v[38:39]
	;; [unrolled: 6-line block ×8, first 2 shown]
	v_mov_b32_e32 v51, s5
	v_add_co_u32_e32 v48, vcc, s4, v48
	v_add_u32_e32 v50, s7, v50
	v_addc_co_u32_e32 v49, vcc, v51, v49, vcc
	v_ashrrev_i32_e32 v51, 31, v50
	v_lshlrev_b64 v[50:51], 2, v[50:51]
	v_mov_b32_e32 v61, s5
	v_add_co_u32_e32 v50, vcc, s4, v50
	global_load_dword v53, v[20:21], off
	global_load_dword v54, v[22:23], off
	;; [unrolled: 1-line block ×8, first 2 shown]
	v_addc_co_u32_e32 v51, vcc, v61, v51, vcc
	global_load_dword v61, v[36:37], off
	global_load_dword v62, v[38:39], off
	;; [unrolled: 1-line block ×7, first 2 shown]
	s_cmpk_lg_i32 s13, 0x84
	s_waitcnt vmcnt(23)
	buffer_store_dword v52, off, s[0:3], 0 offset:32
	global_load_dword v52, v[50:51], off
	s_waitcnt vmcnt(16)
	buffer_store_dword v53, off, s[0:3], 0 offset:36
	s_waitcnt vmcnt(15)
	buffer_store_dword v55, off, s[0:3], 0 offset:44
	buffer_store_dword v54, off, s[0:3], 0 offset:40
	s_waitcnt vmcnt(16)
	buffer_store_dword v56, off, s[0:3], 0 offset:48
	s_waitcnt vmcnt(16)
	;; [unrolled: 2-line block ×9, first 2 shown]
	buffer_store_dword v66, off, s[0:3], 0 offset:84
	buffer_store_dword v65, off, s[0:3], 0 offset:80
	s_waitcnt vmcnt(15)
	buffer_store_dword v68, off, s[0:3], 0 offset:92
	buffer_store_dword v67, off, s[0:3], 0 offset:88
	s_waitcnt vmcnt(15)
	buffer_store_dword v52, off, s[0:3], 0 offset:96
	s_cselect_b64 s[10:11], -1, 0
	s_cmpk_eq_i32 s13, 0x84
	v_mov_b32_e32 v52, -1.0
	s_cbranch_scc1 .LBB88_3
; %bb.2:
	v_lshl_add_u32 v52, v0, 2, v64
	buffer_load_dword v53, v52, s[0:3], 0 offen
	s_waitcnt vmcnt(0)
	v_div_scale_f32 v54, s[4:5], v53, v53, 1.0
	v_rcp_f32_e32 v55, v54
	v_div_scale_f32 v56, vcc, 1.0, v53, 1.0
	v_fma_f32 v57, -v54, v55, 1.0
	v_fmac_f32_e32 v55, v57, v55
	v_mul_f32_e32 v57, v56, v55
	v_fma_f32 v58, -v54, v57, v56
	v_fmac_f32_e32 v57, v58, v55
	v_fma_f32 v54, -v54, v57, v56
	v_div_fmas_f32 v54, v54, v55, v57
	v_div_fixup_f32 v53, v54, v53, 1.0
	buffer_store_dword v53, v52, s[0:3], 0 offen
	v_xor_b32_e32 v52, 0x80000000, v53
.LBB88_3:
	ds_write_b32 v1, v52
	s_cmpk_eq_i32 s12, 0x79
	v_add_u32_e32 v52, 0x70, v1
	v_add_u32_e32 v53, 0, v1
	s_mov_b64 s[4:5], -1
	s_cbranch_scc1 .LBB88_237
; %bb.4:
	buffer_load_dword v54, off, s[0:3], 0 offset:92
	v_cmp_eq_u32_e64 s[4:5], 24, v0
	s_waitcnt vmcnt(0)
	ds_write_b32 v52, v54
	s_waitcnt lgkmcnt(0)
	; wave barrier
	s_waitcnt lgkmcnt(0)
	s_and_saveexec_b64 s[6:7], s[4:5]
	s_cbranch_execz .LBB88_10
; %bb.5:
	s_and_b64 vcc, exec, s[10:11]
	s_cbranch_vccz .LBB88_7
; %bb.6:
	buffer_load_dword v54, v53, s[0:3], 0 offen
	ds_read_b32 v55, v52
	s_waitcnt vmcnt(0) lgkmcnt(0)
	v_mul_f32_e32 v54, v54, v55
	s_cbranch_execz .LBB88_8
	s_branch .LBB88_9
.LBB88_7:
                                        ; implicit-def: $vgpr54
.LBB88_8:
	ds_read_b32 v54, v52
.LBB88_9:
	v_mov_b32_e32 v55, 0
	ds_read_b32 v55, v55 offset:92
	s_waitcnt lgkmcnt(0)
	v_mul_f32_e32 v54, v54, v55
	buffer_store_dword v54, off, s[0:3], 0 offset:92
.LBB88_10:
	s_or_b64 exec, exec, s[6:7]
	buffer_load_dword v65, off, s[0:3], 0 offset:88
	v_or_b32_e32 v54, 8, v64
	v_add_u32_e32 v55, 16, v64
	v_add_u32_e32 v56, 24, v64
	v_add_u32_e32 v57, 32, v64
	v_add_u32_e32 v58, 40, v64
	v_add_u32_e32 v59, 48, v64
	v_add_u32_e32 v60, 56, v64
	v_add_u32_e32 v61, 64, v64
	v_add_u32_e32 v62, 0x48, v64
	v_add_u32_e32 v63, 0x50, v64
	v_add_u32_e32 v64, 0x58, v64
	v_cmp_lt_u32_e64 s[8:9], 22, v0
	s_waitcnt vmcnt(0)
	ds_write_b32 v52, v65
	s_waitcnt lgkmcnt(0)
	; wave barrier
	s_waitcnt lgkmcnt(0)
	s_and_saveexec_b64 s[6:7], s[8:9]
	s_cbranch_execz .LBB88_16
; %bb.11:
	s_andn2_b64 vcc, exec, s[10:11]
	s_cbranch_vccnz .LBB88_13
; %bb.12:
	buffer_load_dword v65, v53, s[0:3], 0 offen
	ds_read_b32 v66, v52
	s_waitcnt vmcnt(0) lgkmcnt(0)
	v_mul_f32_e32 v65, v65, v66
	s_cbranch_execz .LBB88_14
	s_branch .LBB88_15
.LBB88_13:
                                        ; implicit-def: $vgpr65
.LBB88_14:
	ds_read_b32 v65, v52
.LBB88_15:
	buffer_load_dword v68, off, s[0:3], 0 offset:92
	v_mov_b32_e32 v66, 0
	ds_read2_b32 v[66:67], v66 offset0:22 offset1:51
	s_waitcnt vmcnt(0) lgkmcnt(0)
	v_fma_f32 v67, v68, v67, v65
	v_cndmask_b32_e64 v65, v65, v67, s[4:5]
	v_mul_f32_e32 v65, v65, v66
	buffer_store_dword v65, off, s[0:3], 0 offset:88
.LBB88_16:
	s_or_b64 exec, exec, s[6:7]
	buffer_load_dword v65, off, s[0:3], 0 offset:84
	v_cmp_lt_u32_e64 s[6:7], 21, v0
	s_waitcnt vmcnt(0)
	ds_write_b32 v52, v65
	s_waitcnt lgkmcnt(0)
	; wave barrier
	s_waitcnt lgkmcnt(0)
	s_and_saveexec_b64 s[4:5], s[6:7]
	s_cbranch_execz .LBB88_26
; %bb.17:
	s_andn2_b64 vcc, exec, s[10:11]
	s_cbranch_vccnz .LBB88_19
; %bb.18:
	buffer_load_dword v65, v53, s[0:3], 0 offen
	ds_read_b32 v66, v52
	s_waitcnt vmcnt(0) lgkmcnt(0)
	v_mul_f32_e32 v65, v65, v66
	s_cbranch_execz .LBB88_20
	s_branch .LBB88_21
.LBB88_19:
                                        ; implicit-def: $vgpr65
.LBB88_20:
	ds_read_b32 v65, v52
.LBB88_21:
	s_and_saveexec_b64 s[12:13], s[8:9]
	s_cbranch_execz .LBB88_25
; %bb.22:
	v_subrev_u32_e32 v66, 22, v0
	s_movk_i32 s14, 0xc8
	s_mov_b64 s[8:9], 0
.LBB88_23:                              ; =>This Inner Loop Header: Depth=1
	buffer_load_dword v67, v64, s[0:3], 0 offen
	v_mov_b32_e32 v68, s14
	ds_read_b32 v68, v68
	v_add_u32_e32 v66, -1, v66
	s_add_i32 s14, s14, 4
	v_cmp_eq_u32_e32 vcc, 0, v66
	v_add_u32_e32 v64, 4, v64
	s_or_b64 s[8:9], vcc, s[8:9]
	s_waitcnt vmcnt(0) lgkmcnt(0)
	v_fmac_f32_e32 v65, v67, v68
	s_andn2_b64 exec, exec, s[8:9]
	s_cbranch_execnz .LBB88_23
; %bb.24:
	s_or_b64 exec, exec, s[8:9]
.LBB88_25:
	s_or_b64 exec, exec, s[12:13]
	v_mov_b32_e32 v64, 0
	ds_read_b32 v64, v64 offset:84
	s_waitcnt lgkmcnt(0)
	v_mul_f32_e32 v64, v65, v64
	buffer_store_dword v64, off, s[0:3], 0 offset:84
.LBB88_26:
	s_or_b64 exec, exec, s[4:5]
	buffer_load_dword v64, off, s[0:3], 0 offset:80
	v_cmp_lt_u32_e64 s[4:5], 20, v0
	s_waitcnt vmcnt(0)
	ds_write_b32 v52, v64
	s_waitcnt lgkmcnt(0)
	; wave barrier
	s_waitcnt lgkmcnt(0)
	s_and_saveexec_b64 s[8:9], s[4:5]
	s_cbranch_execz .LBB88_36
; %bb.27:
	s_andn2_b64 vcc, exec, s[10:11]
	s_cbranch_vccnz .LBB88_29
; %bb.28:
	buffer_load_dword v64, v53, s[0:3], 0 offen
	ds_read_b32 v65, v52
	s_waitcnt vmcnt(0) lgkmcnt(0)
	v_mul_f32_e32 v64, v64, v65
	s_cbranch_execz .LBB88_30
	s_branch .LBB88_31
.LBB88_29:
                                        ; implicit-def: $vgpr64
.LBB88_30:
	ds_read_b32 v64, v52
.LBB88_31:
	s_and_saveexec_b64 s[12:13], s[6:7]
	s_cbranch_execz .LBB88_35
; %bb.32:
	v_mov_b32_e32 v65, 0
	v_add_u32_e32 v65, 0x54, v65
	v_subrev_u32_e32 v66, 21, v0
	s_movk_i32 s14, 0xc4
	s_mov_b64 s[6:7], 0
.LBB88_33:                              ; =>This Inner Loop Header: Depth=1
	buffer_load_dword v67, v65, s[0:3], 0 offen
	v_mov_b32_e32 v68, s14
	ds_read_b32 v68, v68
	v_add_u32_e32 v66, -1, v66
	s_add_i32 s14, s14, 4
	v_cmp_eq_u32_e32 vcc, 0, v66
	v_add_u32_e32 v65, 4, v65
	s_or_b64 s[6:7], vcc, s[6:7]
	s_waitcnt vmcnt(0) lgkmcnt(0)
	v_fmac_f32_e32 v64, v67, v68
	s_andn2_b64 exec, exec, s[6:7]
	s_cbranch_execnz .LBB88_33
; %bb.34:
	s_or_b64 exec, exec, s[6:7]
.LBB88_35:
	s_or_b64 exec, exec, s[12:13]
	v_mov_b32_e32 v65, 0
	ds_read_b32 v65, v65 offset:80
	s_waitcnt lgkmcnt(0)
	v_mul_f32_e32 v64, v64, v65
	buffer_store_dword v64, off, s[0:3], 0 offset:80
.LBB88_36:
	s_or_b64 exec, exec, s[8:9]
	buffer_load_dword v64, off, s[0:3], 0 offset:76
	v_cmp_lt_u32_e64 s[6:7], 19, v0
	s_waitcnt vmcnt(0)
	ds_write_b32 v52, v64
	s_waitcnt lgkmcnt(0)
	; wave barrier
	s_waitcnt lgkmcnt(0)
	s_and_saveexec_b64 s[8:9], s[6:7]
	s_cbranch_execz .LBB88_46
; %bb.37:
	s_andn2_b64 vcc, exec, s[10:11]
	s_cbranch_vccnz .LBB88_39
; %bb.38:
	buffer_load_dword v64, v53, s[0:3], 0 offen
	ds_read_b32 v65, v52
	s_waitcnt vmcnt(0) lgkmcnt(0)
	v_mul_f32_e32 v64, v64, v65
	s_cbranch_execz .LBB88_40
	s_branch .LBB88_41
.LBB88_39:
                                        ; implicit-def: $vgpr64
.LBB88_40:
	ds_read_b32 v64, v52
.LBB88_41:
	s_and_saveexec_b64 s[12:13], s[4:5]
	s_cbranch_execz .LBB88_45
; %bb.42:
	v_subrev_u32_e32 v65, 20, v0
	s_movk_i32 s14, 0xc0
	s_mov_b64 s[4:5], 0
.LBB88_43:                              ; =>This Inner Loop Header: Depth=1
	buffer_load_dword v66, v63, s[0:3], 0 offen
	v_mov_b32_e32 v67, s14
	ds_read_b32 v67, v67
	v_add_u32_e32 v65, -1, v65
	s_add_i32 s14, s14, 4
	v_cmp_eq_u32_e32 vcc, 0, v65
	v_add_u32_e32 v63, 4, v63
	s_or_b64 s[4:5], vcc, s[4:5]
	s_waitcnt vmcnt(0) lgkmcnt(0)
	v_fmac_f32_e32 v64, v66, v67
	s_andn2_b64 exec, exec, s[4:5]
	s_cbranch_execnz .LBB88_43
; %bb.44:
	s_or_b64 exec, exec, s[4:5]
.LBB88_45:
	s_or_b64 exec, exec, s[12:13]
	v_mov_b32_e32 v63, 0
	ds_read_b32 v63, v63 offset:76
	s_waitcnt lgkmcnt(0)
	v_mul_f32_e32 v63, v64, v63
	buffer_store_dword v63, off, s[0:3], 0 offset:76
.LBB88_46:
	s_or_b64 exec, exec, s[8:9]
	buffer_load_dword v63, off, s[0:3], 0 offset:72
	v_cmp_lt_u32_e64 s[4:5], 18, v0
	s_waitcnt vmcnt(0)
	ds_write_b32 v52, v63
	s_waitcnt lgkmcnt(0)
	; wave barrier
	s_waitcnt lgkmcnt(0)
	s_and_saveexec_b64 s[8:9], s[4:5]
	s_cbranch_execz .LBB88_56
; %bb.47:
	s_andn2_b64 vcc, exec, s[10:11]
	s_cbranch_vccnz .LBB88_49
; %bb.48:
	buffer_load_dword v63, v53, s[0:3], 0 offen
	ds_read_b32 v64, v52
	s_waitcnt vmcnt(0) lgkmcnt(0)
	v_mul_f32_e32 v63, v63, v64
	s_cbranch_execz .LBB88_50
	s_branch .LBB88_51
.LBB88_49:
                                        ; implicit-def: $vgpr63
.LBB88_50:
	ds_read_b32 v63, v52
.LBB88_51:
	s_and_saveexec_b64 s[12:13], s[6:7]
	s_cbranch_execz .LBB88_55
; %bb.52:
	v_mov_b32_e32 v64, 0
	v_add_u32_e32 v64, 0x4c, v64
	v_subrev_u32_e32 v65, 19, v0
	s_movk_i32 s14, 0xbc
	s_mov_b64 s[6:7], 0
.LBB88_53:                              ; =>This Inner Loop Header: Depth=1
	buffer_load_dword v66, v64, s[0:3], 0 offen
	v_mov_b32_e32 v67, s14
	ds_read_b32 v67, v67
	v_add_u32_e32 v65, -1, v65
	s_add_i32 s14, s14, 4
	v_cmp_eq_u32_e32 vcc, 0, v65
	v_add_u32_e32 v64, 4, v64
	s_or_b64 s[6:7], vcc, s[6:7]
	s_waitcnt vmcnt(0) lgkmcnt(0)
	v_fmac_f32_e32 v63, v66, v67
	s_andn2_b64 exec, exec, s[6:7]
	s_cbranch_execnz .LBB88_53
; %bb.54:
	s_or_b64 exec, exec, s[6:7]
.LBB88_55:
	s_or_b64 exec, exec, s[12:13]
	v_mov_b32_e32 v64, 0
	ds_read_b32 v64, v64 offset:72
	s_waitcnt lgkmcnt(0)
	v_mul_f32_e32 v63, v63, v64
	buffer_store_dword v63, off, s[0:3], 0 offset:72
.LBB88_56:
	s_or_b64 exec, exec, s[8:9]
	buffer_load_dword v63, off, s[0:3], 0 offset:68
	v_cmp_lt_u32_e64 s[6:7], 17, v0
	s_waitcnt vmcnt(0)
	ds_write_b32 v52, v63
	s_waitcnt lgkmcnt(0)
	; wave barrier
	s_waitcnt lgkmcnt(0)
	s_and_saveexec_b64 s[8:9], s[6:7]
	s_cbranch_execz .LBB88_66
; %bb.57:
	s_andn2_b64 vcc, exec, s[10:11]
	s_cbranch_vccnz .LBB88_59
; %bb.58:
	buffer_load_dword v63, v53, s[0:3], 0 offen
	ds_read_b32 v64, v52
	s_waitcnt vmcnt(0) lgkmcnt(0)
	v_mul_f32_e32 v63, v63, v64
	s_cbranch_execz .LBB88_60
	s_branch .LBB88_61
.LBB88_59:
                                        ; implicit-def: $vgpr63
.LBB88_60:
	ds_read_b32 v63, v52
.LBB88_61:
	s_and_saveexec_b64 s[12:13], s[4:5]
	s_cbranch_execz .LBB88_65
; %bb.62:
	v_subrev_u32_e32 v64, 18, v0
	s_movk_i32 s14, 0xb8
	s_mov_b64 s[4:5], 0
.LBB88_63:                              ; =>This Inner Loop Header: Depth=1
	buffer_load_dword v65, v62, s[0:3], 0 offen
	v_mov_b32_e32 v66, s14
	ds_read_b32 v66, v66
	v_add_u32_e32 v64, -1, v64
	s_add_i32 s14, s14, 4
	v_cmp_eq_u32_e32 vcc, 0, v64
	v_add_u32_e32 v62, 4, v62
	s_or_b64 s[4:5], vcc, s[4:5]
	s_waitcnt vmcnt(0) lgkmcnt(0)
	v_fmac_f32_e32 v63, v65, v66
	s_andn2_b64 exec, exec, s[4:5]
	s_cbranch_execnz .LBB88_63
; %bb.64:
	s_or_b64 exec, exec, s[4:5]
.LBB88_65:
	s_or_b64 exec, exec, s[12:13]
	v_mov_b32_e32 v62, 0
	ds_read_b32 v62, v62 offset:68
	s_waitcnt lgkmcnt(0)
	v_mul_f32_e32 v62, v63, v62
	buffer_store_dword v62, off, s[0:3], 0 offset:68
.LBB88_66:
	s_or_b64 exec, exec, s[8:9]
	buffer_load_dword v62, off, s[0:3], 0 offset:64
	v_cmp_lt_u32_e64 s[4:5], 16, v0
	s_waitcnt vmcnt(0)
	ds_write_b32 v52, v62
	s_waitcnt lgkmcnt(0)
	; wave barrier
	s_waitcnt lgkmcnt(0)
	s_and_saveexec_b64 s[8:9], s[4:5]
	s_cbranch_execz .LBB88_76
; %bb.67:
	s_andn2_b64 vcc, exec, s[10:11]
	s_cbranch_vccnz .LBB88_69
; %bb.68:
	buffer_load_dword v62, v53, s[0:3], 0 offen
	ds_read_b32 v63, v52
	s_waitcnt vmcnt(0) lgkmcnt(0)
	v_mul_f32_e32 v62, v62, v63
	s_cbranch_execz .LBB88_70
	s_branch .LBB88_71
.LBB88_69:
                                        ; implicit-def: $vgpr62
.LBB88_70:
	ds_read_b32 v62, v52
.LBB88_71:
	s_and_saveexec_b64 s[12:13], s[6:7]
	s_cbranch_execz .LBB88_75
; %bb.72:
	v_mov_b32_e32 v63, 0
	v_add_u32_e32 v63, 0x44, v63
	v_subrev_u32_e32 v64, 17, v0
	s_movk_i32 s14, 0xb4
	s_mov_b64 s[6:7], 0
.LBB88_73:                              ; =>This Inner Loop Header: Depth=1
	buffer_load_dword v65, v63, s[0:3], 0 offen
	v_mov_b32_e32 v66, s14
	ds_read_b32 v66, v66
	v_add_u32_e32 v64, -1, v64
	s_add_i32 s14, s14, 4
	v_cmp_eq_u32_e32 vcc, 0, v64
	v_add_u32_e32 v63, 4, v63
	s_or_b64 s[6:7], vcc, s[6:7]
	s_waitcnt vmcnt(0) lgkmcnt(0)
	v_fmac_f32_e32 v62, v65, v66
	s_andn2_b64 exec, exec, s[6:7]
	s_cbranch_execnz .LBB88_73
; %bb.74:
	s_or_b64 exec, exec, s[6:7]
.LBB88_75:
	s_or_b64 exec, exec, s[12:13]
	v_mov_b32_e32 v63, 0
	ds_read_b32 v63, v63 offset:64
	s_waitcnt lgkmcnt(0)
	v_mul_f32_e32 v62, v62, v63
	buffer_store_dword v62, off, s[0:3], 0 offset:64
.LBB88_76:
	s_or_b64 exec, exec, s[8:9]
	buffer_load_dword v62, off, s[0:3], 0 offset:60
	v_cmp_lt_u32_e64 s[6:7], 15, v0
	s_waitcnt vmcnt(0)
	ds_write_b32 v52, v62
	s_waitcnt lgkmcnt(0)
	; wave barrier
	s_waitcnt lgkmcnt(0)
	s_and_saveexec_b64 s[8:9], s[6:7]
	s_cbranch_execz .LBB88_86
; %bb.77:
	s_andn2_b64 vcc, exec, s[10:11]
	s_cbranch_vccnz .LBB88_79
; %bb.78:
	buffer_load_dword v62, v53, s[0:3], 0 offen
	ds_read_b32 v63, v52
	s_waitcnt vmcnt(0) lgkmcnt(0)
	v_mul_f32_e32 v62, v62, v63
	s_cbranch_execz .LBB88_80
	s_branch .LBB88_81
.LBB88_79:
                                        ; implicit-def: $vgpr62
.LBB88_80:
	ds_read_b32 v62, v52
.LBB88_81:
	s_and_saveexec_b64 s[12:13], s[4:5]
	s_cbranch_execz .LBB88_85
; %bb.82:
	v_add_u32_e32 v63, -16, v0
	s_movk_i32 s14, 0xb0
	s_mov_b64 s[4:5], 0
.LBB88_83:                              ; =>This Inner Loop Header: Depth=1
	buffer_load_dword v64, v61, s[0:3], 0 offen
	v_mov_b32_e32 v65, s14
	ds_read_b32 v65, v65
	v_add_u32_e32 v63, -1, v63
	s_add_i32 s14, s14, 4
	v_cmp_eq_u32_e32 vcc, 0, v63
	v_add_u32_e32 v61, 4, v61
	s_or_b64 s[4:5], vcc, s[4:5]
	s_waitcnt vmcnt(0) lgkmcnt(0)
	v_fmac_f32_e32 v62, v64, v65
	s_andn2_b64 exec, exec, s[4:5]
	s_cbranch_execnz .LBB88_83
; %bb.84:
	s_or_b64 exec, exec, s[4:5]
.LBB88_85:
	s_or_b64 exec, exec, s[12:13]
	v_mov_b32_e32 v61, 0
	ds_read_b32 v61, v61 offset:60
	s_waitcnt lgkmcnt(0)
	v_mul_f32_e32 v61, v62, v61
	buffer_store_dword v61, off, s[0:3], 0 offset:60
.LBB88_86:
	s_or_b64 exec, exec, s[8:9]
	buffer_load_dword v61, off, s[0:3], 0 offset:56
	v_cmp_lt_u32_e64 s[4:5], 14, v0
	s_waitcnt vmcnt(0)
	ds_write_b32 v52, v61
	s_waitcnt lgkmcnt(0)
	; wave barrier
	s_waitcnt lgkmcnt(0)
	s_and_saveexec_b64 s[8:9], s[4:5]
	s_cbranch_execz .LBB88_96
; %bb.87:
	s_andn2_b64 vcc, exec, s[10:11]
	s_cbranch_vccnz .LBB88_89
; %bb.88:
	buffer_load_dword v61, v53, s[0:3], 0 offen
	ds_read_b32 v62, v52
	s_waitcnt vmcnt(0) lgkmcnt(0)
	v_mul_f32_e32 v61, v61, v62
	s_cbranch_execz .LBB88_90
	s_branch .LBB88_91
.LBB88_89:
                                        ; implicit-def: $vgpr61
.LBB88_90:
	ds_read_b32 v61, v52
.LBB88_91:
	s_and_saveexec_b64 s[12:13], s[6:7]
	s_cbranch_execz .LBB88_95
; %bb.92:
	v_mov_b32_e32 v62, 0
	v_add_u32_e32 v62, 60, v62
	v_add_u32_e32 v63, -15, v0
	s_movk_i32 s14, 0xac
	s_mov_b64 s[6:7], 0
.LBB88_93:                              ; =>This Inner Loop Header: Depth=1
	buffer_load_dword v64, v62, s[0:3], 0 offen
	v_mov_b32_e32 v65, s14
	ds_read_b32 v65, v65
	v_add_u32_e32 v63, -1, v63
	s_add_i32 s14, s14, 4
	v_cmp_eq_u32_e32 vcc, 0, v63
	v_add_u32_e32 v62, 4, v62
	s_or_b64 s[6:7], vcc, s[6:7]
	s_waitcnt vmcnt(0) lgkmcnt(0)
	v_fmac_f32_e32 v61, v64, v65
	s_andn2_b64 exec, exec, s[6:7]
	s_cbranch_execnz .LBB88_93
; %bb.94:
	s_or_b64 exec, exec, s[6:7]
.LBB88_95:
	s_or_b64 exec, exec, s[12:13]
	v_mov_b32_e32 v62, 0
	ds_read_b32 v62, v62 offset:56
	s_waitcnt lgkmcnt(0)
	v_mul_f32_e32 v61, v61, v62
	buffer_store_dword v61, off, s[0:3], 0 offset:56
.LBB88_96:
	s_or_b64 exec, exec, s[8:9]
	buffer_load_dword v61, off, s[0:3], 0 offset:52
	v_cmp_lt_u32_e64 s[6:7], 13, v0
	s_waitcnt vmcnt(0)
	ds_write_b32 v52, v61
	s_waitcnt lgkmcnt(0)
	; wave barrier
	s_waitcnt lgkmcnt(0)
	s_and_saveexec_b64 s[8:9], s[6:7]
	s_cbranch_execz .LBB88_106
; %bb.97:
	s_andn2_b64 vcc, exec, s[10:11]
	s_cbranch_vccnz .LBB88_99
; %bb.98:
	buffer_load_dword v61, v53, s[0:3], 0 offen
	ds_read_b32 v62, v52
	s_waitcnt vmcnt(0) lgkmcnt(0)
	v_mul_f32_e32 v61, v61, v62
	s_cbranch_execz .LBB88_100
	s_branch .LBB88_101
.LBB88_99:
                                        ; implicit-def: $vgpr61
.LBB88_100:
	ds_read_b32 v61, v52
.LBB88_101:
	s_and_saveexec_b64 s[12:13], s[4:5]
	s_cbranch_execz .LBB88_105
; %bb.102:
	v_add_u32_e32 v62, -14, v0
	s_movk_i32 s14, 0xa8
	s_mov_b64 s[4:5], 0
.LBB88_103:                             ; =>This Inner Loop Header: Depth=1
	buffer_load_dword v63, v60, s[0:3], 0 offen
	v_mov_b32_e32 v64, s14
	ds_read_b32 v64, v64
	v_add_u32_e32 v62, -1, v62
	s_add_i32 s14, s14, 4
	v_cmp_eq_u32_e32 vcc, 0, v62
	v_add_u32_e32 v60, 4, v60
	s_or_b64 s[4:5], vcc, s[4:5]
	s_waitcnt vmcnt(0) lgkmcnt(0)
	v_fmac_f32_e32 v61, v63, v64
	s_andn2_b64 exec, exec, s[4:5]
	s_cbranch_execnz .LBB88_103
; %bb.104:
	s_or_b64 exec, exec, s[4:5]
.LBB88_105:
	s_or_b64 exec, exec, s[12:13]
	v_mov_b32_e32 v60, 0
	ds_read_b32 v60, v60 offset:52
	s_waitcnt lgkmcnt(0)
	v_mul_f32_e32 v60, v61, v60
	buffer_store_dword v60, off, s[0:3], 0 offset:52
.LBB88_106:
	s_or_b64 exec, exec, s[8:9]
	buffer_load_dword v60, off, s[0:3], 0 offset:48
	v_cmp_lt_u32_e64 s[4:5], 12, v0
	s_waitcnt vmcnt(0)
	ds_write_b32 v52, v60
	s_waitcnt lgkmcnt(0)
	; wave barrier
	s_waitcnt lgkmcnt(0)
	s_and_saveexec_b64 s[8:9], s[4:5]
	s_cbranch_execz .LBB88_116
; %bb.107:
	s_andn2_b64 vcc, exec, s[10:11]
	s_cbranch_vccnz .LBB88_109
; %bb.108:
	buffer_load_dword v60, v53, s[0:3], 0 offen
	ds_read_b32 v61, v52
	s_waitcnt vmcnt(0) lgkmcnt(0)
	v_mul_f32_e32 v60, v60, v61
	s_cbranch_execz .LBB88_110
	s_branch .LBB88_111
.LBB88_109:
                                        ; implicit-def: $vgpr60
.LBB88_110:
	ds_read_b32 v60, v52
.LBB88_111:
	s_and_saveexec_b64 s[12:13], s[6:7]
	s_cbranch_execz .LBB88_115
; %bb.112:
	v_mov_b32_e32 v61, 0
	v_add_u32_e32 v61, 52, v61
	v_add_u32_e32 v62, -13, v0
	s_movk_i32 s14, 0xa4
	s_mov_b64 s[6:7], 0
.LBB88_113:                             ; =>This Inner Loop Header: Depth=1
	buffer_load_dword v63, v61, s[0:3], 0 offen
	v_mov_b32_e32 v64, s14
	ds_read_b32 v64, v64
	v_add_u32_e32 v62, -1, v62
	s_add_i32 s14, s14, 4
	v_cmp_eq_u32_e32 vcc, 0, v62
	v_add_u32_e32 v61, 4, v61
	s_or_b64 s[6:7], vcc, s[6:7]
	s_waitcnt vmcnt(0) lgkmcnt(0)
	v_fmac_f32_e32 v60, v63, v64
	s_andn2_b64 exec, exec, s[6:7]
	s_cbranch_execnz .LBB88_113
; %bb.114:
	s_or_b64 exec, exec, s[6:7]
.LBB88_115:
	s_or_b64 exec, exec, s[12:13]
	v_mov_b32_e32 v61, 0
	ds_read_b32 v61, v61 offset:48
	s_waitcnt lgkmcnt(0)
	v_mul_f32_e32 v60, v60, v61
	buffer_store_dword v60, off, s[0:3], 0 offset:48
.LBB88_116:
	s_or_b64 exec, exec, s[8:9]
	buffer_load_dword v60, off, s[0:3], 0 offset:44
	v_cmp_lt_u32_e64 s[6:7], 11, v0
	s_waitcnt vmcnt(0)
	ds_write_b32 v52, v60
	s_waitcnt lgkmcnt(0)
	; wave barrier
	s_waitcnt lgkmcnt(0)
	s_and_saveexec_b64 s[8:9], s[6:7]
	s_cbranch_execz .LBB88_126
; %bb.117:
	s_andn2_b64 vcc, exec, s[10:11]
	s_cbranch_vccnz .LBB88_119
; %bb.118:
	buffer_load_dword v60, v53, s[0:3], 0 offen
	ds_read_b32 v61, v52
	s_waitcnt vmcnt(0) lgkmcnt(0)
	v_mul_f32_e32 v60, v60, v61
	s_cbranch_execz .LBB88_120
	s_branch .LBB88_121
.LBB88_119:
                                        ; implicit-def: $vgpr60
.LBB88_120:
	ds_read_b32 v60, v52
.LBB88_121:
	s_and_saveexec_b64 s[12:13], s[4:5]
	s_cbranch_execz .LBB88_125
; %bb.122:
	v_add_u32_e32 v61, -12, v0
	s_movk_i32 s14, 0xa0
	s_mov_b64 s[4:5], 0
.LBB88_123:                             ; =>This Inner Loop Header: Depth=1
	buffer_load_dword v62, v59, s[0:3], 0 offen
	v_mov_b32_e32 v63, s14
	ds_read_b32 v63, v63
	v_add_u32_e32 v61, -1, v61
	s_add_i32 s14, s14, 4
	v_cmp_eq_u32_e32 vcc, 0, v61
	v_add_u32_e32 v59, 4, v59
	s_or_b64 s[4:5], vcc, s[4:5]
	s_waitcnt vmcnt(0) lgkmcnt(0)
	v_fmac_f32_e32 v60, v62, v63
	s_andn2_b64 exec, exec, s[4:5]
	s_cbranch_execnz .LBB88_123
; %bb.124:
	s_or_b64 exec, exec, s[4:5]
.LBB88_125:
	s_or_b64 exec, exec, s[12:13]
	v_mov_b32_e32 v59, 0
	ds_read_b32 v59, v59 offset:44
	s_waitcnt lgkmcnt(0)
	v_mul_f32_e32 v59, v60, v59
	buffer_store_dword v59, off, s[0:3], 0 offset:44
.LBB88_126:
	s_or_b64 exec, exec, s[8:9]
	buffer_load_dword v59, off, s[0:3], 0 offset:40
	v_cmp_lt_u32_e64 s[4:5], 10, v0
	s_waitcnt vmcnt(0)
	ds_write_b32 v52, v59
	s_waitcnt lgkmcnt(0)
	; wave barrier
	s_waitcnt lgkmcnt(0)
	s_and_saveexec_b64 s[8:9], s[4:5]
	s_cbranch_execz .LBB88_136
; %bb.127:
	s_andn2_b64 vcc, exec, s[10:11]
	s_cbranch_vccnz .LBB88_129
; %bb.128:
	buffer_load_dword v59, v53, s[0:3], 0 offen
	ds_read_b32 v60, v52
	s_waitcnt vmcnt(0) lgkmcnt(0)
	v_mul_f32_e32 v59, v59, v60
	s_cbranch_execz .LBB88_130
	s_branch .LBB88_131
.LBB88_129:
                                        ; implicit-def: $vgpr59
.LBB88_130:
	ds_read_b32 v59, v52
.LBB88_131:
	s_and_saveexec_b64 s[12:13], s[6:7]
	s_cbranch_execz .LBB88_135
; %bb.132:
	v_mov_b32_e32 v60, 0
	v_add_u32_e32 v60, 44, v60
	v_add_u32_e32 v61, -11, v0
	s_movk_i32 s14, 0x9c
	s_mov_b64 s[6:7], 0
.LBB88_133:                             ; =>This Inner Loop Header: Depth=1
	buffer_load_dword v62, v60, s[0:3], 0 offen
	v_mov_b32_e32 v63, s14
	ds_read_b32 v63, v63
	v_add_u32_e32 v61, -1, v61
	s_add_i32 s14, s14, 4
	v_cmp_eq_u32_e32 vcc, 0, v61
	v_add_u32_e32 v60, 4, v60
	s_or_b64 s[6:7], vcc, s[6:7]
	s_waitcnt vmcnt(0) lgkmcnt(0)
	v_fmac_f32_e32 v59, v62, v63
	s_andn2_b64 exec, exec, s[6:7]
	s_cbranch_execnz .LBB88_133
; %bb.134:
	s_or_b64 exec, exec, s[6:7]
.LBB88_135:
	s_or_b64 exec, exec, s[12:13]
	v_mov_b32_e32 v60, 0
	ds_read_b32 v60, v60 offset:40
	s_waitcnt lgkmcnt(0)
	v_mul_f32_e32 v59, v59, v60
	buffer_store_dword v59, off, s[0:3], 0 offset:40
.LBB88_136:
	s_or_b64 exec, exec, s[8:9]
	buffer_load_dword v59, off, s[0:3], 0 offset:36
	v_cmp_lt_u32_e64 s[6:7], 9, v0
	s_waitcnt vmcnt(0)
	ds_write_b32 v52, v59
	s_waitcnt lgkmcnt(0)
	; wave barrier
	s_waitcnt lgkmcnt(0)
	s_and_saveexec_b64 s[8:9], s[6:7]
	s_cbranch_execz .LBB88_146
; %bb.137:
	s_andn2_b64 vcc, exec, s[10:11]
	s_cbranch_vccnz .LBB88_139
; %bb.138:
	buffer_load_dword v59, v53, s[0:3], 0 offen
	ds_read_b32 v60, v52
	s_waitcnt vmcnt(0) lgkmcnt(0)
	v_mul_f32_e32 v59, v59, v60
	s_cbranch_execz .LBB88_140
	s_branch .LBB88_141
.LBB88_139:
                                        ; implicit-def: $vgpr59
.LBB88_140:
	ds_read_b32 v59, v52
.LBB88_141:
	s_and_saveexec_b64 s[12:13], s[4:5]
	s_cbranch_execz .LBB88_145
; %bb.142:
	v_add_u32_e32 v60, -10, v0
	s_movk_i32 s14, 0x98
	s_mov_b64 s[4:5], 0
.LBB88_143:                             ; =>This Inner Loop Header: Depth=1
	buffer_load_dword v61, v58, s[0:3], 0 offen
	v_mov_b32_e32 v62, s14
	ds_read_b32 v62, v62
	v_add_u32_e32 v60, -1, v60
	s_add_i32 s14, s14, 4
	v_cmp_eq_u32_e32 vcc, 0, v60
	v_add_u32_e32 v58, 4, v58
	s_or_b64 s[4:5], vcc, s[4:5]
	s_waitcnt vmcnt(0) lgkmcnt(0)
	v_fmac_f32_e32 v59, v61, v62
	s_andn2_b64 exec, exec, s[4:5]
	s_cbranch_execnz .LBB88_143
; %bb.144:
	s_or_b64 exec, exec, s[4:5]
.LBB88_145:
	s_or_b64 exec, exec, s[12:13]
	v_mov_b32_e32 v58, 0
	ds_read_b32 v58, v58 offset:36
	s_waitcnt lgkmcnt(0)
	v_mul_f32_e32 v58, v59, v58
	buffer_store_dword v58, off, s[0:3], 0 offset:36
.LBB88_146:
	s_or_b64 exec, exec, s[8:9]
	buffer_load_dword v58, off, s[0:3], 0 offset:32
	v_cmp_lt_u32_e64 s[4:5], 8, v0
	s_waitcnt vmcnt(0)
	ds_write_b32 v52, v58
	s_waitcnt lgkmcnt(0)
	; wave barrier
	s_waitcnt lgkmcnt(0)
	s_and_saveexec_b64 s[8:9], s[4:5]
	s_cbranch_execz .LBB88_156
; %bb.147:
	s_andn2_b64 vcc, exec, s[10:11]
	s_cbranch_vccnz .LBB88_149
; %bb.148:
	buffer_load_dword v58, v53, s[0:3], 0 offen
	ds_read_b32 v59, v52
	s_waitcnt vmcnt(0) lgkmcnt(0)
	v_mul_f32_e32 v58, v58, v59
	s_cbranch_execz .LBB88_150
	s_branch .LBB88_151
.LBB88_149:
                                        ; implicit-def: $vgpr58
.LBB88_150:
	ds_read_b32 v58, v52
.LBB88_151:
	s_and_saveexec_b64 s[12:13], s[6:7]
	s_cbranch_execz .LBB88_155
; %bb.152:
	v_mov_b32_e32 v59, 0
	v_add_u32_e32 v59, 36, v59
	v_add_u32_e32 v60, -9, v0
	s_movk_i32 s14, 0x94
	s_mov_b64 s[6:7], 0
.LBB88_153:                             ; =>This Inner Loop Header: Depth=1
	buffer_load_dword v61, v59, s[0:3], 0 offen
	v_mov_b32_e32 v62, s14
	ds_read_b32 v62, v62
	v_add_u32_e32 v60, -1, v60
	s_add_i32 s14, s14, 4
	v_cmp_eq_u32_e32 vcc, 0, v60
	v_add_u32_e32 v59, 4, v59
	s_or_b64 s[6:7], vcc, s[6:7]
	s_waitcnt vmcnt(0) lgkmcnt(0)
	v_fmac_f32_e32 v58, v61, v62
	s_andn2_b64 exec, exec, s[6:7]
	s_cbranch_execnz .LBB88_153
; %bb.154:
	s_or_b64 exec, exec, s[6:7]
.LBB88_155:
	s_or_b64 exec, exec, s[12:13]
	v_mov_b32_e32 v59, 0
	ds_read_b32 v59, v59 offset:32
	s_waitcnt lgkmcnt(0)
	v_mul_f32_e32 v58, v58, v59
	buffer_store_dword v58, off, s[0:3], 0 offset:32
.LBB88_156:
	s_or_b64 exec, exec, s[8:9]
	buffer_load_dword v58, off, s[0:3], 0 offset:28
	v_cmp_lt_u32_e64 s[6:7], 7, v0
	s_waitcnt vmcnt(0)
	ds_write_b32 v52, v58
	s_waitcnt lgkmcnt(0)
	; wave barrier
	s_waitcnt lgkmcnt(0)
	s_and_saveexec_b64 s[8:9], s[6:7]
	s_cbranch_execz .LBB88_166
; %bb.157:
	s_andn2_b64 vcc, exec, s[10:11]
	s_cbranch_vccnz .LBB88_159
; %bb.158:
	buffer_load_dword v58, v53, s[0:3], 0 offen
	ds_read_b32 v59, v52
	s_waitcnt vmcnt(0) lgkmcnt(0)
	v_mul_f32_e32 v58, v58, v59
	s_cbranch_execz .LBB88_160
	s_branch .LBB88_161
.LBB88_159:
                                        ; implicit-def: $vgpr58
.LBB88_160:
	ds_read_b32 v58, v52
.LBB88_161:
	s_and_saveexec_b64 s[12:13], s[4:5]
	s_cbranch_execz .LBB88_165
; %bb.162:
	v_add_u32_e32 v59, -8, v0
	s_movk_i32 s14, 0x90
	s_mov_b64 s[4:5], 0
.LBB88_163:                             ; =>This Inner Loop Header: Depth=1
	buffer_load_dword v60, v57, s[0:3], 0 offen
	v_mov_b32_e32 v61, s14
	ds_read_b32 v61, v61
	v_add_u32_e32 v59, -1, v59
	s_add_i32 s14, s14, 4
	v_cmp_eq_u32_e32 vcc, 0, v59
	v_add_u32_e32 v57, 4, v57
	s_or_b64 s[4:5], vcc, s[4:5]
	s_waitcnt vmcnt(0) lgkmcnt(0)
	v_fmac_f32_e32 v58, v60, v61
	s_andn2_b64 exec, exec, s[4:5]
	s_cbranch_execnz .LBB88_163
; %bb.164:
	s_or_b64 exec, exec, s[4:5]
.LBB88_165:
	s_or_b64 exec, exec, s[12:13]
	v_mov_b32_e32 v57, 0
	ds_read_b32 v57, v57 offset:28
	s_waitcnt lgkmcnt(0)
	v_mul_f32_e32 v57, v58, v57
	buffer_store_dword v57, off, s[0:3], 0 offset:28
.LBB88_166:
	s_or_b64 exec, exec, s[8:9]
	buffer_load_dword v57, off, s[0:3], 0 offset:24
	v_cmp_lt_u32_e64 s[4:5], 6, v0
	s_waitcnt vmcnt(0)
	ds_write_b32 v52, v57
	s_waitcnt lgkmcnt(0)
	; wave barrier
	s_waitcnt lgkmcnt(0)
	s_and_saveexec_b64 s[8:9], s[4:5]
	s_cbranch_execz .LBB88_176
; %bb.167:
	s_andn2_b64 vcc, exec, s[10:11]
	s_cbranch_vccnz .LBB88_169
; %bb.168:
	buffer_load_dword v57, v53, s[0:3], 0 offen
	ds_read_b32 v58, v52
	s_waitcnt vmcnt(0) lgkmcnt(0)
	v_mul_f32_e32 v57, v57, v58
	s_cbranch_execz .LBB88_170
	s_branch .LBB88_171
.LBB88_169:
                                        ; implicit-def: $vgpr57
.LBB88_170:
	ds_read_b32 v57, v52
.LBB88_171:
	s_and_saveexec_b64 s[12:13], s[6:7]
	s_cbranch_execz .LBB88_175
; %bb.172:
	v_mov_b32_e32 v58, 0
	v_add_u32_e32 v58, 28, v58
	v_add_u32_e32 v59, -7, v0
	s_movk_i32 s14, 0x8c
	s_mov_b64 s[6:7], 0
.LBB88_173:                             ; =>This Inner Loop Header: Depth=1
	buffer_load_dword v60, v58, s[0:3], 0 offen
	v_mov_b32_e32 v61, s14
	ds_read_b32 v61, v61
	v_add_u32_e32 v59, -1, v59
	s_add_i32 s14, s14, 4
	v_cmp_eq_u32_e32 vcc, 0, v59
	v_add_u32_e32 v58, 4, v58
	s_or_b64 s[6:7], vcc, s[6:7]
	s_waitcnt vmcnt(0) lgkmcnt(0)
	v_fmac_f32_e32 v57, v60, v61
	s_andn2_b64 exec, exec, s[6:7]
	s_cbranch_execnz .LBB88_173
; %bb.174:
	s_or_b64 exec, exec, s[6:7]
.LBB88_175:
	s_or_b64 exec, exec, s[12:13]
	v_mov_b32_e32 v58, 0
	ds_read_b32 v58, v58 offset:24
	s_waitcnt lgkmcnt(0)
	v_mul_f32_e32 v57, v57, v58
	buffer_store_dword v57, off, s[0:3], 0 offset:24
.LBB88_176:
	s_or_b64 exec, exec, s[8:9]
	buffer_load_dword v57, off, s[0:3], 0 offset:20
	v_cmp_lt_u32_e64 s[6:7], 5, v0
	s_waitcnt vmcnt(0)
	ds_write_b32 v52, v57
	s_waitcnt lgkmcnt(0)
	; wave barrier
	s_waitcnt lgkmcnt(0)
	s_and_saveexec_b64 s[8:9], s[6:7]
	s_cbranch_execz .LBB88_186
; %bb.177:
	s_andn2_b64 vcc, exec, s[10:11]
	s_cbranch_vccnz .LBB88_179
; %bb.178:
	buffer_load_dword v57, v53, s[0:3], 0 offen
	ds_read_b32 v58, v52
	s_waitcnt vmcnt(0) lgkmcnt(0)
	v_mul_f32_e32 v57, v57, v58
	s_cbranch_execz .LBB88_180
	s_branch .LBB88_181
.LBB88_179:
                                        ; implicit-def: $vgpr57
.LBB88_180:
	ds_read_b32 v57, v52
.LBB88_181:
	s_and_saveexec_b64 s[12:13], s[4:5]
	s_cbranch_execz .LBB88_185
; %bb.182:
	v_add_u32_e32 v58, -6, v0
	s_movk_i32 s14, 0x88
	s_mov_b64 s[4:5], 0
.LBB88_183:                             ; =>This Inner Loop Header: Depth=1
	buffer_load_dword v59, v56, s[0:3], 0 offen
	v_mov_b32_e32 v60, s14
	ds_read_b32 v60, v60
	v_add_u32_e32 v58, -1, v58
	s_add_i32 s14, s14, 4
	v_cmp_eq_u32_e32 vcc, 0, v58
	v_add_u32_e32 v56, 4, v56
	s_or_b64 s[4:5], vcc, s[4:5]
	s_waitcnt vmcnt(0) lgkmcnt(0)
	v_fmac_f32_e32 v57, v59, v60
	s_andn2_b64 exec, exec, s[4:5]
	s_cbranch_execnz .LBB88_183
; %bb.184:
	s_or_b64 exec, exec, s[4:5]
.LBB88_185:
	s_or_b64 exec, exec, s[12:13]
	v_mov_b32_e32 v56, 0
	ds_read_b32 v56, v56 offset:20
	s_waitcnt lgkmcnt(0)
	v_mul_f32_e32 v56, v57, v56
	buffer_store_dword v56, off, s[0:3], 0 offset:20
.LBB88_186:
	s_or_b64 exec, exec, s[8:9]
	buffer_load_dword v56, off, s[0:3], 0 offset:16
	v_cmp_lt_u32_e64 s[4:5], 4, v0
	s_waitcnt vmcnt(0)
	ds_write_b32 v52, v56
	s_waitcnt lgkmcnt(0)
	; wave barrier
	s_waitcnt lgkmcnt(0)
	s_and_saveexec_b64 s[8:9], s[4:5]
	s_cbranch_execz .LBB88_196
; %bb.187:
	s_andn2_b64 vcc, exec, s[10:11]
	s_cbranch_vccnz .LBB88_189
; %bb.188:
	buffer_load_dword v56, v53, s[0:3], 0 offen
	ds_read_b32 v57, v52
	s_waitcnt vmcnt(0) lgkmcnt(0)
	v_mul_f32_e32 v56, v56, v57
	s_cbranch_execz .LBB88_190
	s_branch .LBB88_191
.LBB88_189:
                                        ; implicit-def: $vgpr56
.LBB88_190:
	ds_read_b32 v56, v52
.LBB88_191:
	s_and_saveexec_b64 s[12:13], s[6:7]
	s_cbranch_execz .LBB88_195
; %bb.192:
	v_mov_b32_e32 v57, 0
	v_add_u32_e32 v57, 20, v57
	v_add_u32_e32 v58, -5, v0
	s_movk_i32 s14, 0x84
	s_mov_b64 s[6:7], 0
.LBB88_193:                             ; =>This Inner Loop Header: Depth=1
	buffer_load_dword v59, v57, s[0:3], 0 offen
	v_mov_b32_e32 v60, s14
	ds_read_b32 v60, v60
	v_add_u32_e32 v58, -1, v58
	s_add_i32 s14, s14, 4
	v_cmp_eq_u32_e32 vcc, 0, v58
	v_add_u32_e32 v57, 4, v57
	s_or_b64 s[6:7], vcc, s[6:7]
	s_waitcnt vmcnt(0) lgkmcnt(0)
	v_fmac_f32_e32 v56, v59, v60
	s_andn2_b64 exec, exec, s[6:7]
	s_cbranch_execnz .LBB88_193
; %bb.194:
	s_or_b64 exec, exec, s[6:7]
.LBB88_195:
	s_or_b64 exec, exec, s[12:13]
	v_mov_b32_e32 v57, 0
	ds_read_b32 v57, v57 offset:16
	s_waitcnt lgkmcnt(0)
	v_mul_f32_e32 v56, v56, v57
	buffer_store_dword v56, off, s[0:3], 0 offset:16
.LBB88_196:
	s_or_b64 exec, exec, s[8:9]
	buffer_load_dword v56, off, s[0:3], 0 offset:12
	v_cmp_lt_u32_e64 s[6:7], 3, v0
	s_waitcnt vmcnt(0)
	ds_write_b32 v52, v56
	s_waitcnt lgkmcnt(0)
	; wave barrier
	s_waitcnt lgkmcnt(0)
	s_and_saveexec_b64 s[8:9], s[6:7]
	s_cbranch_execz .LBB88_206
; %bb.197:
	s_andn2_b64 vcc, exec, s[10:11]
	s_cbranch_vccnz .LBB88_199
; %bb.198:
	buffer_load_dword v56, v53, s[0:3], 0 offen
	ds_read_b32 v57, v52
	s_waitcnt vmcnt(0) lgkmcnt(0)
	v_mul_f32_e32 v56, v56, v57
	s_cbranch_execz .LBB88_200
	s_branch .LBB88_201
.LBB88_199:
                                        ; implicit-def: $vgpr56
.LBB88_200:
	ds_read_b32 v56, v52
.LBB88_201:
	s_and_saveexec_b64 s[12:13], s[4:5]
	s_cbranch_execz .LBB88_205
; %bb.202:
	v_add_u32_e32 v57, -4, v0
	s_movk_i32 s14, 0x80
	s_mov_b64 s[4:5], 0
.LBB88_203:                             ; =>This Inner Loop Header: Depth=1
	buffer_load_dword v58, v55, s[0:3], 0 offen
	v_mov_b32_e32 v59, s14
	ds_read_b32 v59, v59
	v_add_u32_e32 v57, -1, v57
	s_add_i32 s14, s14, 4
	v_cmp_eq_u32_e32 vcc, 0, v57
	v_add_u32_e32 v55, 4, v55
	s_or_b64 s[4:5], vcc, s[4:5]
	s_waitcnt vmcnt(0) lgkmcnt(0)
	v_fmac_f32_e32 v56, v58, v59
	s_andn2_b64 exec, exec, s[4:5]
	s_cbranch_execnz .LBB88_203
; %bb.204:
	s_or_b64 exec, exec, s[4:5]
.LBB88_205:
	s_or_b64 exec, exec, s[12:13]
	v_mov_b32_e32 v55, 0
	ds_read_b32 v55, v55 offset:12
	s_waitcnt lgkmcnt(0)
	v_mul_f32_e32 v55, v56, v55
	buffer_store_dword v55, off, s[0:3], 0 offset:12
.LBB88_206:
	s_or_b64 exec, exec, s[8:9]
	buffer_load_dword v55, off, s[0:3], 0 offset:8
	v_cmp_lt_u32_e64 s[4:5], 2, v0
	s_waitcnt vmcnt(0)
	ds_write_b32 v52, v55
	s_waitcnt lgkmcnt(0)
	; wave barrier
	s_waitcnt lgkmcnt(0)
	s_and_saveexec_b64 s[8:9], s[4:5]
	s_cbranch_execz .LBB88_216
; %bb.207:
	s_andn2_b64 vcc, exec, s[10:11]
	s_cbranch_vccnz .LBB88_209
; %bb.208:
	buffer_load_dword v55, v53, s[0:3], 0 offen
	ds_read_b32 v56, v52
	s_waitcnt vmcnt(0) lgkmcnt(0)
	v_mul_f32_e32 v55, v55, v56
	s_cbranch_execz .LBB88_210
	s_branch .LBB88_211
.LBB88_209:
                                        ; implicit-def: $vgpr55
.LBB88_210:
	ds_read_b32 v55, v52
.LBB88_211:
	s_and_saveexec_b64 s[12:13], s[6:7]
	s_cbranch_execz .LBB88_215
; %bb.212:
	v_mov_b32_e32 v56, 0
	v_or_b32_e32 v56, 12, v56
	v_add_u32_e32 v57, -3, v0
	s_movk_i32 s14, 0x7c
	s_mov_b64 s[6:7], 0
.LBB88_213:                             ; =>This Inner Loop Header: Depth=1
	buffer_load_dword v58, v56, s[0:3], 0 offen
	v_mov_b32_e32 v59, s14
	ds_read_b32 v59, v59
	v_add_u32_e32 v57, -1, v57
	s_add_i32 s14, s14, 4
	v_cmp_eq_u32_e32 vcc, 0, v57
	v_add_u32_e32 v56, 4, v56
	s_or_b64 s[6:7], vcc, s[6:7]
	s_waitcnt vmcnt(0) lgkmcnt(0)
	v_fmac_f32_e32 v55, v58, v59
	s_andn2_b64 exec, exec, s[6:7]
	s_cbranch_execnz .LBB88_213
; %bb.214:
	s_or_b64 exec, exec, s[6:7]
.LBB88_215:
	s_or_b64 exec, exec, s[12:13]
	v_mov_b32_e32 v56, 0
	ds_read_b32 v56, v56 offset:8
	s_waitcnt lgkmcnt(0)
	v_mul_f32_e32 v55, v55, v56
	buffer_store_dword v55, off, s[0:3], 0 offset:8
.LBB88_216:
	s_or_b64 exec, exec, s[8:9]
	buffer_load_dword v55, off, s[0:3], 0 offset:4
	v_cmp_lt_u32_e64 s[6:7], 1, v0
	s_waitcnt vmcnt(0)
	ds_write_b32 v52, v55
	s_waitcnt lgkmcnt(0)
	; wave barrier
	s_waitcnt lgkmcnt(0)
	s_and_saveexec_b64 s[8:9], s[6:7]
	s_cbranch_execz .LBB88_226
; %bb.217:
	s_andn2_b64 vcc, exec, s[10:11]
	s_cbranch_vccnz .LBB88_219
; %bb.218:
	buffer_load_dword v55, v53, s[0:3], 0 offen
	ds_read_b32 v56, v52
	s_waitcnt vmcnt(0) lgkmcnt(0)
	v_mul_f32_e32 v55, v55, v56
	s_cbranch_execz .LBB88_220
	s_branch .LBB88_221
.LBB88_219:
                                        ; implicit-def: $vgpr55
.LBB88_220:
	ds_read_b32 v55, v52
.LBB88_221:
	s_and_saveexec_b64 s[12:13], s[4:5]
	s_cbranch_execz .LBB88_225
; %bb.222:
	v_add_u32_e32 v56, -2, v0
	s_movk_i32 s14, 0x78
	s_mov_b64 s[4:5], 0
.LBB88_223:                             ; =>This Inner Loop Header: Depth=1
	buffer_load_dword v57, v54, s[0:3], 0 offen
	v_mov_b32_e32 v58, s14
	ds_read_b32 v58, v58
	v_add_u32_e32 v56, -1, v56
	s_add_i32 s14, s14, 4
	v_cmp_eq_u32_e32 vcc, 0, v56
	v_add_u32_e32 v54, 4, v54
	s_or_b64 s[4:5], vcc, s[4:5]
	s_waitcnt vmcnt(0) lgkmcnt(0)
	v_fmac_f32_e32 v55, v57, v58
	s_andn2_b64 exec, exec, s[4:5]
	s_cbranch_execnz .LBB88_223
; %bb.224:
	s_or_b64 exec, exec, s[4:5]
.LBB88_225:
	s_or_b64 exec, exec, s[12:13]
	v_mov_b32_e32 v54, 0
	ds_read_b32 v54, v54 offset:4
	s_waitcnt lgkmcnt(0)
	v_mul_f32_e32 v54, v55, v54
	buffer_store_dword v54, off, s[0:3], 0 offset:4
.LBB88_226:
	s_or_b64 exec, exec, s[8:9]
	buffer_load_dword v54, off, s[0:3], 0
	v_cmp_ne_u32_e32 vcc, 0, v0
	s_waitcnt vmcnt(0)
	ds_write_b32 v52, v54
	s_waitcnt lgkmcnt(0)
	; wave barrier
	s_waitcnt lgkmcnt(0)
	s_and_saveexec_b64 s[4:5], vcc
	s_cbranch_execz .LBB88_236
; %bb.227:
	s_andn2_b64 vcc, exec, s[10:11]
	s_cbranch_vccnz .LBB88_229
; %bb.228:
	buffer_load_dword v54, v53, s[0:3], 0 offen
	ds_read_b32 v55, v52
	s_waitcnt vmcnt(0) lgkmcnt(0)
	v_mul_f32_e32 v54, v54, v55
	s_cbranch_execz .LBB88_230
	s_branch .LBB88_231
.LBB88_229:
                                        ; implicit-def: $vgpr54
.LBB88_230:
	ds_read_b32 v54, v52
.LBB88_231:
	s_and_saveexec_b64 s[8:9], s[6:7]
	s_cbranch_execz .LBB88_235
; %bb.232:
	v_mov_b32_e32 v55, 0
	v_or_b32_e32 v55, 4, v55
	v_add_u32_e32 v56, -1, v0
	s_movk_i32 s12, 0x74
	s_mov_b64 s[6:7], 0
.LBB88_233:                             ; =>This Inner Loop Header: Depth=1
	buffer_load_dword v57, v55, s[0:3], 0 offen
	v_mov_b32_e32 v58, s12
	ds_read_b32 v58, v58
	v_add_u32_e32 v56, -1, v56
	s_add_i32 s12, s12, 4
	v_cmp_eq_u32_e32 vcc, 0, v56
	v_add_u32_e32 v55, 4, v55
	s_or_b64 s[6:7], vcc, s[6:7]
	s_waitcnt vmcnt(0) lgkmcnt(0)
	v_fmac_f32_e32 v54, v57, v58
	s_andn2_b64 exec, exec, s[6:7]
	s_cbranch_execnz .LBB88_233
; %bb.234:
	s_or_b64 exec, exec, s[6:7]
.LBB88_235:
	s_or_b64 exec, exec, s[8:9]
	v_mov_b32_e32 v55, 0
	ds_read_b32 v55, v55
	s_waitcnt lgkmcnt(0)
	v_mul_f32_e32 v54, v54, v55
	buffer_store_dword v54, off, s[0:3], 0
.LBB88_236:
	s_or_b64 exec, exec, s[4:5]
	s_mov_b64 s[4:5], 0
.LBB88_237:
	s_and_b64 vcc, exec, s[4:5]
	s_cbranch_vccz .LBB88_471
; %bb.238:
	buffer_load_dword v54, off, s[0:3], 0 offset:4
	v_cmp_eq_u32_e64 s[6:7], 0, v0
	s_waitcnt vmcnt(0)
	ds_write_b32 v52, v54
	s_waitcnt lgkmcnt(0)
	; wave barrier
	s_waitcnt lgkmcnt(0)
	s_and_saveexec_b64 s[4:5], s[6:7]
	s_cbranch_execz .LBB88_244
; %bb.239:
	s_and_b64 vcc, exec, s[10:11]
	s_cbranch_vccz .LBB88_241
; %bb.240:
	buffer_load_dword v54, v53, s[0:3], 0 offen
	ds_read_b32 v55, v52
	s_waitcnt vmcnt(0) lgkmcnt(0)
	v_mul_f32_e32 v54, v54, v55
	s_cbranch_execz .LBB88_242
	s_branch .LBB88_243
.LBB88_241:
                                        ; implicit-def: $vgpr54
.LBB88_242:
	ds_read_b32 v54, v52
.LBB88_243:
	v_mov_b32_e32 v55, 0
	ds_read_b32 v55, v55 offset:4
	s_waitcnt lgkmcnt(0)
	v_mul_f32_e32 v54, v54, v55
	buffer_store_dword v54, off, s[0:3], 0 offset:4
.LBB88_244:
	s_or_b64 exec, exec, s[4:5]
	buffer_load_dword v54, off, s[0:3], 0 offset:8
	v_cndmask_b32_e64 v55, 0, 1, s[10:11]
	v_cmp_gt_u32_e32 vcc, 2, v0
	v_cmp_ne_u32_e64 s[4:5], 1, v55
	s_waitcnt vmcnt(0)
	ds_write_b32 v52, v54
	s_waitcnt lgkmcnt(0)
	; wave barrier
	s_waitcnt lgkmcnt(0)
	s_and_saveexec_b64 s[8:9], vcc
	s_cbranch_execz .LBB88_252
; %bb.245:
	s_and_b64 vcc, exec, s[4:5]
	s_cbranch_vccnz .LBB88_247
; %bb.246:
	buffer_load_dword v54, v53, s[0:3], 0 offen
	ds_read_b32 v55, v52
	s_waitcnt vmcnt(0) lgkmcnt(0)
	v_mul_f32_e32 v54, v54, v55
	s_cbranch_execz .LBB88_248
	s_branch .LBB88_249
.LBB88_247:
                                        ; implicit-def: $vgpr54
.LBB88_248:
	ds_read_b32 v54, v52
.LBB88_249:
	s_and_saveexec_b64 s[10:11], s[6:7]
	s_cbranch_execz .LBB88_251
; %bb.250:
	buffer_load_dword v55, v53, s[0:3], 0 offen offset:4
	ds_read_b32 v56, v52 offset:4
	s_waitcnt vmcnt(0) lgkmcnt(0)
	v_fmac_f32_e32 v54, v55, v56
.LBB88_251:
	s_or_b64 exec, exec, s[10:11]
	v_mov_b32_e32 v55, 0
	ds_read_b32 v55, v55 offset:8
	s_waitcnt lgkmcnt(0)
	v_mul_f32_e32 v54, v54, v55
	buffer_store_dword v54, off, s[0:3], 0 offset:8
.LBB88_252:
	s_or_b64 exec, exec, s[8:9]
	buffer_load_dword v54, off, s[0:3], 0 offset:12
	v_cmp_gt_u32_e32 vcc, 3, v0
	s_waitcnt vmcnt(0)
	ds_write_b32 v52, v54
	s_waitcnt lgkmcnt(0)
	; wave barrier
	s_waitcnt lgkmcnt(0)
	s_and_saveexec_b64 s[8:9], vcc
	s_cbranch_execz .LBB88_260
; %bb.253:
	s_and_b64 vcc, exec, s[4:5]
	s_cbranch_vccnz .LBB88_255
; %bb.254:
	buffer_load_dword v54, v53, s[0:3], 0 offen
	ds_read_b32 v55, v52
	s_waitcnt vmcnt(0) lgkmcnt(0)
	v_mul_f32_e32 v54, v54, v55
	s_cbranch_execz .LBB88_256
	s_branch .LBB88_257
.LBB88_255:
                                        ; implicit-def: $vgpr54
.LBB88_256:
	ds_read_b32 v54, v52
.LBB88_257:
	v_cmp_ne_u32_e32 vcc, 2, v0
	s_and_saveexec_b64 s[10:11], vcc
	s_cbranch_execz .LBB88_259
; %bb.258:
	buffer_load_dword v55, v53, s[0:3], 0 offen offset:4
	buffer_load_dword v56, off, s[0:3], 0 offset:8
	v_mov_b32_e32 v57, 0
	ds_read_b32 v58, v52 offset:4
	ds_read_b32 v57, v57 offset:120
	s_waitcnt vmcnt(1) lgkmcnt(1)
	v_fmac_f32_e32 v54, v55, v58
	s_waitcnt vmcnt(0) lgkmcnt(0)
	v_fma_f32 v55, v56, v57, v54
	v_cndmask_b32_e64 v54, v54, v55, s[6:7]
.LBB88_259:
	s_or_b64 exec, exec, s[10:11]
	v_mov_b32_e32 v55, 0
	ds_read_b32 v55, v55 offset:12
	s_waitcnt lgkmcnt(0)
	v_mul_f32_e32 v54, v54, v55
	buffer_store_dword v54, off, s[0:3], 0 offset:12
.LBB88_260:
	s_or_b64 exec, exec, s[8:9]
	buffer_load_dword v54, off, s[0:3], 0 offset:16
	v_cmp_gt_u32_e32 vcc, 4, v0
	s_waitcnt vmcnt(0)
	ds_write_b32 v52, v54
	s_waitcnt lgkmcnt(0)
	; wave barrier
	s_waitcnt lgkmcnt(0)
	s_and_saveexec_b64 s[6:7], vcc
	s_cbranch_execz .LBB88_270
; %bb.261:
	s_and_b64 vcc, exec, s[4:5]
	s_cbranch_vccnz .LBB88_263
; %bb.262:
	buffer_load_dword v54, v53, s[0:3], 0 offen
	ds_read_b32 v55, v52
	s_waitcnt vmcnt(0) lgkmcnt(0)
	v_mul_f32_e32 v54, v54, v55
	s_cbranch_execz .LBB88_264
	s_branch .LBB88_265
.LBB88_263:
                                        ; implicit-def: $vgpr54
.LBB88_264:
	ds_read_b32 v54, v52
.LBB88_265:
	v_cmp_ne_u32_e32 vcc, 3, v0
	s_and_saveexec_b64 s[8:9], vcc
	s_cbranch_execz .LBB88_269
; %bb.266:
	v_mov_b32_e32 v56, 0
	v_add_u32_e32 v55, 0x74, v1
	v_add3_u32 v56, v1, v56, 4
	s_mov_b64 s[10:11], 0
	v_mov_b32_e32 v57, v0
.LBB88_267:                             ; =>This Inner Loop Header: Depth=1
	buffer_load_dword v58, v56, s[0:3], 0 offen
	ds_read_b32 v59, v55
	v_add_u32_e32 v57, 1, v57
	v_cmp_lt_u32_e32 vcc, 2, v57
	v_add_u32_e32 v55, 4, v55
	v_add_u32_e32 v56, 4, v56
	s_or_b64 s[10:11], vcc, s[10:11]
	s_waitcnt vmcnt(0) lgkmcnt(0)
	v_fmac_f32_e32 v54, v58, v59
	s_andn2_b64 exec, exec, s[10:11]
	s_cbranch_execnz .LBB88_267
; %bb.268:
	s_or_b64 exec, exec, s[10:11]
.LBB88_269:
	s_or_b64 exec, exec, s[8:9]
	v_mov_b32_e32 v55, 0
	ds_read_b32 v55, v55 offset:16
	s_waitcnt lgkmcnt(0)
	v_mul_f32_e32 v54, v54, v55
	buffer_store_dword v54, off, s[0:3], 0 offset:16
.LBB88_270:
	s_or_b64 exec, exec, s[6:7]
	buffer_load_dword v54, off, s[0:3], 0 offset:20
	v_cmp_gt_u32_e32 vcc, 5, v0
	s_waitcnt vmcnt(0)
	ds_write_b32 v52, v54
	s_waitcnt lgkmcnt(0)
	; wave barrier
	s_waitcnt lgkmcnt(0)
	s_and_saveexec_b64 s[6:7], vcc
	s_cbranch_execz .LBB88_280
; %bb.271:
	s_and_b64 vcc, exec, s[4:5]
	s_cbranch_vccnz .LBB88_273
; %bb.272:
	buffer_load_dword v54, v53, s[0:3], 0 offen
	ds_read_b32 v55, v52
	s_waitcnt vmcnt(0) lgkmcnt(0)
	v_mul_f32_e32 v54, v54, v55
	s_cbranch_execz .LBB88_274
	s_branch .LBB88_275
.LBB88_273:
                                        ; implicit-def: $vgpr54
.LBB88_274:
	ds_read_b32 v54, v52
.LBB88_275:
	v_cmp_ne_u32_e32 vcc, 4, v0
	s_and_saveexec_b64 s[8:9], vcc
	s_cbranch_execz .LBB88_279
; %bb.276:
	v_mov_b32_e32 v56, 0
	v_add_u32_e32 v55, 0x74, v1
	v_add3_u32 v56, v1, v56, 4
	s_mov_b64 s[10:11], 0
	v_mov_b32_e32 v57, v0
.LBB88_277:                             ; =>This Inner Loop Header: Depth=1
	buffer_load_dword v58, v56, s[0:3], 0 offen
	ds_read_b32 v59, v55
	v_add_u32_e32 v57, 1, v57
	v_cmp_lt_u32_e32 vcc, 3, v57
	v_add_u32_e32 v55, 4, v55
	v_add_u32_e32 v56, 4, v56
	s_or_b64 s[10:11], vcc, s[10:11]
	s_waitcnt vmcnt(0) lgkmcnt(0)
	v_fmac_f32_e32 v54, v58, v59
	s_andn2_b64 exec, exec, s[10:11]
	s_cbranch_execnz .LBB88_277
; %bb.278:
	s_or_b64 exec, exec, s[10:11]
.LBB88_279:
	s_or_b64 exec, exec, s[8:9]
	v_mov_b32_e32 v55, 0
	ds_read_b32 v55, v55 offset:20
	s_waitcnt lgkmcnt(0)
	v_mul_f32_e32 v54, v54, v55
	buffer_store_dword v54, off, s[0:3], 0 offset:20
.LBB88_280:
	;; [unrolled: 56-line block ×19, first 2 shown]
	s_or_b64 exec, exec, s[6:7]
	buffer_load_dword v54, off, s[0:3], 0 offset:92
	v_cmp_gt_u32_e64 s[6:7], 23, v0
	s_waitcnt vmcnt(0)
	ds_write_b32 v52, v54
	s_waitcnt lgkmcnt(0)
	; wave barrier
	s_waitcnt lgkmcnt(0)
	s_and_saveexec_b64 s[8:9], s[6:7]
	s_cbranch_execz .LBB88_460
; %bb.451:
	s_and_b64 vcc, exec, s[4:5]
	s_cbranch_vccnz .LBB88_453
; %bb.452:
	buffer_load_dword v54, v53, s[0:3], 0 offen
	ds_read_b32 v55, v52
	s_waitcnt vmcnt(0) lgkmcnt(0)
	v_mul_f32_e32 v54, v54, v55
	s_cbranch_execz .LBB88_454
	s_branch .LBB88_455
.LBB88_453:
                                        ; implicit-def: $vgpr54
.LBB88_454:
	ds_read_b32 v54, v52
.LBB88_455:
	v_cmp_ne_u32_e32 vcc, 22, v0
	s_and_saveexec_b64 s[10:11], vcc
	s_cbranch_execz .LBB88_459
; %bb.456:
	v_mov_b32_e32 v56, 0
	v_add_u32_e32 v55, 0x74, v1
	v_add3_u32 v56, v1, v56, 4
	s_mov_b64 s[12:13], 0
	v_mov_b32_e32 v57, v0
.LBB88_457:                             ; =>This Inner Loop Header: Depth=1
	buffer_load_dword v58, v56, s[0:3], 0 offen
	ds_read_b32 v59, v55
	v_add_u32_e32 v57, 1, v57
	v_cmp_lt_u32_e32 vcc, 21, v57
	v_add_u32_e32 v55, 4, v55
	v_add_u32_e32 v56, 4, v56
	s_or_b64 s[12:13], vcc, s[12:13]
	s_waitcnt vmcnt(0) lgkmcnt(0)
	v_fmac_f32_e32 v54, v58, v59
	s_andn2_b64 exec, exec, s[12:13]
	s_cbranch_execnz .LBB88_457
; %bb.458:
	s_or_b64 exec, exec, s[12:13]
.LBB88_459:
	s_or_b64 exec, exec, s[10:11]
	v_mov_b32_e32 v55, 0
	ds_read_b32 v55, v55 offset:92
	s_waitcnt lgkmcnt(0)
	v_mul_f32_e32 v54, v54, v55
	buffer_store_dword v54, off, s[0:3], 0 offset:92
.LBB88_460:
	s_or_b64 exec, exec, s[8:9]
	buffer_load_dword v54, off, s[0:3], 0 offset:96
	v_cmp_ne_u32_e32 vcc, 24, v0
	s_waitcnt vmcnt(0)
	ds_write_b32 v52, v54
	s_waitcnt lgkmcnt(0)
	; wave barrier
	s_waitcnt lgkmcnt(0)
	s_and_saveexec_b64 s[8:9], vcc
	s_cbranch_execz .LBB88_470
; %bb.461:
	s_and_b64 vcc, exec, s[4:5]
	s_cbranch_vccnz .LBB88_463
; %bb.462:
	buffer_load_dword v53, v53, s[0:3], 0 offen
	ds_read_b32 v54, v52
	s_waitcnt vmcnt(0) lgkmcnt(0)
	v_mul_f32_e32 v53, v53, v54
	s_cbranch_execz .LBB88_464
	s_branch .LBB88_465
.LBB88_463:
                                        ; implicit-def: $vgpr53
.LBB88_464:
	ds_read_b32 v53, v52
.LBB88_465:
	s_and_saveexec_b64 s[4:5], s[6:7]
	s_cbranch_execz .LBB88_469
; %bb.466:
	v_mov_b32_e32 v54, 0
	v_add_u32_e32 v52, 0x74, v1
	v_add3_u32 v1, v1, v54, 4
	s_mov_b64 s[6:7], 0
.LBB88_467:                             ; =>This Inner Loop Header: Depth=1
	buffer_load_dword v54, v1, s[0:3], 0 offen
	ds_read_b32 v55, v52
	v_add_u32_e32 v0, 1, v0
	v_cmp_lt_u32_e32 vcc, 22, v0
	v_add_u32_e32 v52, 4, v52
	v_add_u32_e32 v1, 4, v1
	s_or_b64 s[6:7], vcc, s[6:7]
	s_waitcnt vmcnt(0) lgkmcnt(0)
	v_fmac_f32_e32 v53, v54, v55
	s_andn2_b64 exec, exec, s[6:7]
	s_cbranch_execnz .LBB88_467
; %bb.468:
	s_or_b64 exec, exec, s[6:7]
.LBB88_469:
	s_or_b64 exec, exec, s[4:5]
	v_mov_b32_e32 v0, 0
	ds_read_b32 v0, v0 offset:96
	s_waitcnt lgkmcnt(0)
	v_mul_f32_e32 v0, v53, v0
	buffer_store_dword v0, off, s[0:3], 0 offset:96
.LBB88_470:
	s_or_b64 exec, exec, s[8:9]
.LBB88_471:
	buffer_load_dword v0, off, s[0:3], 0
	buffer_load_dword v1, off, s[0:3], 0 offset:4
	buffer_load_dword v52, off, s[0:3], 0 offset:8
	;; [unrolled: 1-line block ×15, first 2 shown]
	s_waitcnt vmcnt(15)
	global_store_dword v[2:3], v0, off
	s_waitcnt vmcnt(15)
	global_store_dword v[6:7], v1, off
	buffer_load_dword v0, off, s[0:3], 0 offset:64
	s_nop 0
	buffer_load_dword v1, off, s[0:3], 0 offset:68
	buffer_load_dword v2, off, s[0:3], 0 offset:72
	;; [unrolled: 1-line block ×7, first 2 shown]
	s_waitcnt vmcnt(23)
	global_store_dword v[4:5], v52, off
	buffer_load_dword v4, off, s[0:3], 0 offset:96
	s_waitcnt vmcnt(24)
	global_store_dword v[8:9], v53, off
	s_waitcnt vmcnt(24)
	global_store_dword v[10:11], v54, off
	;; [unrolled: 2-line block ×22, first 2 shown]
.LBB88_472:
	s_endpgm
	.section	.rodata,"a",@progbits
	.p2align	6, 0x0
	.amdhsa_kernel _ZN9rocsolver6v33100L18trti2_kernel_smallILi25EfPKPfEEv13rocblas_fill_17rocblas_diagonal_T1_iil
		.amdhsa_group_segment_fixed_size 212
		.amdhsa_private_segment_fixed_size 112
		.amdhsa_kernarg_size 32
		.amdhsa_user_sgpr_count 8
		.amdhsa_user_sgpr_private_segment_buffer 1
		.amdhsa_user_sgpr_dispatch_ptr 0
		.amdhsa_user_sgpr_queue_ptr 0
		.amdhsa_user_sgpr_kernarg_segment_ptr 1
		.amdhsa_user_sgpr_dispatch_id 0
		.amdhsa_user_sgpr_flat_scratch_init 1
		.amdhsa_user_sgpr_kernarg_preload_length 0
		.amdhsa_user_sgpr_kernarg_preload_offset 0
		.amdhsa_user_sgpr_private_segment_size 0
		.amdhsa_uses_dynamic_stack 0
		.amdhsa_system_sgpr_private_segment_wavefront_offset 1
		.amdhsa_system_sgpr_workgroup_id_x 1
		.amdhsa_system_sgpr_workgroup_id_y 0
		.amdhsa_system_sgpr_workgroup_id_z 0
		.amdhsa_system_sgpr_workgroup_info 0
		.amdhsa_system_vgpr_workitem_id 0
		.amdhsa_next_free_vgpr 69
		.amdhsa_next_free_sgpr 16
		.amdhsa_accum_offset 72
		.amdhsa_reserve_vcc 1
		.amdhsa_reserve_flat_scratch 0
		.amdhsa_float_round_mode_32 0
		.amdhsa_float_round_mode_16_64 0
		.amdhsa_float_denorm_mode_32 3
		.amdhsa_float_denorm_mode_16_64 3
		.amdhsa_dx10_clamp 1
		.amdhsa_ieee_mode 1
		.amdhsa_fp16_overflow 0
		.amdhsa_tg_split 0
		.amdhsa_exception_fp_ieee_invalid_op 0
		.amdhsa_exception_fp_denorm_src 0
		.amdhsa_exception_fp_ieee_div_zero 0
		.amdhsa_exception_fp_ieee_overflow 0
		.amdhsa_exception_fp_ieee_underflow 0
		.amdhsa_exception_fp_ieee_inexact 0
		.amdhsa_exception_int_div_zero 0
	.end_amdhsa_kernel
	.section	.text._ZN9rocsolver6v33100L18trti2_kernel_smallILi25EfPKPfEEv13rocblas_fill_17rocblas_diagonal_T1_iil,"axG",@progbits,_ZN9rocsolver6v33100L18trti2_kernel_smallILi25EfPKPfEEv13rocblas_fill_17rocblas_diagonal_T1_iil,comdat
.Lfunc_end88:
	.size	_ZN9rocsolver6v33100L18trti2_kernel_smallILi25EfPKPfEEv13rocblas_fill_17rocblas_diagonal_T1_iil, .Lfunc_end88-_ZN9rocsolver6v33100L18trti2_kernel_smallILi25EfPKPfEEv13rocblas_fill_17rocblas_diagonal_T1_iil
                                        ; -- End function
	.section	.AMDGPU.csdata,"",@progbits
; Kernel info:
; codeLenInByte = 12060
; NumSgprs: 20
; NumVgprs: 69
; NumAgprs: 0
; TotalNumVgprs: 69
; ScratchSize: 112
; MemoryBound: 0
; FloatMode: 240
; IeeeMode: 1
; LDSByteSize: 212 bytes/workgroup (compile time only)
; SGPRBlocks: 2
; VGPRBlocks: 8
; NumSGPRsForWavesPerEU: 20
; NumVGPRsForWavesPerEU: 69
; AccumOffset: 72
; Occupancy: 7
; WaveLimiterHint : 1
; COMPUTE_PGM_RSRC2:SCRATCH_EN: 1
; COMPUTE_PGM_RSRC2:USER_SGPR: 8
; COMPUTE_PGM_RSRC2:TRAP_HANDLER: 0
; COMPUTE_PGM_RSRC2:TGID_X_EN: 1
; COMPUTE_PGM_RSRC2:TGID_Y_EN: 0
; COMPUTE_PGM_RSRC2:TGID_Z_EN: 0
; COMPUTE_PGM_RSRC2:TIDIG_COMP_CNT: 0
; COMPUTE_PGM_RSRC3_GFX90A:ACCUM_OFFSET: 17
; COMPUTE_PGM_RSRC3_GFX90A:TG_SPLIT: 0
	.section	.text._ZN9rocsolver6v33100L18trti2_kernel_smallILi26EfPKPfEEv13rocblas_fill_17rocblas_diagonal_T1_iil,"axG",@progbits,_ZN9rocsolver6v33100L18trti2_kernel_smallILi26EfPKPfEEv13rocblas_fill_17rocblas_diagonal_T1_iil,comdat
	.globl	_ZN9rocsolver6v33100L18trti2_kernel_smallILi26EfPKPfEEv13rocblas_fill_17rocblas_diagonal_T1_iil ; -- Begin function _ZN9rocsolver6v33100L18trti2_kernel_smallILi26EfPKPfEEv13rocblas_fill_17rocblas_diagonal_T1_iil
	.p2align	8
	.type	_ZN9rocsolver6v33100L18trti2_kernel_smallILi26EfPKPfEEv13rocblas_fill_17rocblas_diagonal_T1_iil,@function
_ZN9rocsolver6v33100L18trti2_kernel_smallILi26EfPKPfEEv13rocblas_fill_17rocblas_diagonal_T1_iil: ; @_ZN9rocsolver6v33100L18trti2_kernel_smallILi26EfPKPfEEv13rocblas_fill_17rocblas_diagonal_T1_iil
; %bb.0:
	s_add_u32 s0, s0, s9
	s_addc_u32 s1, s1, 0
	v_cmp_gt_u32_e32 vcc, 26, v0
	s_and_saveexec_b64 s[6:7], vcc
	s_cbranch_execz .LBB89_492
; %bb.1:
	s_load_dwordx2 s[6:7], s[4:5], 0x10
	s_load_dwordx4 s[12:15], s[4:5], 0x0
	s_ashr_i32 s9, s8, 31
	s_lshl_b64 s[4:5], s[8:9], 3
	v_lshlrev_b32_e32 v1, 2, v0
	s_waitcnt lgkmcnt(0)
	s_ashr_i32 s9, s6, 31
	s_add_u32 s4, s14, s4
	s_addc_u32 s5, s15, s5
	s_load_dwordx2 s[4:5], s[4:5], 0x0
	s_mov_b32 s8, s6
	s_lshl_b64 s[8:9], s[8:9], 2
	s_mov_b32 s10, s7
	s_waitcnt lgkmcnt(0)
	s_add_u32 s4, s4, s8
	s_addc_u32 s5, s5, s9
	s_ashr_i32 s11, s7, 31
	s_add_i32 s6, s7, s7
	v_mov_b32_e32 v3, s5
	v_add_co_u32_e32 v2, vcc, s4, v1
	global_load_dword v19, v1, s[4:5]
	s_lshl_b64 s[8:9], s[10:11], 2
	v_add_u32_e32 v6, s6, v0
	v_addc_co_u32_e32 v3, vcc, 0, v3, vcc
	v_mov_b32_e32 v5, s9
	v_ashrrev_i32_e32 v7, 31, v6
	v_add_co_u32_e32 v4, vcc, s8, v2
	v_add_u32_e32 v10, s7, v6
	v_addc_co_u32_e32 v5, vcc, v3, v5, vcc
	v_lshlrev_b64 v[6:7], 2, v[6:7]
	v_mov_b32_e32 v8, s5
	v_ashrrev_i32_e32 v11, 31, v10
	v_add_co_u32_e32 v6, vcc, s4, v6
	v_addc_co_u32_e32 v7, vcc, v8, v7, vcc
	v_lshlrev_b64 v[8:9], 2, v[10:11]
	v_mov_b32_e32 v12, s5
	v_add_co_u32_e32 v8, vcc, s4, v8
	v_addc_co_u32_e32 v9, vcc, v12, v9, vcc
	global_load_dword v23, v[4:5], off
	global_load_dword v25, v[6:7], off
	;; [unrolled: 1-line block ×3, first 2 shown]
	v_add_u32_e32 v10, s7, v10
	v_add_u32_e32 v12, s7, v10
	;; [unrolled: 1-line block ×15, first 2 shown]
	v_ashrrev_i32_e32 v11, 31, v10
	v_add_u32_e32 v42, s7, v40
	v_lshlrev_b64 v[10:11], 2, v[10:11]
	v_add_u32_e32 v44, s7, v42
	v_mov_b32_e32 v15, s5
	v_ashrrev_i32_e32 v13, 31, v12
	v_add_co_u32_e32 v10, vcc, s4, v10
	v_add_u32_e32 v46, s7, v44
	v_addc_co_u32_e32 v11, vcc, v15, v11, vcc
	v_lshlrev_b64 v[12:13], 2, v[12:13]
	v_add_u32_e32 v48, s7, v46
	v_mov_b32_e32 v16, s5
	v_ashrrev_i32_e32 v15, 31, v14
	v_add_co_u32_e32 v12, vcc, s4, v12
	v_add_u32_e32 v50, s7, v48
	v_addc_co_u32_e32 v13, vcc, v16, v13, vcc
	v_lshlrev_b64 v[14:15], 2, v[14:15]
	v_add_u32_e32 v52, s7, v50
	v_mov_b32_e32 v17, s5
	v_add_co_u32_e32 v14, vcc, s4, v14
	v_add_u32_e32 v16, s7, v52
	v_addc_co_u32_e32 v15, vcc, v17, v15, vcc
	v_ashrrev_i32_e32 v17, 31, v16
	v_lshlrev_b64 v[16:17], 2, v[16:17]
	v_mov_b32_e32 v21, s5
	v_add_co_u32_e32 v16, vcc, s4, v16
	v_addc_co_u32_e32 v17, vcc, v21, v17, vcc
	v_mov_b32_e32 v29, s5
	global_load_dword v54, v[16:17], off
	v_mov_b32_e32 v31, s5
	v_mov_b32_e32 v33, s5
	s_waitcnt vmcnt(4)
	buffer_store_dword v19, off, s[0:3], 0
	v_ashrrev_i32_e32 v19, 31, v18
	v_lshlrev_b64 v[18:19], 2, v[18:19]
	v_add_co_u32_e32 v18, vcc, s4, v18
	v_addc_co_u32_e32 v19, vcc, v21, v19, vcc
	v_ashrrev_i32_e32 v21, 31, v20
	v_lshlrev_b64 v[20:21], 2, v[20:21]
	v_add_co_u32_e32 v20, vcc, s4, v20
	v_addc_co_u32_e32 v21, vcc, v29, v21, vcc
	global_load_dword v55, v[10:11], off
	global_load_dword v56, v[12:13], off
	;; [unrolled: 1-line block ×5, first 2 shown]
	s_waitcnt vmcnt(9)
	buffer_store_dword v23, off, s[0:3], 0 offset:4
	s_waitcnt vmcnt(9)
	buffer_store_dword v25, off, s[0:3], 0 offset:8
	;; [unrolled: 2-line block ×3, first 2 shown]
	v_ashrrev_i32_e32 v23, 31, v22
	v_lshlrev_b64 v[22:23], 2, v[22:23]
	v_mov_b32_e32 v25, s5
	v_add_co_u32_e32 v22, vcc, s4, v22
	v_addc_co_u32_e32 v23, vcc, v25, v23, vcc
	v_ashrrev_i32_e32 v25, 31, v24
	v_lshlrev_b64 v[24:25], 2, v[24:25]
	v_mov_b32_e32 v27, s5
	v_add_co_u32_e32 v24, vcc, s4, v24
	v_addc_co_u32_e32 v25, vcc, v27, v25, vcc
	v_ashrrev_i32_e32 v27, 31, v26
	v_lshlrev_b64 v[26:27], 2, v[26:27]
	v_add_co_u32_e32 v26, vcc, s4, v26
	v_addc_co_u32_e32 v27, vcc, v29, v27, vcc
	v_ashrrev_i32_e32 v29, 31, v28
	v_lshlrev_b64 v[28:29], 2, v[28:29]
	;; [unrolled: 4-line block ×4, first 2 shown]
	v_mov_b32_e32 v35, s5
	v_add_co_u32_e32 v32, vcc, s4, v32
	v_addc_co_u32_e32 v33, vcc, v35, v33, vcc
	v_ashrrev_i32_e32 v35, 31, v34
	v_lshlrev_b64 v[34:35], 2, v[34:35]
	v_mov_b32_e32 v37, s5
	v_add_co_u32_e32 v34, vcc, s4, v34
	v_addc_co_u32_e32 v35, vcc, v37, v35, vcc
	v_ashrrev_i32_e32 v37, 31, v36
	v_lshlrev_b64 v[36:37], 2, v[36:37]
	;; [unrolled: 5-line block ×10, first 2 shown]
	v_mov_b32_e32 v68, s5
	v_add_co_u32_e32 v52, vcc, s4, v52
	global_load_dword v60, v[22:23], off
	global_load_dword v61, v[24:25], off
	;; [unrolled: 1-line block ×8, first 2 shown]
	v_addc_co_u32_e32 v53, vcc, v68, v53, vcc
	global_load_dword v68, v[38:39], off
	global_load_dword v69, v[40:41], off
	;; [unrolled: 1-line block ×8, first 2 shown]
	s_cmpk_lg_i32 s13, 0x84
	s_waitcnt vmcnt(23)
	buffer_store_dword v55, off, s[0:3], 0 offset:16
	s_waitcnt vmcnt(23)
	buffer_store_dword v56, off, s[0:3], 0 offset:20
	;; [unrolled: 2-line block ×7, first 2 shown]
	buffer_store_dword v61, off, s[0:3], 0 offset:40
	s_waitcnt vmcnt(20)
	buffer_store_dword v63, off, s[0:3], 0 offset:48
	s_waitcnt vmcnt(20)
	;; [unrolled: 2-line block ×9, first 2 shown]
	buffer_store_dword v71, off, s[0:3], 0 offset:84
	v_mov_b32_e32 v66, 0
	s_waitcnt vmcnt(18)
	buffer_store_dword v74, off, s[0:3], 0 offset:80
	s_waitcnt vmcnt(18)
	buffer_store_dword v75, off, s[0:3], 0 offset:92
	buffer_store_dword v73, off, s[0:3], 0 offset:88
	;; [unrolled: 1-line block ×4, first 2 shown]
	s_cselect_b64 s[8:9], -1, 0
	s_cmpk_eq_i32 s13, 0x84
	v_mov_b32_e32 v54, -1.0
	s_cbranch_scc1 .LBB89_3
; %bb.2:
	v_lshl_add_u32 v54, v0, 2, v66
	buffer_load_dword v55, v54, s[0:3], 0 offen
	s_waitcnt vmcnt(0)
	v_div_scale_f32 v56, s[4:5], v55, v55, 1.0
	v_rcp_f32_e32 v57, v56
	v_div_scale_f32 v58, vcc, 1.0, v55, 1.0
	v_fma_f32 v59, -v56, v57, 1.0
	v_fmac_f32_e32 v57, v59, v57
	v_mul_f32_e32 v59, v58, v57
	v_fma_f32 v60, -v56, v59, v58
	v_fmac_f32_e32 v59, v60, v57
	v_fma_f32 v56, -v56, v59, v58
	v_div_fmas_f32 v56, v56, v57, v59
	v_div_fixup_f32 v55, v56, v55, 1.0
	buffer_store_dword v55, v54, s[0:3], 0 offen
	v_xor_b32_e32 v54, 0x80000000, v55
.LBB89_3:
	ds_write_b32 v1, v54
	s_cmpk_eq_i32 s12, 0x79
	v_add_u32_e32 v54, 0x70, v1
	v_add_u32_e32 v55, 0, v1
	s_mov_b64 s[4:5], -1
	s_cbranch_scc1 .LBB89_247
; %bb.4:
	buffer_load_dword v56, off, s[0:3], 0 offset:96
	v_cmp_eq_u32_e64 s[4:5], 25, v0
	s_waitcnt vmcnt(0)
	ds_write_b32 v54, v56
	s_waitcnt lgkmcnt(0)
	; wave barrier
	s_waitcnt lgkmcnt(0)
	s_and_saveexec_b64 s[6:7], s[4:5]
	s_cbranch_execz .LBB89_10
; %bb.5:
	s_and_b64 vcc, exec, s[8:9]
	s_cbranch_vccz .LBB89_7
; %bb.6:
	buffer_load_dword v56, v55, s[0:3], 0 offen
	ds_read_b32 v57, v54
	s_waitcnt vmcnt(0) lgkmcnt(0)
	v_mul_f32_e32 v56, v56, v57
	s_cbranch_execz .LBB89_8
	s_branch .LBB89_9
.LBB89_7:
                                        ; implicit-def: $vgpr56
.LBB89_8:
	ds_read_b32 v56, v54
.LBB89_9:
	v_mov_b32_e32 v57, 0
	ds_read_b32 v57, v57 offset:96
	s_waitcnt lgkmcnt(0)
	v_mul_f32_e32 v56, v56, v57
	buffer_store_dword v56, off, s[0:3], 0 offset:96
.LBB89_10:
	s_or_b64 exec, exec, s[6:7]
	buffer_load_dword v67, off, s[0:3], 0 offset:92
	v_or_b32_e32 v56, 8, v66
	v_add_u32_e32 v57, 16, v66
	v_add_u32_e32 v58, 24, v66
	;; [unrolled: 1-line block ×10, first 2 shown]
	v_cmp_lt_u32_e64 s[6:7], 23, v0
	s_waitcnt vmcnt(0)
	ds_write_b32 v54, v67
	s_waitcnt lgkmcnt(0)
	; wave barrier
	s_waitcnt lgkmcnt(0)
	s_and_saveexec_b64 s[10:11], s[6:7]
	s_cbranch_execz .LBB89_16
; %bb.11:
	s_andn2_b64 vcc, exec, s[8:9]
	s_cbranch_vccnz .LBB89_13
; %bb.12:
	buffer_load_dword v67, v55, s[0:3], 0 offen
	ds_read_b32 v68, v54
	s_waitcnt vmcnt(0) lgkmcnt(0)
	v_mul_f32_e32 v67, v67, v68
	s_cbranch_execz .LBB89_14
	s_branch .LBB89_15
.LBB89_13:
                                        ; implicit-def: $vgpr67
.LBB89_14:
	ds_read_b32 v67, v54
.LBB89_15:
	buffer_load_dword v70, off, s[0:3], 0 offset:96
	v_mov_b32_e32 v68, 0
	ds_read2_b32 v[68:69], v68 offset0:23 offset1:52
	s_waitcnt vmcnt(0) lgkmcnt(0)
	v_fma_f32 v69, v70, v69, v67
	v_cndmask_b32_e64 v67, v67, v69, s[4:5]
	v_mul_f32_e32 v67, v67, v68
	buffer_store_dword v67, off, s[0:3], 0 offset:92
.LBB89_16:
	s_or_b64 exec, exec, s[10:11]
	buffer_load_dword v67, off, s[0:3], 0 offset:88
	v_cmp_lt_u32_e64 s[4:5], 22, v0
	s_waitcnt vmcnt(0)
	ds_write_b32 v54, v67
	s_waitcnt lgkmcnt(0)
	; wave barrier
	s_waitcnt lgkmcnt(0)
	s_and_saveexec_b64 s[10:11], s[4:5]
	s_cbranch_execz .LBB89_26
; %bb.17:
	s_andn2_b64 vcc, exec, s[8:9]
	s_cbranch_vccnz .LBB89_19
; %bb.18:
	buffer_load_dword v67, v55, s[0:3], 0 offen
	ds_read_b32 v68, v54
	s_waitcnt vmcnt(0) lgkmcnt(0)
	v_mul_f32_e32 v67, v67, v68
	s_cbranch_execz .LBB89_20
	s_branch .LBB89_21
.LBB89_19:
                                        ; implicit-def: $vgpr67
.LBB89_20:
	ds_read_b32 v67, v54
.LBB89_21:
	s_and_saveexec_b64 s[12:13], s[6:7]
	s_cbranch_execz .LBB89_25
; %bb.22:
	v_mov_b32_e32 v68, 0
	v_add_u32_e32 v68, 0x5c, v68
	v_subrev_u32_e32 v69, 23, v0
	s_movk_i32 s14, 0xcc
	s_mov_b64 s[6:7], 0
.LBB89_23:                              ; =>This Inner Loop Header: Depth=1
	buffer_load_dword v70, v68, s[0:3], 0 offen
	v_mov_b32_e32 v71, s14
	ds_read_b32 v71, v71
	v_add_u32_e32 v69, -1, v69
	s_add_i32 s14, s14, 4
	v_cmp_eq_u32_e32 vcc, 0, v69
	v_add_u32_e32 v68, 4, v68
	s_or_b64 s[6:7], vcc, s[6:7]
	s_waitcnt vmcnt(0) lgkmcnt(0)
	v_fmac_f32_e32 v67, v70, v71
	s_andn2_b64 exec, exec, s[6:7]
	s_cbranch_execnz .LBB89_23
; %bb.24:
	s_or_b64 exec, exec, s[6:7]
.LBB89_25:
	s_or_b64 exec, exec, s[12:13]
	v_mov_b32_e32 v68, 0
	ds_read_b32 v68, v68 offset:88
	s_waitcnt lgkmcnt(0)
	v_mul_f32_e32 v67, v67, v68
	buffer_store_dword v67, off, s[0:3], 0 offset:88
.LBB89_26:
	s_or_b64 exec, exec, s[10:11]
	buffer_load_dword v67, off, s[0:3], 0 offset:84
	v_cmp_lt_u32_e64 s[6:7], 21, v0
	s_waitcnt vmcnt(0)
	ds_write_b32 v54, v67
	s_waitcnt lgkmcnt(0)
	; wave barrier
	s_waitcnt lgkmcnt(0)
	s_and_saveexec_b64 s[10:11], s[6:7]
	s_cbranch_execz .LBB89_36
; %bb.27:
	s_andn2_b64 vcc, exec, s[8:9]
	s_cbranch_vccnz .LBB89_29
; %bb.28:
	buffer_load_dword v67, v55, s[0:3], 0 offen
	ds_read_b32 v68, v54
	s_waitcnt vmcnt(0) lgkmcnt(0)
	v_mul_f32_e32 v67, v67, v68
	s_cbranch_execz .LBB89_30
	s_branch .LBB89_31
.LBB89_29:
                                        ; implicit-def: $vgpr67
.LBB89_30:
	ds_read_b32 v67, v54
.LBB89_31:
	s_and_saveexec_b64 s[12:13], s[4:5]
	s_cbranch_execz .LBB89_35
; %bb.32:
	v_subrev_u32_e32 v68, 22, v0
	s_movk_i32 s14, 0xc8
	s_mov_b64 s[4:5], 0
.LBB89_33:                              ; =>This Inner Loop Header: Depth=1
	buffer_load_dword v69, v66, s[0:3], 0 offen
	v_mov_b32_e32 v70, s14
	ds_read_b32 v70, v70
	v_add_u32_e32 v68, -1, v68
	s_add_i32 s14, s14, 4
	v_cmp_eq_u32_e32 vcc, 0, v68
	v_add_u32_e32 v66, 4, v66
	s_or_b64 s[4:5], vcc, s[4:5]
	s_waitcnt vmcnt(0) lgkmcnt(0)
	v_fmac_f32_e32 v67, v69, v70
	s_andn2_b64 exec, exec, s[4:5]
	s_cbranch_execnz .LBB89_33
; %bb.34:
	s_or_b64 exec, exec, s[4:5]
.LBB89_35:
	s_or_b64 exec, exec, s[12:13]
	v_mov_b32_e32 v66, 0
	ds_read_b32 v66, v66 offset:84
	s_waitcnt lgkmcnt(0)
	v_mul_f32_e32 v66, v67, v66
	buffer_store_dword v66, off, s[0:3], 0 offset:84
.LBB89_36:
	s_or_b64 exec, exec, s[10:11]
	buffer_load_dword v66, off, s[0:3], 0 offset:80
	v_cmp_lt_u32_e64 s[4:5], 20, v0
	s_waitcnt vmcnt(0)
	ds_write_b32 v54, v66
	s_waitcnt lgkmcnt(0)
	; wave barrier
	s_waitcnt lgkmcnt(0)
	s_and_saveexec_b64 s[10:11], s[4:5]
	s_cbranch_execz .LBB89_46
; %bb.37:
	s_andn2_b64 vcc, exec, s[8:9]
	s_cbranch_vccnz .LBB89_39
; %bb.38:
	buffer_load_dword v66, v55, s[0:3], 0 offen
	ds_read_b32 v67, v54
	s_waitcnt vmcnt(0) lgkmcnt(0)
	v_mul_f32_e32 v66, v66, v67
	s_cbranch_execz .LBB89_40
	s_branch .LBB89_41
.LBB89_39:
                                        ; implicit-def: $vgpr66
.LBB89_40:
	ds_read_b32 v66, v54
.LBB89_41:
	s_and_saveexec_b64 s[12:13], s[6:7]
	s_cbranch_execz .LBB89_45
; %bb.42:
	v_mov_b32_e32 v67, 0
	v_add_u32_e32 v67, 0x54, v67
	v_subrev_u32_e32 v68, 21, v0
	s_movk_i32 s14, 0xc4
	s_mov_b64 s[6:7], 0
.LBB89_43:                              ; =>This Inner Loop Header: Depth=1
	buffer_load_dword v69, v67, s[0:3], 0 offen
	v_mov_b32_e32 v70, s14
	ds_read_b32 v70, v70
	v_add_u32_e32 v68, -1, v68
	s_add_i32 s14, s14, 4
	v_cmp_eq_u32_e32 vcc, 0, v68
	v_add_u32_e32 v67, 4, v67
	s_or_b64 s[6:7], vcc, s[6:7]
	s_waitcnt vmcnt(0) lgkmcnt(0)
	v_fmac_f32_e32 v66, v69, v70
	s_andn2_b64 exec, exec, s[6:7]
	s_cbranch_execnz .LBB89_43
; %bb.44:
	s_or_b64 exec, exec, s[6:7]
.LBB89_45:
	s_or_b64 exec, exec, s[12:13]
	v_mov_b32_e32 v67, 0
	ds_read_b32 v67, v67 offset:80
	s_waitcnt lgkmcnt(0)
	v_mul_f32_e32 v66, v66, v67
	buffer_store_dword v66, off, s[0:3], 0 offset:80
.LBB89_46:
	s_or_b64 exec, exec, s[10:11]
	buffer_load_dword v66, off, s[0:3], 0 offset:76
	v_cmp_lt_u32_e64 s[6:7], 19, v0
	s_waitcnt vmcnt(0)
	ds_write_b32 v54, v66
	s_waitcnt lgkmcnt(0)
	; wave barrier
	s_waitcnt lgkmcnt(0)
	s_and_saveexec_b64 s[10:11], s[6:7]
	s_cbranch_execz .LBB89_56
; %bb.47:
	s_andn2_b64 vcc, exec, s[8:9]
	s_cbranch_vccnz .LBB89_49
; %bb.48:
	buffer_load_dword v66, v55, s[0:3], 0 offen
	ds_read_b32 v67, v54
	s_waitcnt vmcnt(0) lgkmcnt(0)
	v_mul_f32_e32 v66, v66, v67
	s_cbranch_execz .LBB89_50
	s_branch .LBB89_51
.LBB89_49:
                                        ; implicit-def: $vgpr66
.LBB89_50:
	ds_read_b32 v66, v54
.LBB89_51:
	s_and_saveexec_b64 s[12:13], s[4:5]
	s_cbranch_execz .LBB89_55
; %bb.52:
	v_subrev_u32_e32 v67, 20, v0
	s_movk_i32 s14, 0xc0
	s_mov_b64 s[4:5], 0
.LBB89_53:                              ; =>This Inner Loop Header: Depth=1
	buffer_load_dword v68, v65, s[0:3], 0 offen
	v_mov_b32_e32 v69, s14
	ds_read_b32 v69, v69
	v_add_u32_e32 v67, -1, v67
	s_add_i32 s14, s14, 4
	v_cmp_eq_u32_e32 vcc, 0, v67
	v_add_u32_e32 v65, 4, v65
	s_or_b64 s[4:5], vcc, s[4:5]
	s_waitcnt vmcnt(0) lgkmcnt(0)
	v_fmac_f32_e32 v66, v68, v69
	s_andn2_b64 exec, exec, s[4:5]
	s_cbranch_execnz .LBB89_53
; %bb.54:
	s_or_b64 exec, exec, s[4:5]
.LBB89_55:
	s_or_b64 exec, exec, s[12:13]
	v_mov_b32_e32 v65, 0
	ds_read_b32 v65, v65 offset:76
	s_waitcnt lgkmcnt(0)
	v_mul_f32_e32 v65, v66, v65
	buffer_store_dword v65, off, s[0:3], 0 offset:76
.LBB89_56:
	s_or_b64 exec, exec, s[10:11]
	buffer_load_dword v65, off, s[0:3], 0 offset:72
	v_cmp_lt_u32_e64 s[4:5], 18, v0
	s_waitcnt vmcnt(0)
	ds_write_b32 v54, v65
	s_waitcnt lgkmcnt(0)
	; wave barrier
	s_waitcnt lgkmcnt(0)
	s_and_saveexec_b64 s[10:11], s[4:5]
	s_cbranch_execz .LBB89_66
; %bb.57:
	s_andn2_b64 vcc, exec, s[8:9]
	s_cbranch_vccnz .LBB89_59
; %bb.58:
	buffer_load_dword v65, v55, s[0:3], 0 offen
	ds_read_b32 v66, v54
	s_waitcnt vmcnt(0) lgkmcnt(0)
	v_mul_f32_e32 v65, v65, v66
	s_cbranch_execz .LBB89_60
	s_branch .LBB89_61
.LBB89_59:
                                        ; implicit-def: $vgpr65
.LBB89_60:
	ds_read_b32 v65, v54
.LBB89_61:
	s_and_saveexec_b64 s[12:13], s[6:7]
	s_cbranch_execz .LBB89_65
; %bb.62:
	v_mov_b32_e32 v66, 0
	v_add_u32_e32 v66, 0x4c, v66
	v_subrev_u32_e32 v67, 19, v0
	s_movk_i32 s14, 0xbc
	s_mov_b64 s[6:7], 0
.LBB89_63:                              ; =>This Inner Loop Header: Depth=1
	buffer_load_dword v68, v66, s[0:3], 0 offen
	v_mov_b32_e32 v69, s14
	ds_read_b32 v69, v69
	v_add_u32_e32 v67, -1, v67
	s_add_i32 s14, s14, 4
	v_cmp_eq_u32_e32 vcc, 0, v67
	v_add_u32_e32 v66, 4, v66
	s_or_b64 s[6:7], vcc, s[6:7]
	s_waitcnt vmcnt(0) lgkmcnt(0)
	v_fmac_f32_e32 v65, v68, v69
	s_andn2_b64 exec, exec, s[6:7]
	s_cbranch_execnz .LBB89_63
; %bb.64:
	s_or_b64 exec, exec, s[6:7]
.LBB89_65:
	s_or_b64 exec, exec, s[12:13]
	v_mov_b32_e32 v66, 0
	ds_read_b32 v66, v66 offset:72
	s_waitcnt lgkmcnt(0)
	v_mul_f32_e32 v65, v65, v66
	buffer_store_dword v65, off, s[0:3], 0 offset:72
.LBB89_66:
	s_or_b64 exec, exec, s[10:11]
	buffer_load_dword v65, off, s[0:3], 0 offset:68
	v_cmp_lt_u32_e64 s[6:7], 17, v0
	s_waitcnt vmcnt(0)
	ds_write_b32 v54, v65
	s_waitcnt lgkmcnt(0)
	; wave barrier
	s_waitcnt lgkmcnt(0)
	s_and_saveexec_b64 s[10:11], s[6:7]
	s_cbranch_execz .LBB89_76
; %bb.67:
	s_andn2_b64 vcc, exec, s[8:9]
	s_cbranch_vccnz .LBB89_69
; %bb.68:
	buffer_load_dword v65, v55, s[0:3], 0 offen
	ds_read_b32 v66, v54
	s_waitcnt vmcnt(0) lgkmcnt(0)
	v_mul_f32_e32 v65, v65, v66
	s_cbranch_execz .LBB89_70
	s_branch .LBB89_71
.LBB89_69:
                                        ; implicit-def: $vgpr65
.LBB89_70:
	ds_read_b32 v65, v54
.LBB89_71:
	s_and_saveexec_b64 s[12:13], s[4:5]
	s_cbranch_execz .LBB89_75
; %bb.72:
	v_subrev_u32_e32 v66, 18, v0
	s_movk_i32 s14, 0xb8
	s_mov_b64 s[4:5], 0
.LBB89_73:                              ; =>This Inner Loop Header: Depth=1
	buffer_load_dword v67, v64, s[0:3], 0 offen
	v_mov_b32_e32 v68, s14
	ds_read_b32 v68, v68
	v_add_u32_e32 v66, -1, v66
	s_add_i32 s14, s14, 4
	v_cmp_eq_u32_e32 vcc, 0, v66
	v_add_u32_e32 v64, 4, v64
	s_or_b64 s[4:5], vcc, s[4:5]
	s_waitcnt vmcnt(0) lgkmcnt(0)
	v_fmac_f32_e32 v65, v67, v68
	s_andn2_b64 exec, exec, s[4:5]
	s_cbranch_execnz .LBB89_73
; %bb.74:
	s_or_b64 exec, exec, s[4:5]
.LBB89_75:
	s_or_b64 exec, exec, s[12:13]
	v_mov_b32_e32 v64, 0
	ds_read_b32 v64, v64 offset:68
	s_waitcnt lgkmcnt(0)
	v_mul_f32_e32 v64, v65, v64
	buffer_store_dword v64, off, s[0:3], 0 offset:68
.LBB89_76:
	s_or_b64 exec, exec, s[10:11]
	buffer_load_dword v64, off, s[0:3], 0 offset:64
	v_cmp_lt_u32_e64 s[4:5], 16, v0
	s_waitcnt vmcnt(0)
	ds_write_b32 v54, v64
	s_waitcnt lgkmcnt(0)
	; wave barrier
	s_waitcnt lgkmcnt(0)
	s_and_saveexec_b64 s[10:11], s[4:5]
	s_cbranch_execz .LBB89_86
; %bb.77:
	s_andn2_b64 vcc, exec, s[8:9]
	s_cbranch_vccnz .LBB89_79
; %bb.78:
	buffer_load_dword v64, v55, s[0:3], 0 offen
	ds_read_b32 v65, v54
	s_waitcnt vmcnt(0) lgkmcnt(0)
	v_mul_f32_e32 v64, v64, v65
	s_cbranch_execz .LBB89_80
	s_branch .LBB89_81
.LBB89_79:
                                        ; implicit-def: $vgpr64
.LBB89_80:
	ds_read_b32 v64, v54
.LBB89_81:
	s_and_saveexec_b64 s[12:13], s[6:7]
	s_cbranch_execz .LBB89_85
; %bb.82:
	v_mov_b32_e32 v65, 0
	v_add_u32_e32 v65, 0x44, v65
	v_subrev_u32_e32 v66, 17, v0
	s_movk_i32 s14, 0xb4
	s_mov_b64 s[6:7], 0
.LBB89_83:                              ; =>This Inner Loop Header: Depth=1
	buffer_load_dword v67, v65, s[0:3], 0 offen
	v_mov_b32_e32 v68, s14
	ds_read_b32 v68, v68
	v_add_u32_e32 v66, -1, v66
	s_add_i32 s14, s14, 4
	v_cmp_eq_u32_e32 vcc, 0, v66
	v_add_u32_e32 v65, 4, v65
	s_or_b64 s[6:7], vcc, s[6:7]
	s_waitcnt vmcnt(0) lgkmcnt(0)
	v_fmac_f32_e32 v64, v67, v68
	s_andn2_b64 exec, exec, s[6:7]
	s_cbranch_execnz .LBB89_83
; %bb.84:
	s_or_b64 exec, exec, s[6:7]
.LBB89_85:
	s_or_b64 exec, exec, s[12:13]
	v_mov_b32_e32 v65, 0
	ds_read_b32 v65, v65 offset:64
	s_waitcnt lgkmcnt(0)
	v_mul_f32_e32 v64, v64, v65
	buffer_store_dword v64, off, s[0:3], 0 offset:64
.LBB89_86:
	s_or_b64 exec, exec, s[10:11]
	buffer_load_dword v64, off, s[0:3], 0 offset:60
	v_cmp_lt_u32_e64 s[6:7], 15, v0
	s_waitcnt vmcnt(0)
	ds_write_b32 v54, v64
	s_waitcnt lgkmcnt(0)
	; wave barrier
	s_waitcnt lgkmcnt(0)
	s_and_saveexec_b64 s[10:11], s[6:7]
	s_cbranch_execz .LBB89_96
; %bb.87:
	s_andn2_b64 vcc, exec, s[8:9]
	s_cbranch_vccnz .LBB89_89
; %bb.88:
	buffer_load_dword v64, v55, s[0:3], 0 offen
	ds_read_b32 v65, v54
	s_waitcnt vmcnt(0) lgkmcnt(0)
	v_mul_f32_e32 v64, v64, v65
	s_cbranch_execz .LBB89_90
	s_branch .LBB89_91
.LBB89_89:
                                        ; implicit-def: $vgpr64
.LBB89_90:
	ds_read_b32 v64, v54
.LBB89_91:
	s_and_saveexec_b64 s[12:13], s[4:5]
	s_cbranch_execz .LBB89_95
; %bb.92:
	v_add_u32_e32 v65, -16, v0
	s_movk_i32 s14, 0xb0
	s_mov_b64 s[4:5], 0
.LBB89_93:                              ; =>This Inner Loop Header: Depth=1
	buffer_load_dword v66, v63, s[0:3], 0 offen
	v_mov_b32_e32 v67, s14
	ds_read_b32 v67, v67
	v_add_u32_e32 v65, -1, v65
	s_add_i32 s14, s14, 4
	v_cmp_eq_u32_e32 vcc, 0, v65
	v_add_u32_e32 v63, 4, v63
	s_or_b64 s[4:5], vcc, s[4:5]
	s_waitcnt vmcnt(0) lgkmcnt(0)
	v_fmac_f32_e32 v64, v66, v67
	s_andn2_b64 exec, exec, s[4:5]
	s_cbranch_execnz .LBB89_93
; %bb.94:
	s_or_b64 exec, exec, s[4:5]
.LBB89_95:
	s_or_b64 exec, exec, s[12:13]
	v_mov_b32_e32 v63, 0
	ds_read_b32 v63, v63 offset:60
	s_waitcnt lgkmcnt(0)
	v_mul_f32_e32 v63, v64, v63
	buffer_store_dword v63, off, s[0:3], 0 offset:60
.LBB89_96:
	s_or_b64 exec, exec, s[10:11]
	buffer_load_dword v63, off, s[0:3], 0 offset:56
	v_cmp_lt_u32_e64 s[4:5], 14, v0
	s_waitcnt vmcnt(0)
	ds_write_b32 v54, v63
	s_waitcnt lgkmcnt(0)
	; wave barrier
	s_waitcnt lgkmcnt(0)
	s_and_saveexec_b64 s[10:11], s[4:5]
	s_cbranch_execz .LBB89_106
; %bb.97:
	s_andn2_b64 vcc, exec, s[8:9]
	s_cbranch_vccnz .LBB89_99
; %bb.98:
	buffer_load_dword v63, v55, s[0:3], 0 offen
	ds_read_b32 v64, v54
	s_waitcnt vmcnt(0) lgkmcnt(0)
	v_mul_f32_e32 v63, v63, v64
	s_cbranch_execz .LBB89_100
	s_branch .LBB89_101
.LBB89_99:
                                        ; implicit-def: $vgpr63
.LBB89_100:
	ds_read_b32 v63, v54
.LBB89_101:
	s_and_saveexec_b64 s[12:13], s[6:7]
	s_cbranch_execz .LBB89_105
; %bb.102:
	v_mov_b32_e32 v64, 0
	v_add_u32_e32 v64, 60, v64
	v_add_u32_e32 v65, -15, v0
	s_movk_i32 s14, 0xac
	s_mov_b64 s[6:7], 0
.LBB89_103:                             ; =>This Inner Loop Header: Depth=1
	buffer_load_dword v66, v64, s[0:3], 0 offen
	v_mov_b32_e32 v67, s14
	ds_read_b32 v67, v67
	v_add_u32_e32 v65, -1, v65
	s_add_i32 s14, s14, 4
	v_cmp_eq_u32_e32 vcc, 0, v65
	v_add_u32_e32 v64, 4, v64
	s_or_b64 s[6:7], vcc, s[6:7]
	s_waitcnt vmcnt(0) lgkmcnt(0)
	v_fmac_f32_e32 v63, v66, v67
	s_andn2_b64 exec, exec, s[6:7]
	s_cbranch_execnz .LBB89_103
; %bb.104:
	s_or_b64 exec, exec, s[6:7]
.LBB89_105:
	s_or_b64 exec, exec, s[12:13]
	v_mov_b32_e32 v64, 0
	ds_read_b32 v64, v64 offset:56
	s_waitcnt lgkmcnt(0)
	v_mul_f32_e32 v63, v63, v64
	buffer_store_dword v63, off, s[0:3], 0 offset:56
.LBB89_106:
	s_or_b64 exec, exec, s[10:11]
	buffer_load_dword v63, off, s[0:3], 0 offset:52
	v_cmp_lt_u32_e64 s[6:7], 13, v0
	s_waitcnt vmcnt(0)
	ds_write_b32 v54, v63
	s_waitcnt lgkmcnt(0)
	; wave barrier
	s_waitcnt lgkmcnt(0)
	s_and_saveexec_b64 s[10:11], s[6:7]
	s_cbranch_execz .LBB89_116
; %bb.107:
	s_andn2_b64 vcc, exec, s[8:9]
	s_cbranch_vccnz .LBB89_109
; %bb.108:
	buffer_load_dword v63, v55, s[0:3], 0 offen
	ds_read_b32 v64, v54
	s_waitcnt vmcnt(0) lgkmcnt(0)
	v_mul_f32_e32 v63, v63, v64
	s_cbranch_execz .LBB89_110
	s_branch .LBB89_111
.LBB89_109:
                                        ; implicit-def: $vgpr63
.LBB89_110:
	ds_read_b32 v63, v54
.LBB89_111:
	s_and_saveexec_b64 s[12:13], s[4:5]
	s_cbranch_execz .LBB89_115
; %bb.112:
	v_add_u32_e32 v64, -14, v0
	s_movk_i32 s14, 0xa8
	s_mov_b64 s[4:5], 0
.LBB89_113:                             ; =>This Inner Loop Header: Depth=1
	buffer_load_dword v65, v62, s[0:3], 0 offen
	v_mov_b32_e32 v66, s14
	ds_read_b32 v66, v66
	v_add_u32_e32 v64, -1, v64
	s_add_i32 s14, s14, 4
	v_cmp_eq_u32_e32 vcc, 0, v64
	v_add_u32_e32 v62, 4, v62
	s_or_b64 s[4:5], vcc, s[4:5]
	s_waitcnt vmcnt(0) lgkmcnt(0)
	v_fmac_f32_e32 v63, v65, v66
	s_andn2_b64 exec, exec, s[4:5]
	s_cbranch_execnz .LBB89_113
; %bb.114:
	s_or_b64 exec, exec, s[4:5]
.LBB89_115:
	s_or_b64 exec, exec, s[12:13]
	v_mov_b32_e32 v62, 0
	ds_read_b32 v62, v62 offset:52
	s_waitcnt lgkmcnt(0)
	v_mul_f32_e32 v62, v63, v62
	buffer_store_dword v62, off, s[0:3], 0 offset:52
.LBB89_116:
	s_or_b64 exec, exec, s[10:11]
	buffer_load_dword v62, off, s[0:3], 0 offset:48
	v_cmp_lt_u32_e64 s[4:5], 12, v0
	s_waitcnt vmcnt(0)
	ds_write_b32 v54, v62
	s_waitcnt lgkmcnt(0)
	; wave barrier
	s_waitcnt lgkmcnt(0)
	s_and_saveexec_b64 s[10:11], s[4:5]
	s_cbranch_execz .LBB89_126
; %bb.117:
	s_andn2_b64 vcc, exec, s[8:9]
	s_cbranch_vccnz .LBB89_119
; %bb.118:
	buffer_load_dword v62, v55, s[0:3], 0 offen
	ds_read_b32 v63, v54
	s_waitcnt vmcnt(0) lgkmcnt(0)
	v_mul_f32_e32 v62, v62, v63
	s_cbranch_execz .LBB89_120
	s_branch .LBB89_121
.LBB89_119:
                                        ; implicit-def: $vgpr62
.LBB89_120:
	ds_read_b32 v62, v54
.LBB89_121:
	s_and_saveexec_b64 s[12:13], s[6:7]
	s_cbranch_execz .LBB89_125
; %bb.122:
	v_mov_b32_e32 v63, 0
	v_add_u32_e32 v63, 52, v63
	v_add_u32_e32 v64, -13, v0
	s_movk_i32 s14, 0xa4
	s_mov_b64 s[6:7], 0
.LBB89_123:                             ; =>This Inner Loop Header: Depth=1
	buffer_load_dword v65, v63, s[0:3], 0 offen
	v_mov_b32_e32 v66, s14
	ds_read_b32 v66, v66
	v_add_u32_e32 v64, -1, v64
	s_add_i32 s14, s14, 4
	v_cmp_eq_u32_e32 vcc, 0, v64
	v_add_u32_e32 v63, 4, v63
	s_or_b64 s[6:7], vcc, s[6:7]
	s_waitcnt vmcnt(0) lgkmcnt(0)
	v_fmac_f32_e32 v62, v65, v66
	s_andn2_b64 exec, exec, s[6:7]
	s_cbranch_execnz .LBB89_123
; %bb.124:
	s_or_b64 exec, exec, s[6:7]
.LBB89_125:
	s_or_b64 exec, exec, s[12:13]
	v_mov_b32_e32 v63, 0
	ds_read_b32 v63, v63 offset:48
	s_waitcnt lgkmcnt(0)
	v_mul_f32_e32 v62, v62, v63
	buffer_store_dword v62, off, s[0:3], 0 offset:48
.LBB89_126:
	s_or_b64 exec, exec, s[10:11]
	buffer_load_dword v62, off, s[0:3], 0 offset:44
	v_cmp_lt_u32_e64 s[6:7], 11, v0
	s_waitcnt vmcnt(0)
	ds_write_b32 v54, v62
	s_waitcnt lgkmcnt(0)
	; wave barrier
	s_waitcnt lgkmcnt(0)
	s_and_saveexec_b64 s[10:11], s[6:7]
	s_cbranch_execz .LBB89_136
; %bb.127:
	s_andn2_b64 vcc, exec, s[8:9]
	s_cbranch_vccnz .LBB89_129
; %bb.128:
	buffer_load_dword v62, v55, s[0:3], 0 offen
	ds_read_b32 v63, v54
	s_waitcnt vmcnt(0) lgkmcnt(0)
	v_mul_f32_e32 v62, v62, v63
	s_cbranch_execz .LBB89_130
	s_branch .LBB89_131
.LBB89_129:
                                        ; implicit-def: $vgpr62
.LBB89_130:
	ds_read_b32 v62, v54
.LBB89_131:
	s_and_saveexec_b64 s[12:13], s[4:5]
	s_cbranch_execz .LBB89_135
; %bb.132:
	v_add_u32_e32 v63, -12, v0
	s_movk_i32 s14, 0xa0
	s_mov_b64 s[4:5], 0
.LBB89_133:                             ; =>This Inner Loop Header: Depth=1
	buffer_load_dword v64, v61, s[0:3], 0 offen
	v_mov_b32_e32 v65, s14
	ds_read_b32 v65, v65
	v_add_u32_e32 v63, -1, v63
	s_add_i32 s14, s14, 4
	v_cmp_eq_u32_e32 vcc, 0, v63
	v_add_u32_e32 v61, 4, v61
	s_or_b64 s[4:5], vcc, s[4:5]
	s_waitcnt vmcnt(0) lgkmcnt(0)
	v_fmac_f32_e32 v62, v64, v65
	s_andn2_b64 exec, exec, s[4:5]
	s_cbranch_execnz .LBB89_133
; %bb.134:
	s_or_b64 exec, exec, s[4:5]
.LBB89_135:
	s_or_b64 exec, exec, s[12:13]
	v_mov_b32_e32 v61, 0
	ds_read_b32 v61, v61 offset:44
	s_waitcnt lgkmcnt(0)
	v_mul_f32_e32 v61, v62, v61
	buffer_store_dword v61, off, s[0:3], 0 offset:44
.LBB89_136:
	s_or_b64 exec, exec, s[10:11]
	buffer_load_dword v61, off, s[0:3], 0 offset:40
	v_cmp_lt_u32_e64 s[4:5], 10, v0
	s_waitcnt vmcnt(0)
	ds_write_b32 v54, v61
	s_waitcnt lgkmcnt(0)
	; wave barrier
	s_waitcnt lgkmcnt(0)
	s_and_saveexec_b64 s[10:11], s[4:5]
	s_cbranch_execz .LBB89_146
; %bb.137:
	s_andn2_b64 vcc, exec, s[8:9]
	s_cbranch_vccnz .LBB89_139
; %bb.138:
	buffer_load_dword v61, v55, s[0:3], 0 offen
	ds_read_b32 v62, v54
	s_waitcnt vmcnt(0) lgkmcnt(0)
	v_mul_f32_e32 v61, v61, v62
	s_cbranch_execz .LBB89_140
	s_branch .LBB89_141
.LBB89_139:
                                        ; implicit-def: $vgpr61
.LBB89_140:
	ds_read_b32 v61, v54
.LBB89_141:
	s_and_saveexec_b64 s[12:13], s[6:7]
	s_cbranch_execz .LBB89_145
; %bb.142:
	v_mov_b32_e32 v62, 0
	v_add_u32_e32 v62, 44, v62
	v_add_u32_e32 v63, -11, v0
	s_movk_i32 s14, 0x9c
	s_mov_b64 s[6:7], 0
.LBB89_143:                             ; =>This Inner Loop Header: Depth=1
	buffer_load_dword v64, v62, s[0:3], 0 offen
	v_mov_b32_e32 v65, s14
	ds_read_b32 v65, v65
	v_add_u32_e32 v63, -1, v63
	s_add_i32 s14, s14, 4
	v_cmp_eq_u32_e32 vcc, 0, v63
	v_add_u32_e32 v62, 4, v62
	s_or_b64 s[6:7], vcc, s[6:7]
	s_waitcnt vmcnt(0) lgkmcnt(0)
	v_fmac_f32_e32 v61, v64, v65
	s_andn2_b64 exec, exec, s[6:7]
	s_cbranch_execnz .LBB89_143
; %bb.144:
	s_or_b64 exec, exec, s[6:7]
.LBB89_145:
	s_or_b64 exec, exec, s[12:13]
	v_mov_b32_e32 v62, 0
	ds_read_b32 v62, v62 offset:40
	s_waitcnt lgkmcnt(0)
	v_mul_f32_e32 v61, v61, v62
	buffer_store_dword v61, off, s[0:3], 0 offset:40
.LBB89_146:
	s_or_b64 exec, exec, s[10:11]
	buffer_load_dword v61, off, s[0:3], 0 offset:36
	v_cmp_lt_u32_e64 s[6:7], 9, v0
	s_waitcnt vmcnt(0)
	ds_write_b32 v54, v61
	s_waitcnt lgkmcnt(0)
	; wave barrier
	s_waitcnt lgkmcnt(0)
	s_and_saveexec_b64 s[10:11], s[6:7]
	s_cbranch_execz .LBB89_156
; %bb.147:
	s_andn2_b64 vcc, exec, s[8:9]
	s_cbranch_vccnz .LBB89_149
; %bb.148:
	buffer_load_dword v61, v55, s[0:3], 0 offen
	ds_read_b32 v62, v54
	s_waitcnt vmcnt(0) lgkmcnt(0)
	v_mul_f32_e32 v61, v61, v62
	s_cbranch_execz .LBB89_150
	s_branch .LBB89_151
.LBB89_149:
                                        ; implicit-def: $vgpr61
.LBB89_150:
	ds_read_b32 v61, v54
.LBB89_151:
	s_and_saveexec_b64 s[12:13], s[4:5]
	s_cbranch_execz .LBB89_155
; %bb.152:
	v_add_u32_e32 v62, -10, v0
	s_movk_i32 s14, 0x98
	s_mov_b64 s[4:5], 0
.LBB89_153:                             ; =>This Inner Loop Header: Depth=1
	buffer_load_dword v63, v60, s[0:3], 0 offen
	v_mov_b32_e32 v64, s14
	ds_read_b32 v64, v64
	v_add_u32_e32 v62, -1, v62
	s_add_i32 s14, s14, 4
	v_cmp_eq_u32_e32 vcc, 0, v62
	v_add_u32_e32 v60, 4, v60
	s_or_b64 s[4:5], vcc, s[4:5]
	s_waitcnt vmcnt(0) lgkmcnt(0)
	v_fmac_f32_e32 v61, v63, v64
	s_andn2_b64 exec, exec, s[4:5]
	s_cbranch_execnz .LBB89_153
; %bb.154:
	s_or_b64 exec, exec, s[4:5]
.LBB89_155:
	s_or_b64 exec, exec, s[12:13]
	v_mov_b32_e32 v60, 0
	ds_read_b32 v60, v60 offset:36
	s_waitcnt lgkmcnt(0)
	v_mul_f32_e32 v60, v61, v60
	buffer_store_dword v60, off, s[0:3], 0 offset:36
.LBB89_156:
	s_or_b64 exec, exec, s[10:11]
	buffer_load_dword v60, off, s[0:3], 0 offset:32
	v_cmp_lt_u32_e64 s[4:5], 8, v0
	s_waitcnt vmcnt(0)
	ds_write_b32 v54, v60
	s_waitcnt lgkmcnt(0)
	; wave barrier
	s_waitcnt lgkmcnt(0)
	s_and_saveexec_b64 s[10:11], s[4:5]
	s_cbranch_execz .LBB89_166
; %bb.157:
	s_andn2_b64 vcc, exec, s[8:9]
	s_cbranch_vccnz .LBB89_159
; %bb.158:
	buffer_load_dword v60, v55, s[0:3], 0 offen
	ds_read_b32 v61, v54
	s_waitcnt vmcnt(0) lgkmcnt(0)
	v_mul_f32_e32 v60, v60, v61
	s_cbranch_execz .LBB89_160
	s_branch .LBB89_161
.LBB89_159:
                                        ; implicit-def: $vgpr60
.LBB89_160:
	ds_read_b32 v60, v54
.LBB89_161:
	s_and_saveexec_b64 s[12:13], s[6:7]
	s_cbranch_execz .LBB89_165
; %bb.162:
	v_mov_b32_e32 v61, 0
	v_add_u32_e32 v61, 36, v61
	v_add_u32_e32 v62, -9, v0
	s_movk_i32 s14, 0x94
	s_mov_b64 s[6:7], 0
.LBB89_163:                             ; =>This Inner Loop Header: Depth=1
	buffer_load_dword v63, v61, s[0:3], 0 offen
	v_mov_b32_e32 v64, s14
	ds_read_b32 v64, v64
	v_add_u32_e32 v62, -1, v62
	s_add_i32 s14, s14, 4
	v_cmp_eq_u32_e32 vcc, 0, v62
	v_add_u32_e32 v61, 4, v61
	s_or_b64 s[6:7], vcc, s[6:7]
	s_waitcnt vmcnt(0) lgkmcnt(0)
	v_fmac_f32_e32 v60, v63, v64
	s_andn2_b64 exec, exec, s[6:7]
	s_cbranch_execnz .LBB89_163
; %bb.164:
	s_or_b64 exec, exec, s[6:7]
.LBB89_165:
	s_or_b64 exec, exec, s[12:13]
	v_mov_b32_e32 v61, 0
	ds_read_b32 v61, v61 offset:32
	s_waitcnt lgkmcnt(0)
	v_mul_f32_e32 v60, v60, v61
	buffer_store_dword v60, off, s[0:3], 0 offset:32
.LBB89_166:
	s_or_b64 exec, exec, s[10:11]
	buffer_load_dword v60, off, s[0:3], 0 offset:28
	v_cmp_lt_u32_e64 s[6:7], 7, v0
	s_waitcnt vmcnt(0)
	ds_write_b32 v54, v60
	s_waitcnt lgkmcnt(0)
	; wave barrier
	s_waitcnt lgkmcnt(0)
	s_and_saveexec_b64 s[10:11], s[6:7]
	s_cbranch_execz .LBB89_176
; %bb.167:
	s_andn2_b64 vcc, exec, s[8:9]
	s_cbranch_vccnz .LBB89_169
; %bb.168:
	buffer_load_dword v60, v55, s[0:3], 0 offen
	ds_read_b32 v61, v54
	s_waitcnt vmcnt(0) lgkmcnt(0)
	v_mul_f32_e32 v60, v60, v61
	s_cbranch_execz .LBB89_170
	s_branch .LBB89_171
.LBB89_169:
                                        ; implicit-def: $vgpr60
.LBB89_170:
	ds_read_b32 v60, v54
.LBB89_171:
	s_and_saveexec_b64 s[12:13], s[4:5]
	s_cbranch_execz .LBB89_175
; %bb.172:
	v_add_u32_e32 v61, -8, v0
	s_movk_i32 s14, 0x90
	s_mov_b64 s[4:5], 0
.LBB89_173:                             ; =>This Inner Loop Header: Depth=1
	buffer_load_dword v62, v59, s[0:3], 0 offen
	v_mov_b32_e32 v63, s14
	ds_read_b32 v63, v63
	v_add_u32_e32 v61, -1, v61
	s_add_i32 s14, s14, 4
	v_cmp_eq_u32_e32 vcc, 0, v61
	v_add_u32_e32 v59, 4, v59
	s_or_b64 s[4:5], vcc, s[4:5]
	s_waitcnt vmcnt(0) lgkmcnt(0)
	v_fmac_f32_e32 v60, v62, v63
	s_andn2_b64 exec, exec, s[4:5]
	s_cbranch_execnz .LBB89_173
; %bb.174:
	s_or_b64 exec, exec, s[4:5]
.LBB89_175:
	s_or_b64 exec, exec, s[12:13]
	v_mov_b32_e32 v59, 0
	ds_read_b32 v59, v59 offset:28
	s_waitcnt lgkmcnt(0)
	v_mul_f32_e32 v59, v60, v59
	buffer_store_dword v59, off, s[0:3], 0 offset:28
.LBB89_176:
	s_or_b64 exec, exec, s[10:11]
	buffer_load_dword v59, off, s[0:3], 0 offset:24
	v_cmp_lt_u32_e64 s[4:5], 6, v0
	s_waitcnt vmcnt(0)
	ds_write_b32 v54, v59
	s_waitcnt lgkmcnt(0)
	; wave barrier
	s_waitcnt lgkmcnt(0)
	s_and_saveexec_b64 s[10:11], s[4:5]
	s_cbranch_execz .LBB89_186
; %bb.177:
	s_andn2_b64 vcc, exec, s[8:9]
	s_cbranch_vccnz .LBB89_179
; %bb.178:
	buffer_load_dword v59, v55, s[0:3], 0 offen
	ds_read_b32 v60, v54
	s_waitcnt vmcnt(0) lgkmcnt(0)
	v_mul_f32_e32 v59, v59, v60
	s_cbranch_execz .LBB89_180
	s_branch .LBB89_181
.LBB89_179:
                                        ; implicit-def: $vgpr59
.LBB89_180:
	ds_read_b32 v59, v54
.LBB89_181:
	s_and_saveexec_b64 s[12:13], s[6:7]
	s_cbranch_execz .LBB89_185
; %bb.182:
	v_mov_b32_e32 v60, 0
	v_add_u32_e32 v60, 28, v60
	v_add_u32_e32 v61, -7, v0
	s_movk_i32 s14, 0x8c
	s_mov_b64 s[6:7], 0
.LBB89_183:                             ; =>This Inner Loop Header: Depth=1
	buffer_load_dword v62, v60, s[0:3], 0 offen
	v_mov_b32_e32 v63, s14
	ds_read_b32 v63, v63
	v_add_u32_e32 v61, -1, v61
	s_add_i32 s14, s14, 4
	v_cmp_eq_u32_e32 vcc, 0, v61
	v_add_u32_e32 v60, 4, v60
	s_or_b64 s[6:7], vcc, s[6:7]
	s_waitcnt vmcnt(0) lgkmcnt(0)
	v_fmac_f32_e32 v59, v62, v63
	s_andn2_b64 exec, exec, s[6:7]
	s_cbranch_execnz .LBB89_183
; %bb.184:
	s_or_b64 exec, exec, s[6:7]
.LBB89_185:
	s_or_b64 exec, exec, s[12:13]
	v_mov_b32_e32 v60, 0
	ds_read_b32 v60, v60 offset:24
	s_waitcnt lgkmcnt(0)
	v_mul_f32_e32 v59, v59, v60
	buffer_store_dword v59, off, s[0:3], 0 offset:24
.LBB89_186:
	s_or_b64 exec, exec, s[10:11]
	buffer_load_dword v59, off, s[0:3], 0 offset:20
	v_cmp_lt_u32_e64 s[6:7], 5, v0
	s_waitcnt vmcnt(0)
	ds_write_b32 v54, v59
	s_waitcnt lgkmcnt(0)
	; wave barrier
	s_waitcnt lgkmcnt(0)
	s_and_saveexec_b64 s[10:11], s[6:7]
	s_cbranch_execz .LBB89_196
; %bb.187:
	s_andn2_b64 vcc, exec, s[8:9]
	s_cbranch_vccnz .LBB89_189
; %bb.188:
	buffer_load_dword v59, v55, s[0:3], 0 offen
	ds_read_b32 v60, v54
	s_waitcnt vmcnt(0) lgkmcnt(0)
	v_mul_f32_e32 v59, v59, v60
	s_cbranch_execz .LBB89_190
	s_branch .LBB89_191
.LBB89_189:
                                        ; implicit-def: $vgpr59
.LBB89_190:
	ds_read_b32 v59, v54
.LBB89_191:
	s_and_saveexec_b64 s[12:13], s[4:5]
	s_cbranch_execz .LBB89_195
; %bb.192:
	v_add_u32_e32 v60, -6, v0
	s_movk_i32 s14, 0x88
	s_mov_b64 s[4:5], 0
.LBB89_193:                             ; =>This Inner Loop Header: Depth=1
	buffer_load_dword v61, v58, s[0:3], 0 offen
	v_mov_b32_e32 v62, s14
	ds_read_b32 v62, v62
	v_add_u32_e32 v60, -1, v60
	s_add_i32 s14, s14, 4
	v_cmp_eq_u32_e32 vcc, 0, v60
	v_add_u32_e32 v58, 4, v58
	s_or_b64 s[4:5], vcc, s[4:5]
	s_waitcnt vmcnt(0) lgkmcnt(0)
	v_fmac_f32_e32 v59, v61, v62
	s_andn2_b64 exec, exec, s[4:5]
	s_cbranch_execnz .LBB89_193
; %bb.194:
	s_or_b64 exec, exec, s[4:5]
.LBB89_195:
	s_or_b64 exec, exec, s[12:13]
	v_mov_b32_e32 v58, 0
	ds_read_b32 v58, v58 offset:20
	s_waitcnt lgkmcnt(0)
	v_mul_f32_e32 v58, v59, v58
	buffer_store_dword v58, off, s[0:3], 0 offset:20
.LBB89_196:
	s_or_b64 exec, exec, s[10:11]
	buffer_load_dword v58, off, s[0:3], 0 offset:16
	v_cmp_lt_u32_e64 s[4:5], 4, v0
	s_waitcnt vmcnt(0)
	ds_write_b32 v54, v58
	s_waitcnt lgkmcnt(0)
	; wave barrier
	s_waitcnt lgkmcnt(0)
	s_and_saveexec_b64 s[10:11], s[4:5]
	s_cbranch_execz .LBB89_206
; %bb.197:
	s_andn2_b64 vcc, exec, s[8:9]
	s_cbranch_vccnz .LBB89_199
; %bb.198:
	buffer_load_dword v58, v55, s[0:3], 0 offen
	ds_read_b32 v59, v54
	s_waitcnt vmcnt(0) lgkmcnt(0)
	v_mul_f32_e32 v58, v58, v59
	s_cbranch_execz .LBB89_200
	s_branch .LBB89_201
.LBB89_199:
                                        ; implicit-def: $vgpr58
.LBB89_200:
	ds_read_b32 v58, v54
.LBB89_201:
	s_and_saveexec_b64 s[12:13], s[6:7]
	s_cbranch_execz .LBB89_205
; %bb.202:
	v_mov_b32_e32 v59, 0
	v_add_u32_e32 v59, 20, v59
	v_add_u32_e32 v60, -5, v0
	s_movk_i32 s14, 0x84
	s_mov_b64 s[6:7], 0
.LBB89_203:                             ; =>This Inner Loop Header: Depth=1
	buffer_load_dword v61, v59, s[0:3], 0 offen
	v_mov_b32_e32 v62, s14
	ds_read_b32 v62, v62
	v_add_u32_e32 v60, -1, v60
	s_add_i32 s14, s14, 4
	v_cmp_eq_u32_e32 vcc, 0, v60
	v_add_u32_e32 v59, 4, v59
	s_or_b64 s[6:7], vcc, s[6:7]
	s_waitcnt vmcnt(0) lgkmcnt(0)
	v_fmac_f32_e32 v58, v61, v62
	s_andn2_b64 exec, exec, s[6:7]
	s_cbranch_execnz .LBB89_203
; %bb.204:
	s_or_b64 exec, exec, s[6:7]
.LBB89_205:
	s_or_b64 exec, exec, s[12:13]
	v_mov_b32_e32 v59, 0
	ds_read_b32 v59, v59 offset:16
	s_waitcnt lgkmcnt(0)
	v_mul_f32_e32 v58, v58, v59
	buffer_store_dword v58, off, s[0:3], 0 offset:16
.LBB89_206:
	s_or_b64 exec, exec, s[10:11]
	buffer_load_dword v58, off, s[0:3], 0 offset:12
	v_cmp_lt_u32_e64 s[6:7], 3, v0
	s_waitcnt vmcnt(0)
	ds_write_b32 v54, v58
	s_waitcnt lgkmcnt(0)
	; wave barrier
	s_waitcnt lgkmcnt(0)
	s_and_saveexec_b64 s[10:11], s[6:7]
	s_cbranch_execz .LBB89_216
; %bb.207:
	s_andn2_b64 vcc, exec, s[8:9]
	s_cbranch_vccnz .LBB89_209
; %bb.208:
	buffer_load_dword v58, v55, s[0:3], 0 offen
	ds_read_b32 v59, v54
	s_waitcnt vmcnt(0) lgkmcnt(0)
	v_mul_f32_e32 v58, v58, v59
	s_cbranch_execz .LBB89_210
	s_branch .LBB89_211
.LBB89_209:
                                        ; implicit-def: $vgpr58
.LBB89_210:
	ds_read_b32 v58, v54
.LBB89_211:
	s_and_saveexec_b64 s[12:13], s[4:5]
	s_cbranch_execz .LBB89_215
; %bb.212:
	v_add_u32_e32 v59, -4, v0
	s_movk_i32 s14, 0x80
	s_mov_b64 s[4:5], 0
.LBB89_213:                             ; =>This Inner Loop Header: Depth=1
	buffer_load_dword v60, v57, s[0:3], 0 offen
	v_mov_b32_e32 v61, s14
	ds_read_b32 v61, v61
	v_add_u32_e32 v59, -1, v59
	s_add_i32 s14, s14, 4
	v_cmp_eq_u32_e32 vcc, 0, v59
	v_add_u32_e32 v57, 4, v57
	s_or_b64 s[4:5], vcc, s[4:5]
	s_waitcnt vmcnt(0) lgkmcnt(0)
	v_fmac_f32_e32 v58, v60, v61
	s_andn2_b64 exec, exec, s[4:5]
	s_cbranch_execnz .LBB89_213
; %bb.214:
	s_or_b64 exec, exec, s[4:5]
.LBB89_215:
	s_or_b64 exec, exec, s[12:13]
	v_mov_b32_e32 v57, 0
	ds_read_b32 v57, v57 offset:12
	s_waitcnt lgkmcnt(0)
	v_mul_f32_e32 v57, v58, v57
	buffer_store_dword v57, off, s[0:3], 0 offset:12
.LBB89_216:
	s_or_b64 exec, exec, s[10:11]
	buffer_load_dword v57, off, s[0:3], 0 offset:8
	v_cmp_lt_u32_e64 s[4:5], 2, v0
	s_waitcnt vmcnt(0)
	ds_write_b32 v54, v57
	s_waitcnt lgkmcnt(0)
	; wave barrier
	s_waitcnt lgkmcnt(0)
	s_and_saveexec_b64 s[10:11], s[4:5]
	s_cbranch_execz .LBB89_226
; %bb.217:
	s_andn2_b64 vcc, exec, s[8:9]
	s_cbranch_vccnz .LBB89_219
; %bb.218:
	buffer_load_dword v57, v55, s[0:3], 0 offen
	ds_read_b32 v58, v54
	s_waitcnt vmcnt(0) lgkmcnt(0)
	v_mul_f32_e32 v57, v57, v58
	s_cbranch_execz .LBB89_220
	s_branch .LBB89_221
.LBB89_219:
                                        ; implicit-def: $vgpr57
.LBB89_220:
	ds_read_b32 v57, v54
.LBB89_221:
	s_and_saveexec_b64 s[12:13], s[6:7]
	s_cbranch_execz .LBB89_225
; %bb.222:
	v_mov_b32_e32 v58, 0
	v_or_b32_e32 v58, 12, v58
	v_add_u32_e32 v59, -3, v0
	s_movk_i32 s14, 0x7c
	s_mov_b64 s[6:7], 0
.LBB89_223:                             ; =>This Inner Loop Header: Depth=1
	buffer_load_dword v60, v58, s[0:3], 0 offen
	v_mov_b32_e32 v61, s14
	ds_read_b32 v61, v61
	v_add_u32_e32 v59, -1, v59
	s_add_i32 s14, s14, 4
	v_cmp_eq_u32_e32 vcc, 0, v59
	v_add_u32_e32 v58, 4, v58
	s_or_b64 s[6:7], vcc, s[6:7]
	s_waitcnt vmcnt(0) lgkmcnt(0)
	v_fmac_f32_e32 v57, v60, v61
	s_andn2_b64 exec, exec, s[6:7]
	s_cbranch_execnz .LBB89_223
; %bb.224:
	s_or_b64 exec, exec, s[6:7]
.LBB89_225:
	s_or_b64 exec, exec, s[12:13]
	v_mov_b32_e32 v58, 0
	ds_read_b32 v58, v58 offset:8
	s_waitcnt lgkmcnt(0)
	v_mul_f32_e32 v57, v57, v58
	buffer_store_dword v57, off, s[0:3], 0 offset:8
.LBB89_226:
	s_or_b64 exec, exec, s[10:11]
	buffer_load_dword v57, off, s[0:3], 0 offset:4
	v_cmp_lt_u32_e64 s[6:7], 1, v0
	s_waitcnt vmcnt(0)
	ds_write_b32 v54, v57
	s_waitcnt lgkmcnt(0)
	; wave barrier
	s_waitcnt lgkmcnt(0)
	s_and_saveexec_b64 s[10:11], s[6:7]
	s_cbranch_execz .LBB89_236
; %bb.227:
	s_andn2_b64 vcc, exec, s[8:9]
	s_cbranch_vccnz .LBB89_229
; %bb.228:
	buffer_load_dword v57, v55, s[0:3], 0 offen
	ds_read_b32 v58, v54
	s_waitcnt vmcnt(0) lgkmcnt(0)
	v_mul_f32_e32 v57, v57, v58
	s_cbranch_execz .LBB89_230
	s_branch .LBB89_231
.LBB89_229:
                                        ; implicit-def: $vgpr57
.LBB89_230:
	ds_read_b32 v57, v54
.LBB89_231:
	s_and_saveexec_b64 s[12:13], s[4:5]
	s_cbranch_execz .LBB89_235
; %bb.232:
	v_add_u32_e32 v58, -2, v0
	s_movk_i32 s14, 0x78
	s_mov_b64 s[4:5], 0
.LBB89_233:                             ; =>This Inner Loop Header: Depth=1
	buffer_load_dword v59, v56, s[0:3], 0 offen
	v_mov_b32_e32 v60, s14
	ds_read_b32 v60, v60
	v_add_u32_e32 v58, -1, v58
	s_add_i32 s14, s14, 4
	v_cmp_eq_u32_e32 vcc, 0, v58
	v_add_u32_e32 v56, 4, v56
	s_or_b64 s[4:5], vcc, s[4:5]
	s_waitcnt vmcnt(0) lgkmcnt(0)
	v_fmac_f32_e32 v57, v59, v60
	s_andn2_b64 exec, exec, s[4:5]
	s_cbranch_execnz .LBB89_233
; %bb.234:
	s_or_b64 exec, exec, s[4:5]
.LBB89_235:
	s_or_b64 exec, exec, s[12:13]
	v_mov_b32_e32 v56, 0
	ds_read_b32 v56, v56 offset:4
	s_waitcnt lgkmcnt(0)
	v_mul_f32_e32 v56, v57, v56
	buffer_store_dword v56, off, s[0:3], 0 offset:4
.LBB89_236:
	s_or_b64 exec, exec, s[10:11]
	buffer_load_dword v56, off, s[0:3], 0
	v_cmp_ne_u32_e32 vcc, 0, v0
	s_waitcnt vmcnt(0)
	ds_write_b32 v54, v56
	s_waitcnt lgkmcnt(0)
	; wave barrier
	s_waitcnt lgkmcnt(0)
	s_and_saveexec_b64 s[4:5], vcc
	s_cbranch_execz .LBB89_246
; %bb.237:
	s_andn2_b64 vcc, exec, s[8:9]
	s_cbranch_vccnz .LBB89_239
; %bb.238:
	buffer_load_dword v56, v55, s[0:3], 0 offen
	ds_read_b32 v57, v54
	s_waitcnt vmcnt(0) lgkmcnt(0)
	v_mul_f32_e32 v56, v56, v57
	s_cbranch_execz .LBB89_240
	s_branch .LBB89_241
.LBB89_239:
                                        ; implicit-def: $vgpr56
.LBB89_240:
	ds_read_b32 v56, v54
.LBB89_241:
	s_and_saveexec_b64 s[10:11], s[6:7]
	s_cbranch_execz .LBB89_245
; %bb.242:
	v_mov_b32_e32 v57, 0
	v_or_b32_e32 v57, 4, v57
	v_add_u32_e32 v58, -1, v0
	s_movk_i32 s12, 0x74
	s_mov_b64 s[6:7], 0
.LBB89_243:                             ; =>This Inner Loop Header: Depth=1
	buffer_load_dword v59, v57, s[0:3], 0 offen
	v_mov_b32_e32 v60, s12
	ds_read_b32 v60, v60
	v_add_u32_e32 v58, -1, v58
	s_add_i32 s12, s12, 4
	v_cmp_eq_u32_e32 vcc, 0, v58
	v_add_u32_e32 v57, 4, v57
	s_or_b64 s[6:7], vcc, s[6:7]
	s_waitcnt vmcnt(0) lgkmcnt(0)
	v_fmac_f32_e32 v56, v59, v60
	s_andn2_b64 exec, exec, s[6:7]
	s_cbranch_execnz .LBB89_243
; %bb.244:
	s_or_b64 exec, exec, s[6:7]
.LBB89_245:
	s_or_b64 exec, exec, s[10:11]
	v_mov_b32_e32 v57, 0
	ds_read_b32 v57, v57
	s_waitcnt lgkmcnt(0)
	v_mul_f32_e32 v56, v56, v57
	buffer_store_dword v56, off, s[0:3], 0
.LBB89_246:
	s_or_b64 exec, exec, s[4:5]
	s_mov_b64 s[4:5], 0
.LBB89_247:
	s_and_b64 vcc, exec, s[4:5]
	s_cbranch_vccz .LBB89_491
; %bb.248:
	buffer_load_dword v56, off, s[0:3], 0 offset:4
	v_cmp_eq_u32_e64 s[6:7], 0, v0
	s_waitcnt vmcnt(0)
	ds_write_b32 v54, v56
	s_waitcnt lgkmcnt(0)
	; wave barrier
	s_waitcnt lgkmcnt(0)
	s_and_saveexec_b64 s[4:5], s[6:7]
	s_cbranch_execz .LBB89_254
; %bb.249:
	s_and_b64 vcc, exec, s[8:9]
	s_cbranch_vccz .LBB89_251
; %bb.250:
	buffer_load_dword v56, v55, s[0:3], 0 offen
	ds_read_b32 v57, v54
	s_waitcnt vmcnt(0) lgkmcnt(0)
	v_mul_f32_e32 v56, v56, v57
	s_cbranch_execz .LBB89_252
	s_branch .LBB89_253
.LBB89_251:
                                        ; implicit-def: $vgpr56
.LBB89_252:
	ds_read_b32 v56, v54
.LBB89_253:
	v_mov_b32_e32 v57, 0
	ds_read_b32 v57, v57 offset:4
	s_waitcnt lgkmcnt(0)
	v_mul_f32_e32 v56, v56, v57
	buffer_store_dword v56, off, s[0:3], 0 offset:4
.LBB89_254:
	s_or_b64 exec, exec, s[4:5]
	buffer_load_dword v56, off, s[0:3], 0 offset:8
	v_cndmask_b32_e64 v57, 0, 1, s[8:9]
	v_cmp_gt_u32_e32 vcc, 2, v0
	v_cmp_ne_u32_e64 s[4:5], 1, v57
	s_waitcnt vmcnt(0)
	ds_write_b32 v54, v56
	s_waitcnt lgkmcnt(0)
	; wave barrier
	s_waitcnt lgkmcnt(0)
	s_and_saveexec_b64 s[8:9], vcc
	s_cbranch_execz .LBB89_262
; %bb.255:
	s_and_b64 vcc, exec, s[4:5]
	s_cbranch_vccnz .LBB89_257
; %bb.256:
	buffer_load_dword v56, v55, s[0:3], 0 offen
	ds_read_b32 v57, v54
	s_waitcnt vmcnt(0) lgkmcnt(0)
	v_mul_f32_e32 v56, v56, v57
	s_cbranch_execz .LBB89_258
	s_branch .LBB89_259
.LBB89_257:
                                        ; implicit-def: $vgpr56
.LBB89_258:
	ds_read_b32 v56, v54
.LBB89_259:
	s_and_saveexec_b64 s[10:11], s[6:7]
	s_cbranch_execz .LBB89_261
; %bb.260:
	buffer_load_dword v57, v55, s[0:3], 0 offen offset:4
	ds_read_b32 v58, v54 offset:4
	s_waitcnt vmcnt(0) lgkmcnt(0)
	v_fmac_f32_e32 v56, v57, v58
.LBB89_261:
	s_or_b64 exec, exec, s[10:11]
	v_mov_b32_e32 v57, 0
	ds_read_b32 v57, v57 offset:8
	s_waitcnt lgkmcnt(0)
	v_mul_f32_e32 v56, v56, v57
	buffer_store_dword v56, off, s[0:3], 0 offset:8
.LBB89_262:
	s_or_b64 exec, exec, s[8:9]
	buffer_load_dword v56, off, s[0:3], 0 offset:12
	v_cmp_gt_u32_e32 vcc, 3, v0
	s_waitcnt vmcnt(0)
	ds_write_b32 v54, v56
	s_waitcnt lgkmcnt(0)
	; wave barrier
	s_waitcnt lgkmcnt(0)
	s_and_saveexec_b64 s[8:9], vcc
	s_cbranch_execz .LBB89_270
; %bb.263:
	s_and_b64 vcc, exec, s[4:5]
	s_cbranch_vccnz .LBB89_265
; %bb.264:
	buffer_load_dword v56, v55, s[0:3], 0 offen
	ds_read_b32 v57, v54
	s_waitcnt vmcnt(0) lgkmcnt(0)
	v_mul_f32_e32 v56, v56, v57
	s_cbranch_execz .LBB89_266
	s_branch .LBB89_267
.LBB89_265:
                                        ; implicit-def: $vgpr56
.LBB89_266:
	ds_read_b32 v56, v54
.LBB89_267:
	v_cmp_ne_u32_e32 vcc, 2, v0
	s_and_saveexec_b64 s[10:11], vcc
	s_cbranch_execz .LBB89_269
; %bb.268:
	buffer_load_dword v57, v55, s[0:3], 0 offen offset:4
	buffer_load_dword v58, off, s[0:3], 0 offset:8
	v_mov_b32_e32 v59, 0
	ds_read_b32 v60, v54 offset:4
	ds_read_b32 v59, v59 offset:120
	s_waitcnt vmcnt(1) lgkmcnt(1)
	v_fmac_f32_e32 v56, v57, v60
	s_waitcnt vmcnt(0) lgkmcnt(0)
	v_fma_f32 v57, v58, v59, v56
	v_cndmask_b32_e64 v56, v56, v57, s[6:7]
.LBB89_269:
	s_or_b64 exec, exec, s[10:11]
	v_mov_b32_e32 v57, 0
	ds_read_b32 v57, v57 offset:12
	s_waitcnt lgkmcnt(0)
	v_mul_f32_e32 v56, v56, v57
	buffer_store_dword v56, off, s[0:3], 0 offset:12
.LBB89_270:
	s_or_b64 exec, exec, s[8:9]
	buffer_load_dword v56, off, s[0:3], 0 offset:16
	v_cmp_gt_u32_e32 vcc, 4, v0
	s_waitcnt vmcnt(0)
	ds_write_b32 v54, v56
	s_waitcnt lgkmcnt(0)
	; wave barrier
	s_waitcnt lgkmcnt(0)
	s_and_saveexec_b64 s[6:7], vcc
	s_cbranch_execz .LBB89_280
; %bb.271:
	s_and_b64 vcc, exec, s[4:5]
	s_cbranch_vccnz .LBB89_273
; %bb.272:
	buffer_load_dword v56, v55, s[0:3], 0 offen
	ds_read_b32 v57, v54
	s_waitcnt vmcnt(0) lgkmcnt(0)
	v_mul_f32_e32 v56, v56, v57
	s_cbranch_execz .LBB89_274
	s_branch .LBB89_275
.LBB89_273:
                                        ; implicit-def: $vgpr56
.LBB89_274:
	ds_read_b32 v56, v54
.LBB89_275:
	v_cmp_ne_u32_e32 vcc, 3, v0
	s_and_saveexec_b64 s[8:9], vcc
	s_cbranch_execz .LBB89_279
; %bb.276:
	v_mov_b32_e32 v58, 0
	v_add_u32_e32 v57, 0x74, v1
	v_add3_u32 v58, v1, v58, 4
	s_mov_b64 s[10:11], 0
	v_mov_b32_e32 v59, v0
.LBB89_277:                             ; =>This Inner Loop Header: Depth=1
	buffer_load_dword v60, v58, s[0:3], 0 offen
	ds_read_b32 v61, v57
	v_add_u32_e32 v59, 1, v59
	v_cmp_lt_u32_e32 vcc, 2, v59
	v_add_u32_e32 v57, 4, v57
	v_add_u32_e32 v58, 4, v58
	s_or_b64 s[10:11], vcc, s[10:11]
	s_waitcnt vmcnt(0) lgkmcnt(0)
	v_fmac_f32_e32 v56, v60, v61
	s_andn2_b64 exec, exec, s[10:11]
	s_cbranch_execnz .LBB89_277
; %bb.278:
	s_or_b64 exec, exec, s[10:11]
.LBB89_279:
	s_or_b64 exec, exec, s[8:9]
	v_mov_b32_e32 v57, 0
	ds_read_b32 v57, v57 offset:16
	s_waitcnt lgkmcnt(0)
	v_mul_f32_e32 v56, v56, v57
	buffer_store_dword v56, off, s[0:3], 0 offset:16
.LBB89_280:
	s_or_b64 exec, exec, s[6:7]
	buffer_load_dword v56, off, s[0:3], 0 offset:20
	v_cmp_gt_u32_e32 vcc, 5, v0
	s_waitcnt vmcnt(0)
	ds_write_b32 v54, v56
	s_waitcnt lgkmcnt(0)
	; wave barrier
	s_waitcnt lgkmcnt(0)
	s_and_saveexec_b64 s[6:7], vcc
	s_cbranch_execz .LBB89_290
; %bb.281:
	s_and_b64 vcc, exec, s[4:5]
	s_cbranch_vccnz .LBB89_283
; %bb.282:
	buffer_load_dword v56, v55, s[0:3], 0 offen
	ds_read_b32 v57, v54
	s_waitcnt vmcnt(0) lgkmcnt(0)
	v_mul_f32_e32 v56, v56, v57
	s_cbranch_execz .LBB89_284
	s_branch .LBB89_285
.LBB89_283:
                                        ; implicit-def: $vgpr56
.LBB89_284:
	ds_read_b32 v56, v54
.LBB89_285:
	v_cmp_ne_u32_e32 vcc, 4, v0
	s_and_saveexec_b64 s[8:9], vcc
	s_cbranch_execz .LBB89_289
; %bb.286:
	v_mov_b32_e32 v58, 0
	v_add_u32_e32 v57, 0x74, v1
	v_add3_u32 v58, v1, v58, 4
	s_mov_b64 s[10:11], 0
	v_mov_b32_e32 v59, v0
.LBB89_287:                             ; =>This Inner Loop Header: Depth=1
	buffer_load_dword v60, v58, s[0:3], 0 offen
	ds_read_b32 v61, v57
	v_add_u32_e32 v59, 1, v59
	v_cmp_lt_u32_e32 vcc, 3, v59
	v_add_u32_e32 v57, 4, v57
	v_add_u32_e32 v58, 4, v58
	s_or_b64 s[10:11], vcc, s[10:11]
	s_waitcnt vmcnt(0) lgkmcnt(0)
	v_fmac_f32_e32 v56, v60, v61
	s_andn2_b64 exec, exec, s[10:11]
	s_cbranch_execnz .LBB89_287
; %bb.288:
	s_or_b64 exec, exec, s[10:11]
.LBB89_289:
	s_or_b64 exec, exec, s[8:9]
	v_mov_b32_e32 v57, 0
	ds_read_b32 v57, v57 offset:20
	s_waitcnt lgkmcnt(0)
	v_mul_f32_e32 v56, v56, v57
	buffer_store_dword v56, off, s[0:3], 0 offset:20
.LBB89_290:
	;; [unrolled: 56-line block ×20, first 2 shown]
	s_or_b64 exec, exec, s[6:7]
	buffer_load_dword v56, off, s[0:3], 0 offset:96
	v_cmp_gt_u32_e64 s[6:7], 24, v0
	s_waitcnt vmcnt(0)
	ds_write_b32 v54, v56
	s_waitcnt lgkmcnt(0)
	; wave barrier
	s_waitcnt lgkmcnt(0)
	s_and_saveexec_b64 s[8:9], s[6:7]
	s_cbranch_execz .LBB89_480
; %bb.471:
	s_and_b64 vcc, exec, s[4:5]
	s_cbranch_vccnz .LBB89_473
; %bb.472:
	buffer_load_dword v56, v55, s[0:3], 0 offen
	ds_read_b32 v57, v54
	s_waitcnt vmcnt(0) lgkmcnt(0)
	v_mul_f32_e32 v56, v56, v57
	s_cbranch_execz .LBB89_474
	s_branch .LBB89_475
.LBB89_473:
                                        ; implicit-def: $vgpr56
.LBB89_474:
	ds_read_b32 v56, v54
.LBB89_475:
	v_cmp_ne_u32_e32 vcc, 23, v0
	s_and_saveexec_b64 s[10:11], vcc
	s_cbranch_execz .LBB89_479
; %bb.476:
	v_mov_b32_e32 v58, 0
	v_add_u32_e32 v57, 0x74, v1
	v_add3_u32 v58, v1, v58, 4
	s_mov_b64 s[12:13], 0
	v_mov_b32_e32 v59, v0
.LBB89_477:                             ; =>This Inner Loop Header: Depth=1
	buffer_load_dword v60, v58, s[0:3], 0 offen
	ds_read_b32 v61, v57
	v_add_u32_e32 v59, 1, v59
	v_cmp_lt_u32_e32 vcc, 22, v59
	v_add_u32_e32 v57, 4, v57
	v_add_u32_e32 v58, 4, v58
	s_or_b64 s[12:13], vcc, s[12:13]
	s_waitcnt vmcnt(0) lgkmcnt(0)
	v_fmac_f32_e32 v56, v60, v61
	s_andn2_b64 exec, exec, s[12:13]
	s_cbranch_execnz .LBB89_477
; %bb.478:
	s_or_b64 exec, exec, s[12:13]
.LBB89_479:
	s_or_b64 exec, exec, s[10:11]
	v_mov_b32_e32 v57, 0
	ds_read_b32 v57, v57 offset:96
	s_waitcnt lgkmcnt(0)
	v_mul_f32_e32 v56, v56, v57
	buffer_store_dword v56, off, s[0:3], 0 offset:96
.LBB89_480:
	s_or_b64 exec, exec, s[8:9]
	buffer_load_dword v56, off, s[0:3], 0 offset:100
	v_cmp_ne_u32_e32 vcc, 25, v0
	s_waitcnt vmcnt(0)
	ds_write_b32 v54, v56
	s_waitcnt lgkmcnt(0)
	; wave barrier
	s_waitcnt lgkmcnt(0)
	s_and_saveexec_b64 s[8:9], vcc
	s_cbranch_execz .LBB89_490
; %bb.481:
	s_and_b64 vcc, exec, s[4:5]
	s_cbranch_vccnz .LBB89_483
; %bb.482:
	buffer_load_dword v55, v55, s[0:3], 0 offen
	ds_read_b32 v56, v54
	s_waitcnt vmcnt(0) lgkmcnt(0)
	v_mul_f32_e32 v55, v55, v56
	s_cbranch_execz .LBB89_484
	s_branch .LBB89_485
.LBB89_483:
                                        ; implicit-def: $vgpr55
.LBB89_484:
	ds_read_b32 v55, v54
.LBB89_485:
	s_and_saveexec_b64 s[4:5], s[6:7]
	s_cbranch_execz .LBB89_489
; %bb.486:
	v_mov_b32_e32 v56, 0
	v_add_u32_e32 v54, 0x74, v1
	v_add3_u32 v1, v1, v56, 4
	s_mov_b64 s[6:7], 0
.LBB89_487:                             ; =>This Inner Loop Header: Depth=1
	buffer_load_dword v56, v1, s[0:3], 0 offen
	ds_read_b32 v57, v54
	v_add_u32_e32 v0, 1, v0
	v_cmp_lt_u32_e32 vcc, 23, v0
	v_add_u32_e32 v54, 4, v54
	v_add_u32_e32 v1, 4, v1
	s_or_b64 s[6:7], vcc, s[6:7]
	s_waitcnt vmcnt(0) lgkmcnt(0)
	v_fmac_f32_e32 v55, v56, v57
	s_andn2_b64 exec, exec, s[6:7]
	s_cbranch_execnz .LBB89_487
; %bb.488:
	s_or_b64 exec, exec, s[6:7]
.LBB89_489:
	s_or_b64 exec, exec, s[4:5]
	v_mov_b32_e32 v0, 0
	ds_read_b32 v0, v0 offset:100
	s_waitcnt lgkmcnt(0)
	v_mul_f32_e32 v0, v55, v0
	buffer_store_dword v0, off, s[0:3], 0 offset:100
.LBB89_490:
	s_or_b64 exec, exec, s[8:9]
.LBB89_491:
	buffer_load_dword v0, off, s[0:3], 0
	buffer_load_dword v1, off, s[0:3], 0 offset:4
	buffer_load_dword v54, off, s[0:3], 0 offset:8
	;; [unrolled: 1-line block ×23, first 2 shown]
	s_waitcnt vmcnt(23)
	global_store_dword v[2:3], v0, off
	buffer_load_dword v0, off, s[0:3], 0 offset:96
	s_nop 0
	buffer_load_dword v2, off, s[0:3], 0 offset:100
	s_waitcnt vmcnt(25)
	global_store_dword v[4:5], v1, off
	s_waitcnt vmcnt(25)
	global_store_dword v[6:7], v54, off
	;; [unrolled: 2-line block ×25, first 2 shown]
.LBB89_492:
	s_endpgm
	.section	.rodata,"a",@progbits
	.p2align	6, 0x0
	.amdhsa_kernel _ZN9rocsolver6v33100L18trti2_kernel_smallILi26EfPKPfEEv13rocblas_fill_17rocblas_diagonal_T1_iil
		.amdhsa_group_segment_fixed_size 216
		.amdhsa_private_segment_fixed_size 112
		.amdhsa_kernarg_size 32
		.amdhsa_user_sgpr_count 8
		.amdhsa_user_sgpr_private_segment_buffer 1
		.amdhsa_user_sgpr_dispatch_ptr 0
		.amdhsa_user_sgpr_queue_ptr 0
		.amdhsa_user_sgpr_kernarg_segment_ptr 1
		.amdhsa_user_sgpr_dispatch_id 0
		.amdhsa_user_sgpr_flat_scratch_init 1
		.amdhsa_user_sgpr_kernarg_preload_length 0
		.amdhsa_user_sgpr_kernarg_preload_offset 0
		.amdhsa_user_sgpr_private_segment_size 0
		.amdhsa_uses_dynamic_stack 0
		.amdhsa_system_sgpr_private_segment_wavefront_offset 1
		.amdhsa_system_sgpr_workgroup_id_x 1
		.amdhsa_system_sgpr_workgroup_id_y 0
		.amdhsa_system_sgpr_workgroup_id_z 0
		.amdhsa_system_sgpr_workgroup_info 0
		.amdhsa_system_vgpr_workitem_id 0
		.amdhsa_next_free_vgpr 76
		.amdhsa_next_free_sgpr 16
		.amdhsa_accum_offset 76
		.amdhsa_reserve_vcc 1
		.amdhsa_reserve_flat_scratch 0
		.amdhsa_float_round_mode_32 0
		.amdhsa_float_round_mode_16_64 0
		.amdhsa_float_denorm_mode_32 3
		.amdhsa_float_denorm_mode_16_64 3
		.amdhsa_dx10_clamp 1
		.amdhsa_ieee_mode 1
		.amdhsa_fp16_overflow 0
		.amdhsa_tg_split 0
		.amdhsa_exception_fp_ieee_invalid_op 0
		.amdhsa_exception_fp_denorm_src 0
		.amdhsa_exception_fp_ieee_div_zero 0
		.amdhsa_exception_fp_ieee_overflow 0
		.amdhsa_exception_fp_ieee_underflow 0
		.amdhsa_exception_fp_ieee_inexact 0
		.amdhsa_exception_int_div_zero 0
	.end_amdhsa_kernel
	.section	.text._ZN9rocsolver6v33100L18trti2_kernel_smallILi26EfPKPfEEv13rocblas_fill_17rocblas_diagonal_T1_iil,"axG",@progbits,_ZN9rocsolver6v33100L18trti2_kernel_smallILi26EfPKPfEEv13rocblas_fill_17rocblas_diagonal_T1_iil,comdat
.Lfunc_end89:
	.size	_ZN9rocsolver6v33100L18trti2_kernel_smallILi26EfPKPfEEv13rocblas_fill_17rocblas_diagonal_T1_iil, .Lfunc_end89-_ZN9rocsolver6v33100L18trti2_kernel_smallILi26EfPKPfEEv13rocblas_fill_17rocblas_diagonal_T1_iil
                                        ; -- End function
	.section	.AMDGPU.csdata,"",@progbits
; Kernel info:
; codeLenInByte = 12556
; NumSgprs: 20
; NumVgprs: 76
; NumAgprs: 0
; TotalNumVgprs: 76
; ScratchSize: 112
; MemoryBound: 0
; FloatMode: 240
; IeeeMode: 1
; LDSByteSize: 216 bytes/workgroup (compile time only)
; SGPRBlocks: 2
; VGPRBlocks: 9
; NumSGPRsForWavesPerEU: 20
; NumVGPRsForWavesPerEU: 76
; AccumOffset: 76
; Occupancy: 6
; WaveLimiterHint : 1
; COMPUTE_PGM_RSRC2:SCRATCH_EN: 1
; COMPUTE_PGM_RSRC2:USER_SGPR: 8
; COMPUTE_PGM_RSRC2:TRAP_HANDLER: 0
; COMPUTE_PGM_RSRC2:TGID_X_EN: 1
; COMPUTE_PGM_RSRC2:TGID_Y_EN: 0
; COMPUTE_PGM_RSRC2:TGID_Z_EN: 0
; COMPUTE_PGM_RSRC2:TIDIG_COMP_CNT: 0
; COMPUTE_PGM_RSRC3_GFX90A:ACCUM_OFFSET: 18
; COMPUTE_PGM_RSRC3_GFX90A:TG_SPLIT: 0
	.section	.text._ZN9rocsolver6v33100L18trti2_kernel_smallILi27EfPKPfEEv13rocblas_fill_17rocblas_diagonal_T1_iil,"axG",@progbits,_ZN9rocsolver6v33100L18trti2_kernel_smallILi27EfPKPfEEv13rocblas_fill_17rocblas_diagonal_T1_iil,comdat
	.globl	_ZN9rocsolver6v33100L18trti2_kernel_smallILi27EfPKPfEEv13rocblas_fill_17rocblas_diagonal_T1_iil ; -- Begin function _ZN9rocsolver6v33100L18trti2_kernel_smallILi27EfPKPfEEv13rocblas_fill_17rocblas_diagonal_T1_iil
	.p2align	8
	.type	_ZN9rocsolver6v33100L18trti2_kernel_smallILi27EfPKPfEEv13rocblas_fill_17rocblas_diagonal_T1_iil,@function
_ZN9rocsolver6v33100L18trti2_kernel_smallILi27EfPKPfEEv13rocblas_fill_17rocblas_diagonal_T1_iil: ; @_ZN9rocsolver6v33100L18trti2_kernel_smallILi27EfPKPfEEv13rocblas_fill_17rocblas_diagonal_T1_iil
; %bb.0:
	s_add_u32 s0, s0, s9
	s_addc_u32 s1, s1, 0
	v_cmp_gt_u32_e32 vcc, 27, v0
	s_and_saveexec_b64 s[6:7], vcc
	s_cbranch_execz .LBB90_512
; %bb.1:
	s_load_dwordx2 s[6:7], s[4:5], 0x10
	s_load_dwordx4 s[12:15], s[4:5], 0x0
	s_ashr_i32 s9, s8, 31
	s_lshl_b64 s[4:5], s[8:9], 3
	v_lshlrev_b32_e32 v1, 2, v0
	s_waitcnt lgkmcnt(0)
	s_ashr_i32 s9, s6, 31
	s_add_u32 s4, s14, s4
	s_addc_u32 s5, s15, s5
	s_load_dwordx2 s[4:5], s[4:5], 0x0
	s_mov_b32 s8, s6
	s_lshl_b64 s[8:9], s[8:9], 2
	s_waitcnt lgkmcnt(0)
	s_add_u32 s4, s4, s8
	s_addc_u32 s5, s5, s9
	global_load_dword v19, v1, s[4:5]
	s_add_i32 s6, s7, s7
	v_add_u32_e32 v4, s6, v0
	v_add_u32_e32 v6, s7, v4
	;; [unrolled: 1-line block ×13, first 2 shown]
	s_mov_b32 s8, s7
	s_ashr_i32 s9, s7, 31
	v_mov_b32_e32 v3, s5
	v_add_co_u32_e32 v2, vcc, s4, v1
	v_add_u32_e32 v34, s7, v32
	s_lshl_b64 s[8:9], s[8:9], 2
	v_addc_co_u32_e32 v3, vcc, 0, v3, vcc
	v_add_u32_e32 v36, s7, v34
	v_mov_b32_e32 v9, s9
	v_ashrrev_i32_e32 v5, 31, v4
	v_add_co_u32_e32 v8, vcc, s8, v2
	v_add_u32_e32 v38, s7, v36
	v_lshlrev_b64 v[4:5], 2, v[4:5]
	v_addc_co_u32_e32 v9, vcc, v3, v9, vcc
	v_add_u32_e32 v40, s7, v38
	v_mov_b32_e32 v11, s5
	v_ashrrev_i32_e32 v7, 31, v6
	v_add_co_u32_e32 v4, vcc, s4, v4
	v_add_u32_e32 v42, s7, v40
	v_addc_co_u32_e32 v5, vcc, v11, v5, vcc
	v_lshlrev_b64 v[6:7], 2, v[6:7]
	v_add_u32_e32 v44, s7, v42
	v_mov_b32_e32 v13, s5
	v_ashrrev_i32_e32 v11, 31, v10
	v_add_co_u32_e32 v6, vcc, s4, v6
	v_add_u32_e32 v46, s7, v44
	v_addc_co_u32_e32 v7, vcc, v13, v7, vcc
	v_lshlrev_b64 v[10:11], 2, v[10:11]
	;; [unrolled: 7-line block ×4, first 2 shown]
	v_add_u32_e32 v14, s7, v54
	v_ashrrev_i32_e32 v15, 31, v14
	v_lshlrev_b64 v[14:15], 2, v[14:15]
	v_mov_b32_e32 v23, s5
	v_add_co_u32_e32 v14, vcc, s4, v14
	v_addc_co_u32_e32 v15, vcc, v23, v15, vcc
	global_load_dword v56, v[14:15], off
	v_mov_b32_e32 v21, s5
	v_add_co_u32_e32 v16, vcc, s4, v16
	s_waitcnt vmcnt(1)
	buffer_store_dword v19, off, s[0:3], 0
	global_load_dword v41, v[8:9], off
	global_load_dword v43, v[4:5], off
	;; [unrolled: 1-line block ×5, first 2 shown]
	v_ashrrev_i32_e32 v19, 31, v18
	v_addc_co_u32_e32 v17, vcc, v21, v17, vcc
	v_lshlrev_b64 v[18:19], 2, v[18:19]
	v_add_co_u32_e32 v18, vcc, s4, v18
	v_addc_co_u32_e32 v19, vcc, v21, v19, vcc
	v_ashrrev_i32_e32 v21, 31, v20
	v_lshlrev_b64 v[20:21], 2, v[20:21]
	v_add_co_u32_e32 v20, vcc, s4, v20
	v_addc_co_u32_e32 v21, vcc, v23, v21, vcc
	global_load_dword v57, v[16:17], off
	global_load_dword v58, v[18:19], off
	;; [unrolled: 1-line block ×3, first 2 shown]
	v_ashrrev_i32_e32 v23, 31, v22
	v_lshlrev_b64 v[22:23], 2, v[22:23]
	v_mov_b32_e32 v25, s5
	v_add_co_u32_e32 v22, vcc, s4, v22
	v_addc_co_u32_e32 v23, vcc, v25, v23, vcc
	v_ashrrev_i32_e32 v25, 31, v24
	v_lshlrev_b64 v[24:25], 2, v[24:25]
	v_mov_b32_e32 v27, s5
	v_add_co_u32_e32 v24, vcc, s4, v24
	v_addc_co_u32_e32 v25, vcc, v27, v25, vcc
	;; [unrolled: 5-line block ×9, first 2 shown]
	s_waitcnt vmcnt(7)
	buffer_store_dword v41, off, s[0:3], 0 offset:4
	s_waitcnt vmcnt(7)
	buffer_store_dword v43, off, s[0:3], 0 offset:8
	;; [unrolled: 2-line block ×5, first 2 shown]
	v_ashrrev_i32_e32 v41, 31, v40
	v_lshlrev_b64 v[40:41], 2, v[40:41]
	v_mov_b32_e32 v43, s5
	v_add_co_u32_e32 v40, vcc, s4, v40
	v_addc_co_u32_e32 v41, vcc, v43, v41, vcc
	v_ashrrev_i32_e32 v43, 31, v42
	v_lshlrev_b64 v[42:43], 2, v[42:43]
	v_mov_b32_e32 v45, s5
	v_add_co_u32_e32 v42, vcc, s4, v42
	v_addc_co_u32_e32 v43, vcc, v45, v43, vcc
	;; [unrolled: 5-line block ×4, first 2 shown]
	v_ashrrev_i32_e32 v49, 31, v48
	v_lshlrev_b64 v[48:49], 2, v[48:49]
	v_add_co_u32_e32 v48, vcc, s4, v48
	v_addc_co_u32_e32 v49, vcc, v51, v49, vcc
	v_ashrrev_i32_e32 v51, 31, v50
	v_lshlrev_b64 v[50:51], 2, v[50:51]
	v_mov_b32_e32 v53, s5
	v_add_co_u32_e32 v50, vcc, s4, v50
	v_addc_co_u32_e32 v51, vcc, v53, v51, vcc
	v_ashrrev_i32_e32 v53, 31, v52
	v_lshlrev_b64 v[52:53], 2, v[52:53]
	v_mov_b32_e32 v55, s5
	;; [unrolled: 5-line block ×3, first 2 shown]
	v_add_co_u32_e32 v54, vcc, s4, v54
	v_addc_co_u32_e32 v55, vcc, v68, v55, vcc
	global_load_dword v60, v[22:23], off
	global_load_dword v61, v[28:29], off
	;; [unrolled: 1-line block ×16, first 2 shown]
	s_cmpk_lg_i32 s13, 0x84
	s_waitcnt vmcnt(23)
	buffer_store_dword v57, off, s[0:3], 0 offset:24
	global_load_dword v57, v[54:55], off
	s_cselect_b64 s[10:11], -1, 0
	s_cmpk_eq_i32 s13, 0x84
	s_waitcnt vmcnt(24)
	buffer_store_dword v58, off, s[0:3], 0 offset:28
	s_waitcnt vmcnt(24)
	buffer_store_dword v59, off, s[0:3], 0 offset:32
	;; [unrolled: 2-line block ×5, first 2 shown]
	buffer_store_dword v61, off, s[0:3], 0 offset:48
	buffer_store_dword v62, off, s[0:3], 0 offset:52
	buffer_store_dword v63, off, s[0:3], 0 offset:56
	buffer_store_dword v64, off, s[0:3], 0 offset:60
	buffer_store_dword v65, off, s[0:3], 0 offset:64
	s_waitcnt vmcnt(19)
	buffer_store_dword v68, off, s[0:3], 0 offset:68
	s_waitcnt vmcnt(19)
	buffer_store_dword v69, off, s[0:3], 0 offset:72
	;; [unrolled: 2-line block ×6, first 2 shown]
	buffer_store_dword v72, off, s[0:3], 0 offset:88
	v_mov_b32_e32 v69, 0
	s_waitcnt vmcnt(17)
	buffer_store_dword v57, off, s[0:3], 0 offset:100
	buffer_store_dword v71, off, s[0:3], 0 offset:96
	;; [unrolled: 1-line block ×3, first 2 shown]
	v_mov_b32_e32 v56, -1.0
	s_cbranch_scc1 .LBB90_3
; %bb.2:
	v_lshl_add_u32 v56, v0, 2, v69
	buffer_load_dword v57, v56, s[0:3], 0 offen
	s_waitcnt vmcnt(0)
	v_div_scale_f32 v58, s[4:5], v57, v57, 1.0
	v_rcp_f32_e32 v59, v58
	v_div_scale_f32 v60, vcc, 1.0, v57, 1.0
	v_fma_f32 v61, -v58, v59, 1.0
	v_fmac_f32_e32 v59, v61, v59
	v_mul_f32_e32 v61, v60, v59
	v_fma_f32 v62, -v58, v61, v60
	v_fmac_f32_e32 v61, v62, v59
	v_fma_f32 v58, -v58, v61, v60
	v_div_fmas_f32 v58, v58, v59, v61
	v_div_fixup_f32 v57, v58, v57, 1.0
	buffer_store_dword v57, v56, s[0:3], 0 offen
	v_xor_b32_e32 v56, 0x80000000, v57
.LBB90_3:
	ds_write_b32 v1, v56
	s_cmpk_eq_i32 s12, 0x79
	v_add_u32_e32 v56, 0x70, v1
	v_add_u32_e32 v57, 0, v1
	s_mov_b64 s[4:5], -1
	s_cbranch_scc1 .LBB90_257
; %bb.4:
	buffer_load_dword v58, off, s[0:3], 0 offset:100
	v_cmp_eq_u32_e64 s[4:5], 26, v0
	s_waitcnt vmcnt(0)
	ds_write_b32 v56, v58
	s_waitcnt lgkmcnt(0)
	; wave barrier
	s_waitcnt lgkmcnt(0)
	s_and_saveexec_b64 s[6:7], s[4:5]
	s_cbranch_execz .LBB90_10
; %bb.5:
	s_and_b64 vcc, exec, s[10:11]
	s_cbranch_vccz .LBB90_7
; %bb.6:
	buffer_load_dword v58, v57, s[0:3], 0 offen
	ds_read_b32 v59, v56
	s_waitcnt vmcnt(0) lgkmcnt(0)
	v_mul_f32_e32 v58, v58, v59
	s_cbranch_execz .LBB90_8
	s_branch .LBB90_9
.LBB90_7:
                                        ; implicit-def: $vgpr58
.LBB90_8:
	ds_read_b32 v58, v56
.LBB90_9:
	v_mov_b32_e32 v59, 0
	ds_read_b32 v59, v59 offset:100
	s_waitcnt lgkmcnt(0)
	v_mul_f32_e32 v58, v58, v59
	buffer_store_dword v58, off, s[0:3], 0 offset:100
.LBB90_10:
	s_or_b64 exec, exec, s[6:7]
	buffer_load_dword v70, off, s[0:3], 0 offset:96
	v_or_b32_e32 v58, 8, v69
	v_add_u32_e32 v59, 16, v69
	v_add_u32_e32 v60, 24, v69
	;; [unrolled: 1-line block ×11, first 2 shown]
	v_cmp_lt_u32_e64 s[8:9], 24, v0
	s_waitcnt vmcnt(0)
	ds_write_b32 v56, v70
	s_waitcnt lgkmcnt(0)
	; wave barrier
	s_waitcnt lgkmcnt(0)
	s_and_saveexec_b64 s[6:7], s[8:9]
	s_cbranch_execz .LBB90_16
; %bb.11:
	s_andn2_b64 vcc, exec, s[10:11]
	s_cbranch_vccnz .LBB90_13
; %bb.12:
	buffer_load_dword v70, v57, s[0:3], 0 offen
	ds_read_b32 v71, v56
	s_waitcnt vmcnt(0) lgkmcnt(0)
	v_mul_f32_e32 v70, v70, v71
	s_cbranch_execz .LBB90_14
	s_branch .LBB90_15
.LBB90_13:
                                        ; implicit-def: $vgpr70
.LBB90_14:
	ds_read_b32 v70, v56
.LBB90_15:
	buffer_load_dword v71, off, s[0:3], 0 offset:100
	v_mov_b32_e32 v72, 0
	ds_read2_b32 v[72:73], v72 offset0:24 offset1:53
	s_waitcnt vmcnt(0) lgkmcnt(0)
	v_fma_f32 v71, v71, v73, v70
	v_cndmask_b32_e64 v70, v70, v71, s[4:5]
	v_mul_f32_e32 v70, v70, v72
	buffer_store_dword v70, off, s[0:3], 0 offset:96
.LBB90_16:
	s_or_b64 exec, exec, s[6:7]
	buffer_load_dword v70, off, s[0:3], 0 offset:92
	v_cmp_lt_u32_e64 s[6:7], 23, v0
	s_waitcnt vmcnt(0)
	ds_write_b32 v56, v70
	s_waitcnt lgkmcnt(0)
	; wave barrier
	s_waitcnt lgkmcnt(0)
	s_and_saveexec_b64 s[4:5], s[6:7]
	s_cbranch_execz .LBB90_26
; %bb.17:
	s_andn2_b64 vcc, exec, s[10:11]
	s_cbranch_vccnz .LBB90_19
; %bb.18:
	buffer_load_dword v70, v57, s[0:3], 0 offen
	ds_read_b32 v71, v56
	s_waitcnt vmcnt(0) lgkmcnt(0)
	v_mul_f32_e32 v70, v70, v71
	s_cbranch_execz .LBB90_20
	s_branch .LBB90_21
.LBB90_19:
                                        ; implicit-def: $vgpr70
.LBB90_20:
	ds_read_b32 v70, v56
.LBB90_21:
	s_and_saveexec_b64 s[12:13], s[8:9]
	s_cbranch_execz .LBB90_25
; %bb.22:
	v_subrev_u32_e32 v71, 24, v0
	s_movk_i32 s14, 0xd0
	s_mov_b64 s[8:9], 0
.LBB90_23:                              ; =>This Inner Loop Header: Depth=1
	buffer_load_dword v72, v69, s[0:3], 0 offen
	v_mov_b32_e32 v73, s14
	ds_read_b32 v73, v73
	v_add_u32_e32 v71, -1, v71
	s_add_i32 s14, s14, 4
	v_cmp_eq_u32_e32 vcc, 0, v71
	v_add_u32_e32 v69, 4, v69
	s_or_b64 s[8:9], vcc, s[8:9]
	s_waitcnt vmcnt(0) lgkmcnt(0)
	v_fmac_f32_e32 v70, v72, v73
	s_andn2_b64 exec, exec, s[8:9]
	s_cbranch_execnz .LBB90_23
; %bb.24:
	s_or_b64 exec, exec, s[8:9]
.LBB90_25:
	s_or_b64 exec, exec, s[12:13]
	v_mov_b32_e32 v69, 0
	ds_read_b32 v69, v69 offset:92
	s_waitcnt lgkmcnt(0)
	v_mul_f32_e32 v69, v70, v69
	buffer_store_dword v69, off, s[0:3], 0 offset:92
.LBB90_26:
	s_or_b64 exec, exec, s[4:5]
	buffer_load_dword v69, off, s[0:3], 0 offset:88
	v_cmp_lt_u32_e64 s[4:5], 22, v0
	s_waitcnt vmcnt(0)
	ds_write_b32 v56, v69
	s_waitcnt lgkmcnt(0)
	; wave barrier
	s_waitcnt lgkmcnt(0)
	s_and_saveexec_b64 s[8:9], s[4:5]
	s_cbranch_execz .LBB90_36
; %bb.27:
	s_andn2_b64 vcc, exec, s[10:11]
	s_cbranch_vccnz .LBB90_29
; %bb.28:
	buffer_load_dword v69, v57, s[0:3], 0 offen
	ds_read_b32 v70, v56
	s_waitcnt vmcnt(0) lgkmcnt(0)
	v_mul_f32_e32 v69, v69, v70
	s_cbranch_execz .LBB90_30
	s_branch .LBB90_31
.LBB90_29:
                                        ; implicit-def: $vgpr69
.LBB90_30:
	ds_read_b32 v69, v56
.LBB90_31:
	s_and_saveexec_b64 s[12:13], s[6:7]
	s_cbranch_execz .LBB90_35
; %bb.32:
	v_mov_b32_e32 v70, 0
	v_add_u32_e32 v70, 0x5c, v70
	v_subrev_u32_e32 v71, 23, v0
	s_movk_i32 s14, 0xcc
	s_mov_b64 s[6:7], 0
.LBB90_33:                              ; =>This Inner Loop Header: Depth=1
	buffer_load_dword v72, v70, s[0:3], 0 offen
	v_mov_b32_e32 v73, s14
	ds_read_b32 v73, v73
	v_add_u32_e32 v71, -1, v71
	s_add_i32 s14, s14, 4
	v_cmp_eq_u32_e32 vcc, 0, v71
	v_add_u32_e32 v70, 4, v70
	s_or_b64 s[6:7], vcc, s[6:7]
	s_waitcnt vmcnt(0) lgkmcnt(0)
	v_fmac_f32_e32 v69, v72, v73
	s_andn2_b64 exec, exec, s[6:7]
	s_cbranch_execnz .LBB90_33
; %bb.34:
	s_or_b64 exec, exec, s[6:7]
.LBB90_35:
	s_or_b64 exec, exec, s[12:13]
	v_mov_b32_e32 v70, 0
	ds_read_b32 v70, v70 offset:88
	s_waitcnt lgkmcnt(0)
	v_mul_f32_e32 v69, v69, v70
	buffer_store_dword v69, off, s[0:3], 0 offset:88
.LBB90_36:
	s_or_b64 exec, exec, s[8:9]
	buffer_load_dword v69, off, s[0:3], 0 offset:84
	v_cmp_lt_u32_e64 s[6:7], 21, v0
	s_waitcnt vmcnt(0)
	ds_write_b32 v56, v69
	s_waitcnt lgkmcnt(0)
	; wave barrier
	s_waitcnt lgkmcnt(0)
	s_and_saveexec_b64 s[8:9], s[6:7]
	s_cbranch_execz .LBB90_46
; %bb.37:
	s_andn2_b64 vcc, exec, s[10:11]
	s_cbranch_vccnz .LBB90_39
; %bb.38:
	buffer_load_dword v69, v57, s[0:3], 0 offen
	ds_read_b32 v70, v56
	s_waitcnt vmcnt(0) lgkmcnt(0)
	v_mul_f32_e32 v69, v69, v70
	s_cbranch_execz .LBB90_40
	s_branch .LBB90_41
.LBB90_39:
                                        ; implicit-def: $vgpr69
.LBB90_40:
	ds_read_b32 v69, v56
.LBB90_41:
	s_and_saveexec_b64 s[12:13], s[4:5]
	s_cbranch_execz .LBB90_45
; %bb.42:
	v_subrev_u32_e32 v70, 22, v0
	s_movk_i32 s14, 0xc8
	s_mov_b64 s[4:5], 0
.LBB90_43:                              ; =>This Inner Loop Header: Depth=1
	buffer_load_dword v71, v68, s[0:3], 0 offen
	v_mov_b32_e32 v72, s14
	ds_read_b32 v72, v72
	v_add_u32_e32 v70, -1, v70
	s_add_i32 s14, s14, 4
	v_cmp_eq_u32_e32 vcc, 0, v70
	v_add_u32_e32 v68, 4, v68
	s_or_b64 s[4:5], vcc, s[4:5]
	s_waitcnt vmcnt(0) lgkmcnt(0)
	v_fmac_f32_e32 v69, v71, v72
	s_andn2_b64 exec, exec, s[4:5]
	s_cbranch_execnz .LBB90_43
; %bb.44:
	s_or_b64 exec, exec, s[4:5]
.LBB90_45:
	s_or_b64 exec, exec, s[12:13]
	v_mov_b32_e32 v68, 0
	ds_read_b32 v68, v68 offset:84
	s_waitcnt lgkmcnt(0)
	v_mul_f32_e32 v68, v69, v68
	buffer_store_dword v68, off, s[0:3], 0 offset:84
.LBB90_46:
	s_or_b64 exec, exec, s[8:9]
	buffer_load_dword v68, off, s[0:3], 0 offset:80
	v_cmp_lt_u32_e64 s[4:5], 20, v0
	s_waitcnt vmcnt(0)
	ds_write_b32 v56, v68
	s_waitcnt lgkmcnt(0)
	; wave barrier
	s_waitcnt lgkmcnt(0)
	s_and_saveexec_b64 s[8:9], s[4:5]
	s_cbranch_execz .LBB90_56
; %bb.47:
	s_andn2_b64 vcc, exec, s[10:11]
	s_cbranch_vccnz .LBB90_49
; %bb.48:
	buffer_load_dword v68, v57, s[0:3], 0 offen
	ds_read_b32 v69, v56
	s_waitcnt vmcnt(0) lgkmcnt(0)
	v_mul_f32_e32 v68, v68, v69
	s_cbranch_execz .LBB90_50
	s_branch .LBB90_51
.LBB90_49:
                                        ; implicit-def: $vgpr68
.LBB90_50:
	ds_read_b32 v68, v56
.LBB90_51:
	s_and_saveexec_b64 s[12:13], s[6:7]
	s_cbranch_execz .LBB90_55
; %bb.52:
	v_mov_b32_e32 v69, 0
	v_add_u32_e32 v69, 0x54, v69
	v_subrev_u32_e32 v70, 21, v0
	s_movk_i32 s14, 0xc4
	s_mov_b64 s[6:7], 0
.LBB90_53:                              ; =>This Inner Loop Header: Depth=1
	buffer_load_dword v71, v69, s[0:3], 0 offen
	v_mov_b32_e32 v72, s14
	ds_read_b32 v72, v72
	v_add_u32_e32 v70, -1, v70
	s_add_i32 s14, s14, 4
	v_cmp_eq_u32_e32 vcc, 0, v70
	v_add_u32_e32 v69, 4, v69
	s_or_b64 s[6:7], vcc, s[6:7]
	s_waitcnt vmcnt(0) lgkmcnt(0)
	v_fmac_f32_e32 v68, v71, v72
	s_andn2_b64 exec, exec, s[6:7]
	s_cbranch_execnz .LBB90_53
; %bb.54:
	s_or_b64 exec, exec, s[6:7]
.LBB90_55:
	s_or_b64 exec, exec, s[12:13]
	v_mov_b32_e32 v69, 0
	ds_read_b32 v69, v69 offset:80
	s_waitcnt lgkmcnt(0)
	v_mul_f32_e32 v68, v68, v69
	buffer_store_dword v68, off, s[0:3], 0 offset:80
.LBB90_56:
	s_or_b64 exec, exec, s[8:9]
	buffer_load_dword v68, off, s[0:3], 0 offset:76
	v_cmp_lt_u32_e64 s[6:7], 19, v0
	s_waitcnt vmcnt(0)
	ds_write_b32 v56, v68
	s_waitcnt lgkmcnt(0)
	; wave barrier
	s_waitcnt lgkmcnt(0)
	s_and_saveexec_b64 s[8:9], s[6:7]
	s_cbranch_execz .LBB90_66
; %bb.57:
	s_andn2_b64 vcc, exec, s[10:11]
	s_cbranch_vccnz .LBB90_59
; %bb.58:
	buffer_load_dword v68, v57, s[0:3], 0 offen
	ds_read_b32 v69, v56
	s_waitcnt vmcnt(0) lgkmcnt(0)
	v_mul_f32_e32 v68, v68, v69
	s_cbranch_execz .LBB90_60
	s_branch .LBB90_61
.LBB90_59:
                                        ; implicit-def: $vgpr68
.LBB90_60:
	ds_read_b32 v68, v56
.LBB90_61:
	s_and_saveexec_b64 s[12:13], s[4:5]
	s_cbranch_execz .LBB90_65
; %bb.62:
	v_subrev_u32_e32 v69, 20, v0
	s_movk_i32 s14, 0xc0
	s_mov_b64 s[4:5], 0
.LBB90_63:                              ; =>This Inner Loop Header: Depth=1
	buffer_load_dword v70, v67, s[0:3], 0 offen
	v_mov_b32_e32 v71, s14
	ds_read_b32 v71, v71
	v_add_u32_e32 v69, -1, v69
	s_add_i32 s14, s14, 4
	v_cmp_eq_u32_e32 vcc, 0, v69
	v_add_u32_e32 v67, 4, v67
	s_or_b64 s[4:5], vcc, s[4:5]
	s_waitcnt vmcnt(0) lgkmcnt(0)
	v_fmac_f32_e32 v68, v70, v71
	s_andn2_b64 exec, exec, s[4:5]
	s_cbranch_execnz .LBB90_63
; %bb.64:
	s_or_b64 exec, exec, s[4:5]
.LBB90_65:
	s_or_b64 exec, exec, s[12:13]
	v_mov_b32_e32 v67, 0
	ds_read_b32 v67, v67 offset:76
	s_waitcnt lgkmcnt(0)
	v_mul_f32_e32 v67, v68, v67
	buffer_store_dword v67, off, s[0:3], 0 offset:76
.LBB90_66:
	s_or_b64 exec, exec, s[8:9]
	buffer_load_dword v67, off, s[0:3], 0 offset:72
	v_cmp_lt_u32_e64 s[4:5], 18, v0
	s_waitcnt vmcnt(0)
	ds_write_b32 v56, v67
	s_waitcnt lgkmcnt(0)
	; wave barrier
	s_waitcnt lgkmcnt(0)
	s_and_saveexec_b64 s[8:9], s[4:5]
	s_cbranch_execz .LBB90_76
; %bb.67:
	s_andn2_b64 vcc, exec, s[10:11]
	s_cbranch_vccnz .LBB90_69
; %bb.68:
	buffer_load_dword v67, v57, s[0:3], 0 offen
	ds_read_b32 v68, v56
	s_waitcnt vmcnt(0) lgkmcnt(0)
	v_mul_f32_e32 v67, v67, v68
	s_cbranch_execz .LBB90_70
	s_branch .LBB90_71
.LBB90_69:
                                        ; implicit-def: $vgpr67
.LBB90_70:
	ds_read_b32 v67, v56
.LBB90_71:
	s_and_saveexec_b64 s[12:13], s[6:7]
	s_cbranch_execz .LBB90_75
; %bb.72:
	v_mov_b32_e32 v68, 0
	v_add_u32_e32 v68, 0x4c, v68
	v_subrev_u32_e32 v69, 19, v0
	s_movk_i32 s14, 0xbc
	s_mov_b64 s[6:7], 0
.LBB90_73:                              ; =>This Inner Loop Header: Depth=1
	buffer_load_dword v70, v68, s[0:3], 0 offen
	v_mov_b32_e32 v71, s14
	ds_read_b32 v71, v71
	v_add_u32_e32 v69, -1, v69
	s_add_i32 s14, s14, 4
	v_cmp_eq_u32_e32 vcc, 0, v69
	v_add_u32_e32 v68, 4, v68
	s_or_b64 s[6:7], vcc, s[6:7]
	s_waitcnt vmcnt(0) lgkmcnt(0)
	v_fmac_f32_e32 v67, v70, v71
	s_andn2_b64 exec, exec, s[6:7]
	s_cbranch_execnz .LBB90_73
; %bb.74:
	s_or_b64 exec, exec, s[6:7]
.LBB90_75:
	s_or_b64 exec, exec, s[12:13]
	v_mov_b32_e32 v68, 0
	ds_read_b32 v68, v68 offset:72
	s_waitcnt lgkmcnt(0)
	v_mul_f32_e32 v67, v67, v68
	buffer_store_dword v67, off, s[0:3], 0 offset:72
.LBB90_76:
	s_or_b64 exec, exec, s[8:9]
	buffer_load_dword v67, off, s[0:3], 0 offset:68
	v_cmp_lt_u32_e64 s[6:7], 17, v0
	s_waitcnt vmcnt(0)
	ds_write_b32 v56, v67
	s_waitcnt lgkmcnt(0)
	; wave barrier
	s_waitcnt lgkmcnt(0)
	s_and_saveexec_b64 s[8:9], s[6:7]
	s_cbranch_execz .LBB90_86
; %bb.77:
	s_andn2_b64 vcc, exec, s[10:11]
	s_cbranch_vccnz .LBB90_79
; %bb.78:
	buffer_load_dword v67, v57, s[0:3], 0 offen
	ds_read_b32 v68, v56
	s_waitcnt vmcnt(0) lgkmcnt(0)
	v_mul_f32_e32 v67, v67, v68
	s_cbranch_execz .LBB90_80
	s_branch .LBB90_81
.LBB90_79:
                                        ; implicit-def: $vgpr67
.LBB90_80:
	ds_read_b32 v67, v56
.LBB90_81:
	s_and_saveexec_b64 s[12:13], s[4:5]
	s_cbranch_execz .LBB90_85
; %bb.82:
	v_subrev_u32_e32 v68, 18, v0
	s_movk_i32 s14, 0xb8
	s_mov_b64 s[4:5], 0
.LBB90_83:                              ; =>This Inner Loop Header: Depth=1
	buffer_load_dword v69, v66, s[0:3], 0 offen
	v_mov_b32_e32 v70, s14
	ds_read_b32 v70, v70
	v_add_u32_e32 v68, -1, v68
	s_add_i32 s14, s14, 4
	v_cmp_eq_u32_e32 vcc, 0, v68
	v_add_u32_e32 v66, 4, v66
	s_or_b64 s[4:5], vcc, s[4:5]
	s_waitcnt vmcnt(0) lgkmcnt(0)
	v_fmac_f32_e32 v67, v69, v70
	s_andn2_b64 exec, exec, s[4:5]
	s_cbranch_execnz .LBB90_83
; %bb.84:
	s_or_b64 exec, exec, s[4:5]
.LBB90_85:
	s_or_b64 exec, exec, s[12:13]
	v_mov_b32_e32 v66, 0
	ds_read_b32 v66, v66 offset:68
	s_waitcnt lgkmcnt(0)
	v_mul_f32_e32 v66, v67, v66
	buffer_store_dword v66, off, s[0:3], 0 offset:68
.LBB90_86:
	s_or_b64 exec, exec, s[8:9]
	buffer_load_dword v66, off, s[0:3], 0 offset:64
	v_cmp_lt_u32_e64 s[4:5], 16, v0
	s_waitcnt vmcnt(0)
	ds_write_b32 v56, v66
	s_waitcnt lgkmcnt(0)
	; wave barrier
	s_waitcnt lgkmcnt(0)
	s_and_saveexec_b64 s[8:9], s[4:5]
	s_cbranch_execz .LBB90_96
; %bb.87:
	s_andn2_b64 vcc, exec, s[10:11]
	s_cbranch_vccnz .LBB90_89
; %bb.88:
	buffer_load_dword v66, v57, s[0:3], 0 offen
	ds_read_b32 v67, v56
	s_waitcnt vmcnt(0) lgkmcnt(0)
	v_mul_f32_e32 v66, v66, v67
	s_cbranch_execz .LBB90_90
	s_branch .LBB90_91
.LBB90_89:
                                        ; implicit-def: $vgpr66
.LBB90_90:
	ds_read_b32 v66, v56
.LBB90_91:
	s_and_saveexec_b64 s[12:13], s[6:7]
	s_cbranch_execz .LBB90_95
; %bb.92:
	v_mov_b32_e32 v67, 0
	v_add_u32_e32 v67, 0x44, v67
	v_subrev_u32_e32 v68, 17, v0
	s_movk_i32 s14, 0xb4
	s_mov_b64 s[6:7], 0
.LBB90_93:                              ; =>This Inner Loop Header: Depth=1
	buffer_load_dword v69, v67, s[0:3], 0 offen
	v_mov_b32_e32 v70, s14
	ds_read_b32 v70, v70
	v_add_u32_e32 v68, -1, v68
	s_add_i32 s14, s14, 4
	v_cmp_eq_u32_e32 vcc, 0, v68
	v_add_u32_e32 v67, 4, v67
	s_or_b64 s[6:7], vcc, s[6:7]
	s_waitcnt vmcnt(0) lgkmcnt(0)
	v_fmac_f32_e32 v66, v69, v70
	s_andn2_b64 exec, exec, s[6:7]
	s_cbranch_execnz .LBB90_93
; %bb.94:
	s_or_b64 exec, exec, s[6:7]
.LBB90_95:
	s_or_b64 exec, exec, s[12:13]
	v_mov_b32_e32 v67, 0
	ds_read_b32 v67, v67 offset:64
	s_waitcnt lgkmcnt(0)
	v_mul_f32_e32 v66, v66, v67
	buffer_store_dword v66, off, s[0:3], 0 offset:64
.LBB90_96:
	s_or_b64 exec, exec, s[8:9]
	buffer_load_dword v66, off, s[0:3], 0 offset:60
	v_cmp_lt_u32_e64 s[6:7], 15, v0
	s_waitcnt vmcnt(0)
	ds_write_b32 v56, v66
	s_waitcnt lgkmcnt(0)
	; wave barrier
	s_waitcnt lgkmcnt(0)
	s_and_saveexec_b64 s[8:9], s[6:7]
	s_cbranch_execz .LBB90_106
; %bb.97:
	s_andn2_b64 vcc, exec, s[10:11]
	s_cbranch_vccnz .LBB90_99
; %bb.98:
	buffer_load_dword v66, v57, s[0:3], 0 offen
	ds_read_b32 v67, v56
	s_waitcnt vmcnt(0) lgkmcnt(0)
	v_mul_f32_e32 v66, v66, v67
	s_cbranch_execz .LBB90_100
	s_branch .LBB90_101
.LBB90_99:
                                        ; implicit-def: $vgpr66
.LBB90_100:
	ds_read_b32 v66, v56
.LBB90_101:
	s_and_saveexec_b64 s[12:13], s[4:5]
	s_cbranch_execz .LBB90_105
; %bb.102:
	v_add_u32_e32 v67, -16, v0
	s_movk_i32 s14, 0xb0
	s_mov_b64 s[4:5], 0
.LBB90_103:                             ; =>This Inner Loop Header: Depth=1
	buffer_load_dword v68, v65, s[0:3], 0 offen
	v_mov_b32_e32 v69, s14
	ds_read_b32 v69, v69
	v_add_u32_e32 v67, -1, v67
	s_add_i32 s14, s14, 4
	v_cmp_eq_u32_e32 vcc, 0, v67
	v_add_u32_e32 v65, 4, v65
	s_or_b64 s[4:5], vcc, s[4:5]
	s_waitcnt vmcnt(0) lgkmcnt(0)
	v_fmac_f32_e32 v66, v68, v69
	s_andn2_b64 exec, exec, s[4:5]
	s_cbranch_execnz .LBB90_103
; %bb.104:
	s_or_b64 exec, exec, s[4:5]
.LBB90_105:
	s_or_b64 exec, exec, s[12:13]
	v_mov_b32_e32 v65, 0
	ds_read_b32 v65, v65 offset:60
	s_waitcnt lgkmcnt(0)
	v_mul_f32_e32 v65, v66, v65
	buffer_store_dword v65, off, s[0:3], 0 offset:60
.LBB90_106:
	s_or_b64 exec, exec, s[8:9]
	buffer_load_dword v65, off, s[0:3], 0 offset:56
	v_cmp_lt_u32_e64 s[4:5], 14, v0
	s_waitcnt vmcnt(0)
	ds_write_b32 v56, v65
	s_waitcnt lgkmcnt(0)
	; wave barrier
	s_waitcnt lgkmcnt(0)
	s_and_saveexec_b64 s[8:9], s[4:5]
	s_cbranch_execz .LBB90_116
; %bb.107:
	s_andn2_b64 vcc, exec, s[10:11]
	s_cbranch_vccnz .LBB90_109
; %bb.108:
	buffer_load_dword v65, v57, s[0:3], 0 offen
	ds_read_b32 v66, v56
	s_waitcnt vmcnt(0) lgkmcnt(0)
	v_mul_f32_e32 v65, v65, v66
	s_cbranch_execz .LBB90_110
	s_branch .LBB90_111
.LBB90_109:
                                        ; implicit-def: $vgpr65
.LBB90_110:
	ds_read_b32 v65, v56
.LBB90_111:
	s_and_saveexec_b64 s[12:13], s[6:7]
	s_cbranch_execz .LBB90_115
; %bb.112:
	v_mov_b32_e32 v66, 0
	v_add_u32_e32 v66, 60, v66
	v_add_u32_e32 v67, -15, v0
	s_movk_i32 s14, 0xac
	s_mov_b64 s[6:7], 0
.LBB90_113:                             ; =>This Inner Loop Header: Depth=1
	buffer_load_dword v68, v66, s[0:3], 0 offen
	v_mov_b32_e32 v69, s14
	ds_read_b32 v69, v69
	v_add_u32_e32 v67, -1, v67
	s_add_i32 s14, s14, 4
	v_cmp_eq_u32_e32 vcc, 0, v67
	v_add_u32_e32 v66, 4, v66
	s_or_b64 s[6:7], vcc, s[6:7]
	s_waitcnt vmcnt(0) lgkmcnt(0)
	v_fmac_f32_e32 v65, v68, v69
	s_andn2_b64 exec, exec, s[6:7]
	s_cbranch_execnz .LBB90_113
; %bb.114:
	s_or_b64 exec, exec, s[6:7]
.LBB90_115:
	s_or_b64 exec, exec, s[12:13]
	v_mov_b32_e32 v66, 0
	ds_read_b32 v66, v66 offset:56
	s_waitcnt lgkmcnt(0)
	v_mul_f32_e32 v65, v65, v66
	buffer_store_dword v65, off, s[0:3], 0 offset:56
.LBB90_116:
	s_or_b64 exec, exec, s[8:9]
	buffer_load_dword v65, off, s[0:3], 0 offset:52
	v_cmp_lt_u32_e64 s[6:7], 13, v0
	s_waitcnt vmcnt(0)
	ds_write_b32 v56, v65
	s_waitcnt lgkmcnt(0)
	; wave barrier
	s_waitcnt lgkmcnt(0)
	s_and_saveexec_b64 s[8:9], s[6:7]
	s_cbranch_execz .LBB90_126
; %bb.117:
	s_andn2_b64 vcc, exec, s[10:11]
	s_cbranch_vccnz .LBB90_119
; %bb.118:
	buffer_load_dword v65, v57, s[0:3], 0 offen
	ds_read_b32 v66, v56
	s_waitcnt vmcnt(0) lgkmcnt(0)
	v_mul_f32_e32 v65, v65, v66
	s_cbranch_execz .LBB90_120
	s_branch .LBB90_121
.LBB90_119:
                                        ; implicit-def: $vgpr65
.LBB90_120:
	ds_read_b32 v65, v56
.LBB90_121:
	s_and_saveexec_b64 s[12:13], s[4:5]
	s_cbranch_execz .LBB90_125
; %bb.122:
	v_add_u32_e32 v66, -14, v0
	s_movk_i32 s14, 0xa8
	s_mov_b64 s[4:5], 0
.LBB90_123:                             ; =>This Inner Loop Header: Depth=1
	buffer_load_dword v67, v64, s[0:3], 0 offen
	v_mov_b32_e32 v68, s14
	ds_read_b32 v68, v68
	v_add_u32_e32 v66, -1, v66
	s_add_i32 s14, s14, 4
	v_cmp_eq_u32_e32 vcc, 0, v66
	v_add_u32_e32 v64, 4, v64
	s_or_b64 s[4:5], vcc, s[4:5]
	s_waitcnt vmcnt(0) lgkmcnt(0)
	v_fmac_f32_e32 v65, v67, v68
	s_andn2_b64 exec, exec, s[4:5]
	s_cbranch_execnz .LBB90_123
; %bb.124:
	s_or_b64 exec, exec, s[4:5]
.LBB90_125:
	s_or_b64 exec, exec, s[12:13]
	v_mov_b32_e32 v64, 0
	ds_read_b32 v64, v64 offset:52
	s_waitcnt lgkmcnt(0)
	v_mul_f32_e32 v64, v65, v64
	buffer_store_dword v64, off, s[0:3], 0 offset:52
.LBB90_126:
	s_or_b64 exec, exec, s[8:9]
	buffer_load_dword v64, off, s[0:3], 0 offset:48
	v_cmp_lt_u32_e64 s[4:5], 12, v0
	s_waitcnt vmcnt(0)
	ds_write_b32 v56, v64
	s_waitcnt lgkmcnt(0)
	; wave barrier
	s_waitcnt lgkmcnt(0)
	s_and_saveexec_b64 s[8:9], s[4:5]
	s_cbranch_execz .LBB90_136
; %bb.127:
	s_andn2_b64 vcc, exec, s[10:11]
	s_cbranch_vccnz .LBB90_129
; %bb.128:
	buffer_load_dword v64, v57, s[0:3], 0 offen
	ds_read_b32 v65, v56
	s_waitcnt vmcnt(0) lgkmcnt(0)
	v_mul_f32_e32 v64, v64, v65
	s_cbranch_execz .LBB90_130
	s_branch .LBB90_131
.LBB90_129:
                                        ; implicit-def: $vgpr64
.LBB90_130:
	ds_read_b32 v64, v56
.LBB90_131:
	s_and_saveexec_b64 s[12:13], s[6:7]
	s_cbranch_execz .LBB90_135
; %bb.132:
	v_mov_b32_e32 v65, 0
	v_add_u32_e32 v65, 52, v65
	v_add_u32_e32 v66, -13, v0
	s_movk_i32 s14, 0xa4
	s_mov_b64 s[6:7], 0
.LBB90_133:                             ; =>This Inner Loop Header: Depth=1
	buffer_load_dword v67, v65, s[0:3], 0 offen
	v_mov_b32_e32 v68, s14
	ds_read_b32 v68, v68
	v_add_u32_e32 v66, -1, v66
	s_add_i32 s14, s14, 4
	v_cmp_eq_u32_e32 vcc, 0, v66
	v_add_u32_e32 v65, 4, v65
	s_or_b64 s[6:7], vcc, s[6:7]
	s_waitcnt vmcnt(0) lgkmcnt(0)
	v_fmac_f32_e32 v64, v67, v68
	s_andn2_b64 exec, exec, s[6:7]
	s_cbranch_execnz .LBB90_133
; %bb.134:
	s_or_b64 exec, exec, s[6:7]
.LBB90_135:
	s_or_b64 exec, exec, s[12:13]
	v_mov_b32_e32 v65, 0
	ds_read_b32 v65, v65 offset:48
	s_waitcnt lgkmcnt(0)
	v_mul_f32_e32 v64, v64, v65
	buffer_store_dword v64, off, s[0:3], 0 offset:48
.LBB90_136:
	s_or_b64 exec, exec, s[8:9]
	buffer_load_dword v64, off, s[0:3], 0 offset:44
	v_cmp_lt_u32_e64 s[6:7], 11, v0
	s_waitcnt vmcnt(0)
	ds_write_b32 v56, v64
	s_waitcnt lgkmcnt(0)
	; wave barrier
	s_waitcnt lgkmcnt(0)
	s_and_saveexec_b64 s[8:9], s[6:7]
	s_cbranch_execz .LBB90_146
; %bb.137:
	s_andn2_b64 vcc, exec, s[10:11]
	s_cbranch_vccnz .LBB90_139
; %bb.138:
	buffer_load_dword v64, v57, s[0:3], 0 offen
	ds_read_b32 v65, v56
	s_waitcnt vmcnt(0) lgkmcnt(0)
	v_mul_f32_e32 v64, v64, v65
	s_cbranch_execz .LBB90_140
	s_branch .LBB90_141
.LBB90_139:
                                        ; implicit-def: $vgpr64
.LBB90_140:
	ds_read_b32 v64, v56
.LBB90_141:
	s_and_saveexec_b64 s[12:13], s[4:5]
	s_cbranch_execz .LBB90_145
; %bb.142:
	v_add_u32_e32 v65, -12, v0
	s_movk_i32 s14, 0xa0
	s_mov_b64 s[4:5], 0
.LBB90_143:                             ; =>This Inner Loop Header: Depth=1
	buffer_load_dword v66, v63, s[0:3], 0 offen
	v_mov_b32_e32 v67, s14
	ds_read_b32 v67, v67
	v_add_u32_e32 v65, -1, v65
	s_add_i32 s14, s14, 4
	v_cmp_eq_u32_e32 vcc, 0, v65
	v_add_u32_e32 v63, 4, v63
	s_or_b64 s[4:5], vcc, s[4:5]
	s_waitcnt vmcnt(0) lgkmcnt(0)
	v_fmac_f32_e32 v64, v66, v67
	s_andn2_b64 exec, exec, s[4:5]
	s_cbranch_execnz .LBB90_143
; %bb.144:
	s_or_b64 exec, exec, s[4:5]
.LBB90_145:
	s_or_b64 exec, exec, s[12:13]
	v_mov_b32_e32 v63, 0
	ds_read_b32 v63, v63 offset:44
	s_waitcnt lgkmcnt(0)
	v_mul_f32_e32 v63, v64, v63
	buffer_store_dword v63, off, s[0:3], 0 offset:44
.LBB90_146:
	s_or_b64 exec, exec, s[8:9]
	buffer_load_dword v63, off, s[0:3], 0 offset:40
	v_cmp_lt_u32_e64 s[4:5], 10, v0
	s_waitcnt vmcnt(0)
	ds_write_b32 v56, v63
	s_waitcnt lgkmcnt(0)
	; wave barrier
	s_waitcnt lgkmcnt(0)
	s_and_saveexec_b64 s[8:9], s[4:5]
	s_cbranch_execz .LBB90_156
; %bb.147:
	s_andn2_b64 vcc, exec, s[10:11]
	s_cbranch_vccnz .LBB90_149
; %bb.148:
	buffer_load_dword v63, v57, s[0:3], 0 offen
	ds_read_b32 v64, v56
	s_waitcnt vmcnt(0) lgkmcnt(0)
	v_mul_f32_e32 v63, v63, v64
	s_cbranch_execz .LBB90_150
	s_branch .LBB90_151
.LBB90_149:
                                        ; implicit-def: $vgpr63
.LBB90_150:
	ds_read_b32 v63, v56
.LBB90_151:
	s_and_saveexec_b64 s[12:13], s[6:7]
	s_cbranch_execz .LBB90_155
; %bb.152:
	v_mov_b32_e32 v64, 0
	v_add_u32_e32 v64, 44, v64
	v_add_u32_e32 v65, -11, v0
	s_movk_i32 s14, 0x9c
	s_mov_b64 s[6:7], 0
.LBB90_153:                             ; =>This Inner Loop Header: Depth=1
	buffer_load_dword v66, v64, s[0:3], 0 offen
	v_mov_b32_e32 v67, s14
	ds_read_b32 v67, v67
	v_add_u32_e32 v65, -1, v65
	s_add_i32 s14, s14, 4
	v_cmp_eq_u32_e32 vcc, 0, v65
	v_add_u32_e32 v64, 4, v64
	s_or_b64 s[6:7], vcc, s[6:7]
	s_waitcnt vmcnt(0) lgkmcnt(0)
	v_fmac_f32_e32 v63, v66, v67
	s_andn2_b64 exec, exec, s[6:7]
	s_cbranch_execnz .LBB90_153
; %bb.154:
	s_or_b64 exec, exec, s[6:7]
.LBB90_155:
	s_or_b64 exec, exec, s[12:13]
	v_mov_b32_e32 v64, 0
	ds_read_b32 v64, v64 offset:40
	s_waitcnt lgkmcnt(0)
	v_mul_f32_e32 v63, v63, v64
	buffer_store_dword v63, off, s[0:3], 0 offset:40
.LBB90_156:
	s_or_b64 exec, exec, s[8:9]
	buffer_load_dword v63, off, s[0:3], 0 offset:36
	v_cmp_lt_u32_e64 s[6:7], 9, v0
	s_waitcnt vmcnt(0)
	ds_write_b32 v56, v63
	s_waitcnt lgkmcnt(0)
	; wave barrier
	s_waitcnt lgkmcnt(0)
	s_and_saveexec_b64 s[8:9], s[6:7]
	s_cbranch_execz .LBB90_166
; %bb.157:
	s_andn2_b64 vcc, exec, s[10:11]
	s_cbranch_vccnz .LBB90_159
; %bb.158:
	buffer_load_dword v63, v57, s[0:3], 0 offen
	ds_read_b32 v64, v56
	s_waitcnt vmcnt(0) lgkmcnt(0)
	v_mul_f32_e32 v63, v63, v64
	s_cbranch_execz .LBB90_160
	s_branch .LBB90_161
.LBB90_159:
                                        ; implicit-def: $vgpr63
.LBB90_160:
	ds_read_b32 v63, v56
.LBB90_161:
	s_and_saveexec_b64 s[12:13], s[4:5]
	s_cbranch_execz .LBB90_165
; %bb.162:
	v_add_u32_e32 v64, -10, v0
	s_movk_i32 s14, 0x98
	s_mov_b64 s[4:5], 0
.LBB90_163:                             ; =>This Inner Loop Header: Depth=1
	buffer_load_dword v65, v62, s[0:3], 0 offen
	v_mov_b32_e32 v66, s14
	ds_read_b32 v66, v66
	v_add_u32_e32 v64, -1, v64
	s_add_i32 s14, s14, 4
	v_cmp_eq_u32_e32 vcc, 0, v64
	v_add_u32_e32 v62, 4, v62
	s_or_b64 s[4:5], vcc, s[4:5]
	s_waitcnt vmcnt(0) lgkmcnt(0)
	v_fmac_f32_e32 v63, v65, v66
	s_andn2_b64 exec, exec, s[4:5]
	s_cbranch_execnz .LBB90_163
; %bb.164:
	s_or_b64 exec, exec, s[4:5]
.LBB90_165:
	s_or_b64 exec, exec, s[12:13]
	v_mov_b32_e32 v62, 0
	ds_read_b32 v62, v62 offset:36
	s_waitcnt lgkmcnt(0)
	v_mul_f32_e32 v62, v63, v62
	buffer_store_dword v62, off, s[0:3], 0 offset:36
.LBB90_166:
	s_or_b64 exec, exec, s[8:9]
	buffer_load_dword v62, off, s[0:3], 0 offset:32
	v_cmp_lt_u32_e64 s[4:5], 8, v0
	s_waitcnt vmcnt(0)
	ds_write_b32 v56, v62
	s_waitcnt lgkmcnt(0)
	; wave barrier
	s_waitcnt lgkmcnt(0)
	s_and_saveexec_b64 s[8:9], s[4:5]
	s_cbranch_execz .LBB90_176
; %bb.167:
	s_andn2_b64 vcc, exec, s[10:11]
	s_cbranch_vccnz .LBB90_169
; %bb.168:
	buffer_load_dword v62, v57, s[0:3], 0 offen
	ds_read_b32 v63, v56
	s_waitcnt vmcnt(0) lgkmcnt(0)
	v_mul_f32_e32 v62, v62, v63
	s_cbranch_execz .LBB90_170
	s_branch .LBB90_171
.LBB90_169:
                                        ; implicit-def: $vgpr62
.LBB90_170:
	ds_read_b32 v62, v56
.LBB90_171:
	s_and_saveexec_b64 s[12:13], s[6:7]
	s_cbranch_execz .LBB90_175
; %bb.172:
	v_mov_b32_e32 v63, 0
	v_add_u32_e32 v63, 36, v63
	v_add_u32_e32 v64, -9, v0
	s_movk_i32 s14, 0x94
	s_mov_b64 s[6:7], 0
.LBB90_173:                             ; =>This Inner Loop Header: Depth=1
	buffer_load_dword v65, v63, s[0:3], 0 offen
	v_mov_b32_e32 v66, s14
	ds_read_b32 v66, v66
	v_add_u32_e32 v64, -1, v64
	s_add_i32 s14, s14, 4
	v_cmp_eq_u32_e32 vcc, 0, v64
	v_add_u32_e32 v63, 4, v63
	s_or_b64 s[6:7], vcc, s[6:7]
	s_waitcnt vmcnt(0) lgkmcnt(0)
	v_fmac_f32_e32 v62, v65, v66
	s_andn2_b64 exec, exec, s[6:7]
	s_cbranch_execnz .LBB90_173
; %bb.174:
	s_or_b64 exec, exec, s[6:7]
.LBB90_175:
	s_or_b64 exec, exec, s[12:13]
	v_mov_b32_e32 v63, 0
	ds_read_b32 v63, v63 offset:32
	s_waitcnt lgkmcnt(0)
	v_mul_f32_e32 v62, v62, v63
	buffer_store_dword v62, off, s[0:3], 0 offset:32
.LBB90_176:
	s_or_b64 exec, exec, s[8:9]
	buffer_load_dword v62, off, s[0:3], 0 offset:28
	v_cmp_lt_u32_e64 s[6:7], 7, v0
	s_waitcnt vmcnt(0)
	ds_write_b32 v56, v62
	s_waitcnt lgkmcnt(0)
	; wave barrier
	s_waitcnt lgkmcnt(0)
	s_and_saveexec_b64 s[8:9], s[6:7]
	s_cbranch_execz .LBB90_186
; %bb.177:
	s_andn2_b64 vcc, exec, s[10:11]
	s_cbranch_vccnz .LBB90_179
; %bb.178:
	buffer_load_dword v62, v57, s[0:3], 0 offen
	ds_read_b32 v63, v56
	s_waitcnt vmcnt(0) lgkmcnt(0)
	v_mul_f32_e32 v62, v62, v63
	s_cbranch_execz .LBB90_180
	s_branch .LBB90_181
.LBB90_179:
                                        ; implicit-def: $vgpr62
.LBB90_180:
	ds_read_b32 v62, v56
.LBB90_181:
	s_and_saveexec_b64 s[12:13], s[4:5]
	s_cbranch_execz .LBB90_185
; %bb.182:
	v_add_u32_e32 v63, -8, v0
	s_movk_i32 s14, 0x90
	s_mov_b64 s[4:5], 0
.LBB90_183:                             ; =>This Inner Loop Header: Depth=1
	buffer_load_dword v64, v61, s[0:3], 0 offen
	v_mov_b32_e32 v65, s14
	ds_read_b32 v65, v65
	v_add_u32_e32 v63, -1, v63
	s_add_i32 s14, s14, 4
	v_cmp_eq_u32_e32 vcc, 0, v63
	v_add_u32_e32 v61, 4, v61
	s_or_b64 s[4:5], vcc, s[4:5]
	s_waitcnt vmcnt(0) lgkmcnt(0)
	v_fmac_f32_e32 v62, v64, v65
	s_andn2_b64 exec, exec, s[4:5]
	s_cbranch_execnz .LBB90_183
; %bb.184:
	s_or_b64 exec, exec, s[4:5]
.LBB90_185:
	s_or_b64 exec, exec, s[12:13]
	v_mov_b32_e32 v61, 0
	ds_read_b32 v61, v61 offset:28
	s_waitcnt lgkmcnt(0)
	v_mul_f32_e32 v61, v62, v61
	buffer_store_dword v61, off, s[0:3], 0 offset:28
.LBB90_186:
	s_or_b64 exec, exec, s[8:9]
	buffer_load_dword v61, off, s[0:3], 0 offset:24
	v_cmp_lt_u32_e64 s[4:5], 6, v0
	s_waitcnt vmcnt(0)
	ds_write_b32 v56, v61
	s_waitcnt lgkmcnt(0)
	; wave barrier
	s_waitcnt lgkmcnt(0)
	s_and_saveexec_b64 s[8:9], s[4:5]
	s_cbranch_execz .LBB90_196
; %bb.187:
	s_andn2_b64 vcc, exec, s[10:11]
	s_cbranch_vccnz .LBB90_189
; %bb.188:
	buffer_load_dword v61, v57, s[0:3], 0 offen
	ds_read_b32 v62, v56
	s_waitcnt vmcnt(0) lgkmcnt(0)
	v_mul_f32_e32 v61, v61, v62
	s_cbranch_execz .LBB90_190
	s_branch .LBB90_191
.LBB90_189:
                                        ; implicit-def: $vgpr61
.LBB90_190:
	ds_read_b32 v61, v56
.LBB90_191:
	s_and_saveexec_b64 s[12:13], s[6:7]
	s_cbranch_execz .LBB90_195
; %bb.192:
	v_mov_b32_e32 v62, 0
	v_add_u32_e32 v62, 28, v62
	v_add_u32_e32 v63, -7, v0
	s_movk_i32 s14, 0x8c
	s_mov_b64 s[6:7], 0
.LBB90_193:                             ; =>This Inner Loop Header: Depth=1
	buffer_load_dword v64, v62, s[0:3], 0 offen
	v_mov_b32_e32 v65, s14
	ds_read_b32 v65, v65
	v_add_u32_e32 v63, -1, v63
	s_add_i32 s14, s14, 4
	v_cmp_eq_u32_e32 vcc, 0, v63
	v_add_u32_e32 v62, 4, v62
	s_or_b64 s[6:7], vcc, s[6:7]
	s_waitcnt vmcnt(0) lgkmcnt(0)
	v_fmac_f32_e32 v61, v64, v65
	s_andn2_b64 exec, exec, s[6:7]
	s_cbranch_execnz .LBB90_193
; %bb.194:
	s_or_b64 exec, exec, s[6:7]
.LBB90_195:
	s_or_b64 exec, exec, s[12:13]
	v_mov_b32_e32 v62, 0
	ds_read_b32 v62, v62 offset:24
	s_waitcnt lgkmcnt(0)
	v_mul_f32_e32 v61, v61, v62
	buffer_store_dword v61, off, s[0:3], 0 offset:24
.LBB90_196:
	s_or_b64 exec, exec, s[8:9]
	buffer_load_dword v61, off, s[0:3], 0 offset:20
	v_cmp_lt_u32_e64 s[6:7], 5, v0
	s_waitcnt vmcnt(0)
	ds_write_b32 v56, v61
	s_waitcnt lgkmcnt(0)
	; wave barrier
	s_waitcnt lgkmcnt(0)
	s_and_saveexec_b64 s[8:9], s[6:7]
	s_cbranch_execz .LBB90_206
; %bb.197:
	s_andn2_b64 vcc, exec, s[10:11]
	s_cbranch_vccnz .LBB90_199
; %bb.198:
	buffer_load_dword v61, v57, s[0:3], 0 offen
	ds_read_b32 v62, v56
	s_waitcnt vmcnt(0) lgkmcnt(0)
	v_mul_f32_e32 v61, v61, v62
	s_cbranch_execz .LBB90_200
	s_branch .LBB90_201
.LBB90_199:
                                        ; implicit-def: $vgpr61
.LBB90_200:
	ds_read_b32 v61, v56
.LBB90_201:
	s_and_saveexec_b64 s[12:13], s[4:5]
	s_cbranch_execz .LBB90_205
; %bb.202:
	v_add_u32_e32 v62, -6, v0
	s_movk_i32 s14, 0x88
	s_mov_b64 s[4:5], 0
.LBB90_203:                             ; =>This Inner Loop Header: Depth=1
	buffer_load_dword v63, v60, s[0:3], 0 offen
	v_mov_b32_e32 v64, s14
	ds_read_b32 v64, v64
	v_add_u32_e32 v62, -1, v62
	s_add_i32 s14, s14, 4
	v_cmp_eq_u32_e32 vcc, 0, v62
	v_add_u32_e32 v60, 4, v60
	s_or_b64 s[4:5], vcc, s[4:5]
	s_waitcnt vmcnt(0) lgkmcnt(0)
	v_fmac_f32_e32 v61, v63, v64
	s_andn2_b64 exec, exec, s[4:5]
	s_cbranch_execnz .LBB90_203
; %bb.204:
	s_or_b64 exec, exec, s[4:5]
.LBB90_205:
	s_or_b64 exec, exec, s[12:13]
	v_mov_b32_e32 v60, 0
	ds_read_b32 v60, v60 offset:20
	s_waitcnt lgkmcnt(0)
	v_mul_f32_e32 v60, v61, v60
	buffer_store_dword v60, off, s[0:3], 0 offset:20
.LBB90_206:
	s_or_b64 exec, exec, s[8:9]
	buffer_load_dword v60, off, s[0:3], 0 offset:16
	v_cmp_lt_u32_e64 s[4:5], 4, v0
	s_waitcnt vmcnt(0)
	ds_write_b32 v56, v60
	s_waitcnt lgkmcnt(0)
	; wave barrier
	s_waitcnt lgkmcnt(0)
	s_and_saveexec_b64 s[8:9], s[4:5]
	s_cbranch_execz .LBB90_216
; %bb.207:
	s_andn2_b64 vcc, exec, s[10:11]
	s_cbranch_vccnz .LBB90_209
; %bb.208:
	buffer_load_dword v60, v57, s[0:3], 0 offen
	ds_read_b32 v61, v56
	s_waitcnt vmcnt(0) lgkmcnt(0)
	v_mul_f32_e32 v60, v60, v61
	s_cbranch_execz .LBB90_210
	s_branch .LBB90_211
.LBB90_209:
                                        ; implicit-def: $vgpr60
.LBB90_210:
	ds_read_b32 v60, v56
.LBB90_211:
	s_and_saveexec_b64 s[12:13], s[6:7]
	s_cbranch_execz .LBB90_215
; %bb.212:
	v_mov_b32_e32 v61, 0
	v_add_u32_e32 v61, 20, v61
	v_add_u32_e32 v62, -5, v0
	s_movk_i32 s14, 0x84
	s_mov_b64 s[6:7], 0
.LBB90_213:                             ; =>This Inner Loop Header: Depth=1
	buffer_load_dword v63, v61, s[0:3], 0 offen
	v_mov_b32_e32 v64, s14
	ds_read_b32 v64, v64
	v_add_u32_e32 v62, -1, v62
	s_add_i32 s14, s14, 4
	v_cmp_eq_u32_e32 vcc, 0, v62
	v_add_u32_e32 v61, 4, v61
	s_or_b64 s[6:7], vcc, s[6:7]
	s_waitcnt vmcnt(0) lgkmcnt(0)
	v_fmac_f32_e32 v60, v63, v64
	s_andn2_b64 exec, exec, s[6:7]
	s_cbranch_execnz .LBB90_213
; %bb.214:
	s_or_b64 exec, exec, s[6:7]
.LBB90_215:
	s_or_b64 exec, exec, s[12:13]
	v_mov_b32_e32 v61, 0
	ds_read_b32 v61, v61 offset:16
	s_waitcnt lgkmcnt(0)
	v_mul_f32_e32 v60, v60, v61
	buffer_store_dword v60, off, s[0:3], 0 offset:16
.LBB90_216:
	s_or_b64 exec, exec, s[8:9]
	buffer_load_dword v60, off, s[0:3], 0 offset:12
	v_cmp_lt_u32_e64 s[6:7], 3, v0
	s_waitcnt vmcnt(0)
	ds_write_b32 v56, v60
	s_waitcnt lgkmcnt(0)
	; wave barrier
	s_waitcnt lgkmcnt(0)
	s_and_saveexec_b64 s[8:9], s[6:7]
	s_cbranch_execz .LBB90_226
; %bb.217:
	s_andn2_b64 vcc, exec, s[10:11]
	s_cbranch_vccnz .LBB90_219
; %bb.218:
	buffer_load_dword v60, v57, s[0:3], 0 offen
	ds_read_b32 v61, v56
	s_waitcnt vmcnt(0) lgkmcnt(0)
	v_mul_f32_e32 v60, v60, v61
	s_cbranch_execz .LBB90_220
	s_branch .LBB90_221
.LBB90_219:
                                        ; implicit-def: $vgpr60
.LBB90_220:
	ds_read_b32 v60, v56
.LBB90_221:
	s_and_saveexec_b64 s[12:13], s[4:5]
	s_cbranch_execz .LBB90_225
; %bb.222:
	v_add_u32_e32 v61, -4, v0
	s_movk_i32 s14, 0x80
	s_mov_b64 s[4:5], 0
.LBB90_223:                             ; =>This Inner Loop Header: Depth=1
	buffer_load_dword v62, v59, s[0:3], 0 offen
	v_mov_b32_e32 v63, s14
	ds_read_b32 v63, v63
	v_add_u32_e32 v61, -1, v61
	s_add_i32 s14, s14, 4
	v_cmp_eq_u32_e32 vcc, 0, v61
	v_add_u32_e32 v59, 4, v59
	s_or_b64 s[4:5], vcc, s[4:5]
	s_waitcnt vmcnt(0) lgkmcnt(0)
	v_fmac_f32_e32 v60, v62, v63
	s_andn2_b64 exec, exec, s[4:5]
	s_cbranch_execnz .LBB90_223
; %bb.224:
	s_or_b64 exec, exec, s[4:5]
.LBB90_225:
	s_or_b64 exec, exec, s[12:13]
	v_mov_b32_e32 v59, 0
	ds_read_b32 v59, v59 offset:12
	s_waitcnt lgkmcnt(0)
	v_mul_f32_e32 v59, v60, v59
	buffer_store_dword v59, off, s[0:3], 0 offset:12
.LBB90_226:
	s_or_b64 exec, exec, s[8:9]
	buffer_load_dword v59, off, s[0:3], 0 offset:8
	v_cmp_lt_u32_e64 s[4:5], 2, v0
	s_waitcnt vmcnt(0)
	ds_write_b32 v56, v59
	s_waitcnt lgkmcnt(0)
	; wave barrier
	s_waitcnt lgkmcnt(0)
	s_and_saveexec_b64 s[8:9], s[4:5]
	s_cbranch_execz .LBB90_236
; %bb.227:
	s_andn2_b64 vcc, exec, s[10:11]
	s_cbranch_vccnz .LBB90_229
; %bb.228:
	buffer_load_dword v59, v57, s[0:3], 0 offen
	ds_read_b32 v60, v56
	s_waitcnt vmcnt(0) lgkmcnt(0)
	v_mul_f32_e32 v59, v59, v60
	s_cbranch_execz .LBB90_230
	s_branch .LBB90_231
.LBB90_229:
                                        ; implicit-def: $vgpr59
.LBB90_230:
	ds_read_b32 v59, v56
.LBB90_231:
	s_and_saveexec_b64 s[12:13], s[6:7]
	s_cbranch_execz .LBB90_235
; %bb.232:
	v_mov_b32_e32 v60, 0
	v_or_b32_e32 v60, 12, v60
	v_add_u32_e32 v61, -3, v0
	s_movk_i32 s14, 0x7c
	s_mov_b64 s[6:7], 0
.LBB90_233:                             ; =>This Inner Loop Header: Depth=1
	buffer_load_dword v62, v60, s[0:3], 0 offen
	v_mov_b32_e32 v63, s14
	ds_read_b32 v63, v63
	v_add_u32_e32 v61, -1, v61
	s_add_i32 s14, s14, 4
	v_cmp_eq_u32_e32 vcc, 0, v61
	v_add_u32_e32 v60, 4, v60
	s_or_b64 s[6:7], vcc, s[6:7]
	s_waitcnt vmcnt(0) lgkmcnt(0)
	v_fmac_f32_e32 v59, v62, v63
	s_andn2_b64 exec, exec, s[6:7]
	s_cbranch_execnz .LBB90_233
; %bb.234:
	s_or_b64 exec, exec, s[6:7]
.LBB90_235:
	s_or_b64 exec, exec, s[12:13]
	v_mov_b32_e32 v60, 0
	ds_read_b32 v60, v60 offset:8
	s_waitcnt lgkmcnt(0)
	v_mul_f32_e32 v59, v59, v60
	buffer_store_dword v59, off, s[0:3], 0 offset:8
.LBB90_236:
	s_or_b64 exec, exec, s[8:9]
	buffer_load_dword v59, off, s[0:3], 0 offset:4
	v_cmp_lt_u32_e64 s[6:7], 1, v0
	s_waitcnt vmcnt(0)
	ds_write_b32 v56, v59
	s_waitcnt lgkmcnt(0)
	; wave barrier
	s_waitcnt lgkmcnt(0)
	s_and_saveexec_b64 s[8:9], s[6:7]
	s_cbranch_execz .LBB90_246
; %bb.237:
	s_andn2_b64 vcc, exec, s[10:11]
	s_cbranch_vccnz .LBB90_239
; %bb.238:
	buffer_load_dword v59, v57, s[0:3], 0 offen
	ds_read_b32 v60, v56
	s_waitcnt vmcnt(0) lgkmcnt(0)
	v_mul_f32_e32 v59, v59, v60
	s_cbranch_execz .LBB90_240
	s_branch .LBB90_241
.LBB90_239:
                                        ; implicit-def: $vgpr59
.LBB90_240:
	ds_read_b32 v59, v56
.LBB90_241:
	s_and_saveexec_b64 s[12:13], s[4:5]
	s_cbranch_execz .LBB90_245
; %bb.242:
	v_add_u32_e32 v60, -2, v0
	s_movk_i32 s14, 0x78
	s_mov_b64 s[4:5], 0
.LBB90_243:                             ; =>This Inner Loop Header: Depth=1
	buffer_load_dword v61, v58, s[0:3], 0 offen
	v_mov_b32_e32 v62, s14
	ds_read_b32 v62, v62
	v_add_u32_e32 v60, -1, v60
	s_add_i32 s14, s14, 4
	v_cmp_eq_u32_e32 vcc, 0, v60
	v_add_u32_e32 v58, 4, v58
	s_or_b64 s[4:5], vcc, s[4:5]
	s_waitcnt vmcnt(0) lgkmcnt(0)
	v_fmac_f32_e32 v59, v61, v62
	s_andn2_b64 exec, exec, s[4:5]
	s_cbranch_execnz .LBB90_243
; %bb.244:
	s_or_b64 exec, exec, s[4:5]
.LBB90_245:
	s_or_b64 exec, exec, s[12:13]
	v_mov_b32_e32 v58, 0
	ds_read_b32 v58, v58 offset:4
	s_waitcnt lgkmcnt(0)
	v_mul_f32_e32 v58, v59, v58
	buffer_store_dword v58, off, s[0:3], 0 offset:4
.LBB90_246:
	s_or_b64 exec, exec, s[8:9]
	buffer_load_dword v58, off, s[0:3], 0
	v_cmp_ne_u32_e32 vcc, 0, v0
	s_waitcnt vmcnt(0)
	ds_write_b32 v56, v58
	s_waitcnt lgkmcnt(0)
	; wave barrier
	s_waitcnt lgkmcnt(0)
	s_and_saveexec_b64 s[4:5], vcc
	s_cbranch_execz .LBB90_256
; %bb.247:
	s_andn2_b64 vcc, exec, s[10:11]
	s_cbranch_vccnz .LBB90_249
; %bb.248:
	buffer_load_dword v58, v57, s[0:3], 0 offen
	ds_read_b32 v59, v56
	s_waitcnt vmcnt(0) lgkmcnt(0)
	v_mul_f32_e32 v58, v58, v59
	s_cbranch_execz .LBB90_250
	s_branch .LBB90_251
.LBB90_249:
                                        ; implicit-def: $vgpr58
.LBB90_250:
	ds_read_b32 v58, v56
.LBB90_251:
	s_and_saveexec_b64 s[8:9], s[6:7]
	s_cbranch_execz .LBB90_255
; %bb.252:
	v_mov_b32_e32 v59, 0
	v_or_b32_e32 v59, 4, v59
	v_add_u32_e32 v60, -1, v0
	s_movk_i32 s12, 0x74
	s_mov_b64 s[6:7], 0
.LBB90_253:                             ; =>This Inner Loop Header: Depth=1
	buffer_load_dword v61, v59, s[0:3], 0 offen
	v_mov_b32_e32 v62, s12
	ds_read_b32 v62, v62
	v_add_u32_e32 v60, -1, v60
	s_add_i32 s12, s12, 4
	v_cmp_eq_u32_e32 vcc, 0, v60
	v_add_u32_e32 v59, 4, v59
	s_or_b64 s[6:7], vcc, s[6:7]
	s_waitcnt vmcnt(0) lgkmcnt(0)
	v_fmac_f32_e32 v58, v61, v62
	s_andn2_b64 exec, exec, s[6:7]
	s_cbranch_execnz .LBB90_253
; %bb.254:
	s_or_b64 exec, exec, s[6:7]
.LBB90_255:
	s_or_b64 exec, exec, s[8:9]
	v_mov_b32_e32 v59, 0
	ds_read_b32 v59, v59
	s_waitcnt lgkmcnt(0)
	v_mul_f32_e32 v58, v58, v59
	buffer_store_dword v58, off, s[0:3], 0
.LBB90_256:
	s_or_b64 exec, exec, s[4:5]
	s_mov_b64 s[4:5], 0
.LBB90_257:
	s_and_b64 vcc, exec, s[4:5]
	s_cbranch_vccz .LBB90_511
; %bb.258:
	buffer_load_dword v58, off, s[0:3], 0 offset:4
	v_cmp_eq_u32_e64 s[6:7], 0, v0
	s_waitcnt vmcnt(0)
	ds_write_b32 v56, v58
	s_waitcnt lgkmcnt(0)
	; wave barrier
	s_waitcnt lgkmcnt(0)
	s_and_saveexec_b64 s[4:5], s[6:7]
	s_cbranch_execz .LBB90_264
; %bb.259:
	s_and_b64 vcc, exec, s[10:11]
	s_cbranch_vccz .LBB90_261
; %bb.260:
	buffer_load_dword v58, v57, s[0:3], 0 offen
	ds_read_b32 v59, v56
	s_waitcnt vmcnt(0) lgkmcnt(0)
	v_mul_f32_e32 v58, v58, v59
	s_cbranch_execz .LBB90_262
	s_branch .LBB90_263
.LBB90_261:
                                        ; implicit-def: $vgpr58
.LBB90_262:
	ds_read_b32 v58, v56
.LBB90_263:
	v_mov_b32_e32 v59, 0
	ds_read_b32 v59, v59 offset:4
	s_waitcnt lgkmcnt(0)
	v_mul_f32_e32 v58, v58, v59
	buffer_store_dword v58, off, s[0:3], 0 offset:4
.LBB90_264:
	s_or_b64 exec, exec, s[4:5]
	buffer_load_dword v58, off, s[0:3], 0 offset:8
	v_cndmask_b32_e64 v59, 0, 1, s[10:11]
	v_cmp_gt_u32_e32 vcc, 2, v0
	v_cmp_ne_u32_e64 s[4:5], 1, v59
	s_waitcnt vmcnt(0)
	ds_write_b32 v56, v58
	s_waitcnt lgkmcnt(0)
	; wave barrier
	s_waitcnt lgkmcnt(0)
	s_and_saveexec_b64 s[8:9], vcc
	s_cbranch_execz .LBB90_272
; %bb.265:
	s_and_b64 vcc, exec, s[4:5]
	s_cbranch_vccnz .LBB90_267
; %bb.266:
	buffer_load_dword v58, v57, s[0:3], 0 offen
	ds_read_b32 v59, v56
	s_waitcnt vmcnt(0) lgkmcnt(0)
	v_mul_f32_e32 v58, v58, v59
	s_cbranch_execz .LBB90_268
	s_branch .LBB90_269
.LBB90_267:
                                        ; implicit-def: $vgpr58
.LBB90_268:
	ds_read_b32 v58, v56
.LBB90_269:
	s_and_saveexec_b64 s[10:11], s[6:7]
	s_cbranch_execz .LBB90_271
; %bb.270:
	buffer_load_dword v59, v57, s[0:3], 0 offen offset:4
	ds_read_b32 v60, v56 offset:4
	s_waitcnt vmcnt(0) lgkmcnt(0)
	v_fmac_f32_e32 v58, v59, v60
.LBB90_271:
	s_or_b64 exec, exec, s[10:11]
	v_mov_b32_e32 v59, 0
	ds_read_b32 v59, v59 offset:8
	s_waitcnt lgkmcnt(0)
	v_mul_f32_e32 v58, v58, v59
	buffer_store_dword v58, off, s[0:3], 0 offset:8
.LBB90_272:
	s_or_b64 exec, exec, s[8:9]
	buffer_load_dword v58, off, s[0:3], 0 offset:12
	v_cmp_gt_u32_e32 vcc, 3, v0
	s_waitcnt vmcnt(0)
	ds_write_b32 v56, v58
	s_waitcnt lgkmcnt(0)
	; wave barrier
	s_waitcnt lgkmcnt(0)
	s_and_saveexec_b64 s[8:9], vcc
	s_cbranch_execz .LBB90_280
; %bb.273:
	s_and_b64 vcc, exec, s[4:5]
	s_cbranch_vccnz .LBB90_275
; %bb.274:
	buffer_load_dword v58, v57, s[0:3], 0 offen
	ds_read_b32 v59, v56
	s_waitcnt vmcnt(0) lgkmcnt(0)
	v_mul_f32_e32 v58, v58, v59
	s_cbranch_execz .LBB90_276
	s_branch .LBB90_277
.LBB90_275:
                                        ; implicit-def: $vgpr58
.LBB90_276:
	ds_read_b32 v58, v56
.LBB90_277:
	v_cmp_ne_u32_e32 vcc, 2, v0
	s_and_saveexec_b64 s[10:11], vcc
	s_cbranch_execz .LBB90_279
; %bb.278:
	buffer_load_dword v59, v57, s[0:3], 0 offen offset:4
	buffer_load_dword v60, off, s[0:3], 0 offset:8
	v_mov_b32_e32 v61, 0
	ds_read_b32 v62, v56 offset:4
	ds_read_b32 v61, v61 offset:120
	s_waitcnt vmcnt(1) lgkmcnt(1)
	v_fmac_f32_e32 v58, v59, v62
	s_waitcnt vmcnt(0) lgkmcnt(0)
	v_fma_f32 v59, v60, v61, v58
	v_cndmask_b32_e64 v58, v58, v59, s[6:7]
.LBB90_279:
	s_or_b64 exec, exec, s[10:11]
	v_mov_b32_e32 v59, 0
	ds_read_b32 v59, v59 offset:12
	s_waitcnt lgkmcnt(0)
	v_mul_f32_e32 v58, v58, v59
	buffer_store_dword v58, off, s[0:3], 0 offset:12
.LBB90_280:
	s_or_b64 exec, exec, s[8:9]
	buffer_load_dword v58, off, s[0:3], 0 offset:16
	v_cmp_gt_u32_e32 vcc, 4, v0
	s_waitcnt vmcnt(0)
	ds_write_b32 v56, v58
	s_waitcnt lgkmcnt(0)
	; wave barrier
	s_waitcnt lgkmcnt(0)
	s_and_saveexec_b64 s[6:7], vcc
	s_cbranch_execz .LBB90_290
; %bb.281:
	s_and_b64 vcc, exec, s[4:5]
	s_cbranch_vccnz .LBB90_283
; %bb.282:
	buffer_load_dword v58, v57, s[0:3], 0 offen
	ds_read_b32 v59, v56
	s_waitcnt vmcnt(0) lgkmcnt(0)
	v_mul_f32_e32 v58, v58, v59
	s_cbranch_execz .LBB90_284
	s_branch .LBB90_285
.LBB90_283:
                                        ; implicit-def: $vgpr58
.LBB90_284:
	ds_read_b32 v58, v56
.LBB90_285:
	v_cmp_ne_u32_e32 vcc, 3, v0
	s_and_saveexec_b64 s[8:9], vcc
	s_cbranch_execz .LBB90_289
; %bb.286:
	v_mov_b32_e32 v60, 0
	v_add_u32_e32 v59, 0x74, v1
	v_add3_u32 v60, v1, v60, 4
	s_mov_b64 s[10:11], 0
	v_mov_b32_e32 v61, v0
.LBB90_287:                             ; =>This Inner Loop Header: Depth=1
	buffer_load_dword v62, v60, s[0:3], 0 offen
	ds_read_b32 v63, v59
	v_add_u32_e32 v61, 1, v61
	v_cmp_lt_u32_e32 vcc, 2, v61
	v_add_u32_e32 v59, 4, v59
	v_add_u32_e32 v60, 4, v60
	s_or_b64 s[10:11], vcc, s[10:11]
	s_waitcnt vmcnt(0) lgkmcnt(0)
	v_fmac_f32_e32 v58, v62, v63
	s_andn2_b64 exec, exec, s[10:11]
	s_cbranch_execnz .LBB90_287
; %bb.288:
	s_or_b64 exec, exec, s[10:11]
.LBB90_289:
	s_or_b64 exec, exec, s[8:9]
	v_mov_b32_e32 v59, 0
	ds_read_b32 v59, v59 offset:16
	s_waitcnt lgkmcnt(0)
	v_mul_f32_e32 v58, v58, v59
	buffer_store_dword v58, off, s[0:3], 0 offset:16
.LBB90_290:
	s_or_b64 exec, exec, s[6:7]
	buffer_load_dword v58, off, s[0:3], 0 offset:20
	v_cmp_gt_u32_e32 vcc, 5, v0
	s_waitcnt vmcnt(0)
	ds_write_b32 v56, v58
	s_waitcnt lgkmcnt(0)
	; wave barrier
	s_waitcnt lgkmcnt(0)
	s_and_saveexec_b64 s[6:7], vcc
	s_cbranch_execz .LBB90_300
; %bb.291:
	s_and_b64 vcc, exec, s[4:5]
	s_cbranch_vccnz .LBB90_293
; %bb.292:
	buffer_load_dword v58, v57, s[0:3], 0 offen
	ds_read_b32 v59, v56
	s_waitcnt vmcnt(0) lgkmcnt(0)
	v_mul_f32_e32 v58, v58, v59
	s_cbranch_execz .LBB90_294
	s_branch .LBB90_295
.LBB90_293:
                                        ; implicit-def: $vgpr58
.LBB90_294:
	ds_read_b32 v58, v56
.LBB90_295:
	v_cmp_ne_u32_e32 vcc, 4, v0
	s_and_saveexec_b64 s[8:9], vcc
	s_cbranch_execz .LBB90_299
; %bb.296:
	v_mov_b32_e32 v60, 0
	v_add_u32_e32 v59, 0x74, v1
	v_add3_u32 v60, v1, v60, 4
	s_mov_b64 s[10:11], 0
	v_mov_b32_e32 v61, v0
.LBB90_297:                             ; =>This Inner Loop Header: Depth=1
	buffer_load_dword v62, v60, s[0:3], 0 offen
	ds_read_b32 v63, v59
	v_add_u32_e32 v61, 1, v61
	v_cmp_lt_u32_e32 vcc, 3, v61
	v_add_u32_e32 v59, 4, v59
	v_add_u32_e32 v60, 4, v60
	s_or_b64 s[10:11], vcc, s[10:11]
	s_waitcnt vmcnt(0) lgkmcnt(0)
	v_fmac_f32_e32 v58, v62, v63
	s_andn2_b64 exec, exec, s[10:11]
	s_cbranch_execnz .LBB90_297
; %bb.298:
	s_or_b64 exec, exec, s[10:11]
.LBB90_299:
	s_or_b64 exec, exec, s[8:9]
	v_mov_b32_e32 v59, 0
	ds_read_b32 v59, v59 offset:20
	s_waitcnt lgkmcnt(0)
	v_mul_f32_e32 v58, v58, v59
	buffer_store_dword v58, off, s[0:3], 0 offset:20
.LBB90_300:
	;; [unrolled: 56-line block ×21, first 2 shown]
	s_or_b64 exec, exec, s[6:7]
	buffer_load_dword v58, off, s[0:3], 0 offset:100
	v_cmp_gt_u32_e64 s[6:7], 25, v0
	s_waitcnt vmcnt(0)
	ds_write_b32 v56, v58
	s_waitcnt lgkmcnt(0)
	; wave barrier
	s_waitcnt lgkmcnt(0)
	s_and_saveexec_b64 s[8:9], s[6:7]
	s_cbranch_execz .LBB90_500
; %bb.491:
	s_and_b64 vcc, exec, s[4:5]
	s_cbranch_vccnz .LBB90_493
; %bb.492:
	buffer_load_dword v58, v57, s[0:3], 0 offen
	ds_read_b32 v59, v56
	s_waitcnt vmcnt(0) lgkmcnt(0)
	v_mul_f32_e32 v58, v58, v59
	s_cbranch_execz .LBB90_494
	s_branch .LBB90_495
.LBB90_493:
                                        ; implicit-def: $vgpr58
.LBB90_494:
	ds_read_b32 v58, v56
.LBB90_495:
	v_cmp_ne_u32_e32 vcc, 24, v0
	s_and_saveexec_b64 s[10:11], vcc
	s_cbranch_execz .LBB90_499
; %bb.496:
	v_mov_b32_e32 v60, 0
	v_add_u32_e32 v59, 0x74, v1
	v_add3_u32 v60, v1, v60, 4
	s_mov_b64 s[12:13], 0
	v_mov_b32_e32 v61, v0
.LBB90_497:                             ; =>This Inner Loop Header: Depth=1
	buffer_load_dword v62, v60, s[0:3], 0 offen
	ds_read_b32 v63, v59
	v_add_u32_e32 v61, 1, v61
	v_cmp_lt_u32_e32 vcc, 23, v61
	v_add_u32_e32 v59, 4, v59
	v_add_u32_e32 v60, 4, v60
	s_or_b64 s[12:13], vcc, s[12:13]
	s_waitcnt vmcnt(0) lgkmcnt(0)
	v_fmac_f32_e32 v58, v62, v63
	s_andn2_b64 exec, exec, s[12:13]
	s_cbranch_execnz .LBB90_497
; %bb.498:
	s_or_b64 exec, exec, s[12:13]
.LBB90_499:
	s_or_b64 exec, exec, s[10:11]
	v_mov_b32_e32 v59, 0
	ds_read_b32 v59, v59 offset:100
	s_waitcnt lgkmcnt(0)
	v_mul_f32_e32 v58, v58, v59
	buffer_store_dword v58, off, s[0:3], 0 offset:100
.LBB90_500:
	s_or_b64 exec, exec, s[8:9]
	buffer_load_dword v58, off, s[0:3], 0 offset:104
	v_cmp_ne_u32_e32 vcc, 26, v0
	s_waitcnt vmcnt(0)
	ds_write_b32 v56, v58
	s_waitcnt lgkmcnt(0)
	; wave barrier
	s_waitcnt lgkmcnt(0)
	s_and_saveexec_b64 s[8:9], vcc
	s_cbranch_execz .LBB90_510
; %bb.501:
	s_and_b64 vcc, exec, s[4:5]
	s_cbranch_vccnz .LBB90_503
; %bb.502:
	buffer_load_dword v57, v57, s[0:3], 0 offen
	ds_read_b32 v58, v56
	s_waitcnt vmcnt(0) lgkmcnt(0)
	v_mul_f32_e32 v57, v57, v58
	s_cbranch_execz .LBB90_504
	s_branch .LBB90_505
.LBB90_503:
                                        ; implicit-def: $vgpr57
.LBB90_504:
	ds_read_b32 v57, v56
.LBB90_505:
	s_and_saveexec_b64 s[4:5], s[6:7]
	s_cbranch_execz .LBB90_509
; %bb.506:
	v_mov_b32_e32 v58, 0
	v_add_u32_e32 v56, 0x74, v1
	v_add3_u32 v1, v1, v58, 4
	s_mov_b64 s[6:7], 0
.LBB90_507:                             ; =>This Inner Loop Header: Depth=1
	buffer_load_dword v58, v1, s[0:3], 0 offen
	ds_read_b32 v59, v56
	v_add_u32_e32 v0, 1, v0
	v_cmp_lt_u32_e32 vcc, 24, v0
	v_add_u32_e32 v56, 4, v56
	v_add_u32_e32 v1, 4, v1
	s_or_b64 s[6:7], vcc, s[6:7]
	s_waitcnt vmcnt(0) lgkmcnt(0)
	v_fmac_f32_e32 v57, v58, v59
	s_andn2_b64 exec, exec, s[6:7]
	s_cbranch_execnz .LBB90_507
; %bb.508:
	s_or_b64 exec, exec, s[6:7]
.LBB90_509:
	s_or_b64 exec, exec, s[4:5]
	v_mov_b32_e32 v0, 0
	ds_read_b32 v0, v0 offset:104
	s_waitcnt lgkmcnt(0)
	v_mul_f32_e32 v0, v57, v0
	buffer_store_dword v0, off, s[0:3], 0 offset:104
.LBB90_510:
	s_or_b64 exec, exec, s[8:9]
.LBB90_511:
	buffer_load_dword v0, off, s[0:3], 0
	buffer_load_dword v1, off, s[0:3], 0 offset:4
	buffer_load_dword v56, off, s[0:3], 0 offset:8
	;; [unrolled: 1-line block ×15, first 2 shown]
	s_waitcnt vmcnt(15)
	global_store_dword v[2:3], v0, off
	buffer_load_dword v0, off, s[0:3], 0 offset:64
	s_nop 0
	buffer_load_dword v2, off, s[0:3], 0 offset:68
	buffer_load_dword v3, off, s[0:3], 0 offset:72
	;; [unrolled: 1-line block ×7, first 2 shown]
	s_waitcnt vmcnt(23)
	global_store_dword v[8:9], v1, off
	buffer_load_dword v1, off, s[0:3], 0 offset:96
	s_nop 0
	buffer_load_dword v8, off, s[0:3], 0 offset:100
	buffer_load_dword v9, off, s[0:3], 0 offset:104
	s_waitcnt vmcnt(26)
	global_store_dword v[4:5], v56, off
	s_waitcnt vmcnt(26)
	global_store_dword v[6:7], v57, off
	;; [unrolled: 2-line block ×25, first 2 shown]
.LBB90_512:
	s_endpgm
	.section	.rodata,"a",@progbits
	.p2align	6, 0x0
	.amdhsa_kernel _ZN9rocsolver6v33100L18trti2_kernel_smallILi27EfPKPfEEv13rocblas_fill_17rocblas_diagonal_T1_iil
		.amdhsa_group_segment_fixed_size 220
		.amdhsa_private_segment_fixed_size 112
		.amdhsa_kernarg_size 32
		.amdhsa_user_sgpr_count 8
		.amdhsa_user_sgpr_private_segment_buffer 1
		.amdhsa_user_sgpr_dispatch_ptr 0
		.amdhsa_user_sgpr_queue_ptr 0
		.amdhsa_user_sgpr_kernarg_segment_ptr 1
		.amdhsa_user_sgpr_dispatch_id 0
		.amdhsa_user_sgpr_flat_scratch_init 1
		.amdhsa_user_sgpr_kernarg_preload_length 0
		.amdhsa_user_sgpr_kernarg_preload_offset 0
		.amdhsa_user_sgpr_private_segment_size 0
		.amdhsa_uses_dynamic_stack 0
		.amdhsa_system_sgpr_private_segment_wavefront_offset 1
		.amdhsa_system_sgpr_workgroup_id_x 1
		.amdhsa_system_sgpr_workgroup_id_y 0
		.amdhsa_system_sgpr_workgroup_id_z 0
		.amdhsa_system_sgpr_workgroup_info 0
		.amdhsa_system_vgpr_workitem_id 0
		.amdhsa_next_free_vgpr 76
		.amdhsa_next_free_sgpr 16
		.amdhsa_accum_offset 76
		.amdhsa_reserve_vcc 1
		.amdhsa_reserve_flat_scratch 0
		.amdhsa_float_round_mode_32 0
		.amdhsa_float_round_mode_16_64 0
		.amdhsa_float_denorm_mode_32 3
		.amdhsa_float_denorm_mode_16_64 3
		.amdhsa_dx10_clamp 1
		.amdhsa_ieee_mode 1
		.amdhsa_fp16_overflow 0
		.amdhsa_tg_split 0
		.amdhsa_exception_fp_ieee_invalid_op 0
		.amdhsa_exception_fp_denorm_src 0
		.amdhsa_exception_fp_ieee_div_zero 0
		.amdhsa_exception_fp_ieee_overflow 0
		.amdhsa_exception_fp_ieee_underflow 0
		.amdhsa_exception_fp_ieee_inexact 0
		.amdhsa_exception_int_div_zero 0
	.end_amdhsa_kernel
	.section	.text._ZN9rocsolver6v33100L18trti2_kernel_smallILi27EfPKPfEEv13rocblas_fill_17rocblas_diagonal_T1_iil,"axG",@progbits,_ZN9rocsolver6v33100L18trti2_kernel_smallILi27EfPKPfEEv13rocblas_fill_17rocblas_diagonal_T1_iil,comdat
.Lfunc_end90:
	.size	_ZN9rocsolver6v33100L18trti2_kernel_smallILi27EfPKPfEEv13rocblas_fill_17rocblas_diagonal_T1_iil, .Lfunc_end90-_ZN9rocsolver6v33100L18trti2_kernel_smallILi27EfPKPfEEv13rocblas_fill_17rocblas_diagonal_T1_iil
                                        ; -- End function
	.section	.AMDGPU.csdata,"",@progbits
; Kernel info:
; codeLenInByte = 13044
; NumSgprs: 20
; NumVgprs: 76
; NumAgprs: 0
; TotalNumVgprs: 76
; ScratchSize: 112
; MemoryBound: 0
; FloatMode: 240
; IeeeMode: 1
; LDSByteSize: 220 bytes/workgroup (compile time only)
; SGPRBlocks: 2
; VGPRBlocks: 9
; NumSGPRsForWavesPerEU: 20
; NumVGPRsForWavesPerEU: 76
; AccumOffset: 76
; Occupancy: 6
; WaveLimiterHint : 1
; COMPUTE_PGM_RSRC2:SCRATCH_EN: 1
; COMPUTE_PGM_RSRC2:USER_SGPR: 8
; COMPUTE_PGM_RSRC2:TRAP_HANDLER: 0
; COMPUTE_PGM_RSRC2:TGID_X_EN: 1
; COMPUTE_PGM_RSRC2:TGID_Y_EN: 0
; COMPUTE_PGM_RSRC2:TGID_Z_EN: 0
; COMPUTE_PGM_RSRC2:TIDIG_COMP_CNT: 0
; COMPUTE_PGM_RSRC3_GFX90A:ACCUM_OFFSET: 18
; COMPUTE_PGM_RSRC3_GFX90A:TG_SPLIT: 0
	.section	.text._ZN9rocsolver6v33100L18trti2_kernel_smallILi28EfPKPfEEv13rocblas_fill_17rocblas_diagonal_T1_iil,"axG",@progbits,_ZN9rocsolver6v33100L18trti2_kernel_smallILi28EfPKPfEEv13rocblas_fill_17rocblas_diagonal_T1_iil,comdat
	.globl	_ZN9rocsolver6v33100L18trti2_kernel_smallILi28EfPKPfEEv13rocblas_fill_17rocblas_diagonal_T1_iil ; -- Begin function _ZN9rocsolver6v33100L18trti2_kernel_smallILi28EfPKPfEEv13rocblas_fill_17rocblas_diagonal_T1_iil
	.p2align	8
	.type	_ZN9rocsolver6v33100L18trti2_kernel_smallILi28EfPKPfEEv13rocblas_fill_17rocblas_diagonal_T1_iil,@function
_ZN9rocsolver6v33100L18trti2_kernel_smallILi28EfPKPfEEv13rocblas_fill_17rocblas_diagonal_T1_iil: ; @_ZN9rocsolver6v33100L18trti2_kernel_smallILi28EfPKPfEEv13rocblas_fill_17rocblas_diagonal_T1_iil
; %bb.0:
	s_add_u32 s0, s0, s9
	s_addc_u32 s1, s1, 0
	v_cmp_gt_u32_e32 vcc, 28, v0
	s_and_saveexec_b64 s[6:7], vcc
	s_cbranch_execz .LBB91_532
; %bb.1:
	s_load_dwordx2 s[6:7], s[4:5], 0x10
	s_load_dwordx4 s[12:15], s[4:5], 0x0
	s_ashr_i32 s9, s8, 31
	s_lshl_b64 s[4:5], s[8:9], 3
	v_lshlrev_b32_e32 v1, 2, v0
	s_waitcnt lgkmcnt(0)
	s_ashr_i32 s9, s6, 31
	s_add_u32 s4, s14, s4
	s_addc_u32 s5, s15, s5
	s_load_dwordx2 s[4:5], s[4:5], 0x0
	s_mov_b32 s8, s6
	s_lshl_b64 s[8:9], s[8:9], 2
	s_waitcnt lgkmcnt(0)
	s_add_u32 s4, s4, s8
	s_addc_u32 s5, s5, s9
	s_add_i32 s6, s7, s7
	v_add_u32_e32 v6, s6, v0
	v_mov_b32_e32 v3, s5
	v_add_co_u32_e32 v2, vcc, s4, v1
	v_ashrrev_i32_e32 v7, 31, v6
	v_addc_co_u32_e32 v3, vcc, 0, v3, vcc
	v_lshlrev_b64 v[4:5], 2, v[6:7]
	v_add_u32_e32 v8, s7, v6
	v_mov_b32_e32 v7, s5
	v_add_co_u32_e32 v4, vcc, s4, v4
	v_ashrrev_i32_e32 v9, 31, v8
	v_addc_co_u32_e32 v5, vcc, v7, v5, vcc
	v_lshlrev_b64 v[6:7], 2, v[8:9]
	;; [unrolled: 6-line block ×17, first 2 shown]
	s_ashr_i32 s9, s7, 31
	s_mov_b32 s8, s7
	v_mov_b32_e32 v39, s5
	v_add_co_u32_e32 v36, vcc, s4, v36
	v_add_u32_e32 v40, s7, v38
	s_lshl_b64 s[8:9], s[8:9], 2
	v_addc_co_u32_e32 v37, vcc, v39, v37, vcc
	v_ashrrev_i32_e32 v41, 31, v40
	v_lshlrev_b64 v[38:39], 2, v[40:41]
	v_mov_b32_e32 v41, s9
	v_add_co_u32_e32 v46, vcc, s8, v2
	v_addc_co_u32_e32 v47, vcc, v3, v41, vcc
	global_load_dword v58, v1, s[4:5]
	global_load_dword v59, v[46:47], off
	global_load_dword v60, v[4:5], off
	;; [unrolled: 1-line block ×9, first 2 shown]
	v_add_u32_e32 v42, s7, v40
	v_mov_b32_e32 v41, s5
	v_add_co_u32_e32 v38, vcc, s4, v38
	v_ashrrev_i32_e32 v43, 31, v42
	v_addc_co_u32_e32 v39, vcc, v41, v39, vcc
	v_lshlrev_b64 v[40:41], 2, v[42:43]
	v_add_u32_e32 v44, s7, v42
	v_mov_b32_e32 v43, s5
	v_add_co_u32_e32 v40, vcc, s4, v40
	v_ashrrev_i32_e32 v45, 31, v44
	v_addc_co_u32_e32 v41, vcc, v43, v41, vcc
	v_lshlrev_b64 v[42:43], 2, v[44:45]
	;; [unrolled: 6-line block ×7, first 2 shown]
	v_mov_b32_e32 v57, s5
	v_add_co_u32_e32 v54, vcc, s4, v54
	v_add_u32_e32 v56, s7, v56
	v_addc_co_u32_e32 v55, vcc, v57, v55, vcc
	v_ashrrev_i32_e32 v57, 31, v56
	v_lshlrev_b64 v[56:57], 2, v[56:57]
	v_mov_b32_e32 v68, s5
	v_add_co_u32_e32 v56, vcc, s4, v56
	v_addc_co_u32_e32 v57, vcc, v68, v57, vcc
	global_load_dword v68, v[56:57], off
	s_waitcnt vmcnt(10)
	buffer_store_dword v58, off, s[0:3], 0
	s_waitcnt vmcnt(10)
	buffer_store_dword v59, off, s[0:3], 0 offset:4
	s_waitcnt vmcnt(10)
	buffer_store_dword v60, off, s[0:3], 0 offset:8
	;; [unrolled: 2-line block ×4, first 2 shown]
	global_load_dword v58, v[24:25], off
	global_load_dword v59, v[26:27], off
	;; [unrolled: 1-line block ×4, first 2 shown]
	s_nop 0
	global_load_dword v62, v[32:33], off
	global_load_dword v69, v[22:23], off
	;; [unrolled: 1-line block ×3, first 2 shown]
	s_waitcnt vmcnt(17)
	buffer_store_dword v63, off, s[0:3], 0 offset:20
	s_waitcnt vmcnt(17)
	buffer_store_dword v64, off, s[0:3], 0 offset:24
	;; [unrolled: 2-line block ×3, first 2 shown]
	global_load_dword v63, v[34:35], off
	global_load_dword v64, v[36:37], off
	s_nop 0
	global_load_dword v65, v[38:39], off
	global_load_dword v71, v[50:51], off
	;; [unrolled: 1-line block ×6, first 2 shown]
	s_cmpk_lg_i32 s13, 0x84
	s_waitcnt vmcnt(25)
	buffer_store_dword v66, off, s[0:3], 0 offset:32
	global_load_dword v66, v[52:53], off
	s_cselect_b64 s[8:9], -1, 0
	s_waitcnt vmcnt(26)
	buffer_store_dword v67, off, s[0:3], 0 offset:36
	global_load_dword v67, v[54:55], off
	s_waitcnt vmcnt(16)
	buffer_store_dword v69, off, s[0:3], 0 offset:44
	s_waitcnt vmcnt(16)
	buffer_store_dword v70, off, s[0:3], 0 offset:40
	buffer_store_dword v58, off, s[0:3], 0 offset:48
	;; [unrolled: 1-line block ×6, first 2 shown]
	s_waitcnt vmcnt(18)
	buffer_store_dword v63, off, s[0:3], 0 offset:68
	s_waitcnt vmcnt(18)
	buffer_store_dword v64, off, s[0:3], 0 offset:72
	;; [unrolled: 2-line block ×6, first 2 shown]
	buffer_store_dword v72, off, s[0:3], 0 offset:88
	s_waitcnt vmcnt(16)
	buffer_store_dword v66, off, s[0:3], 0 offset:100
	buffer_store_dword v71, off, s[0:3], 0 offset:96
	;; [unrolled: 1-line block ×3, first 2 shown]
	v_mov_b32_e32 v71, 0
	s_cmpk_eq_i32 s13, 0x84
	v_mov_b32_e32 v58, -1.0
	s_waitcnt vmcnt(17)
	buffer_store_dword v67, off, s[0:3], 0 offset:104
	s_cbranch_scc1 .LBB91_3
; %bb.2:
	v_lshl_add_u32 v58, v0, 2, v71
	buffer_load_dword v59, v58, s[0:3], 0 offen
	s_waitcnt vmcnt(0)
	v_div_scale_f32 v60, s[4:5], v59, v59, 1.0
	v_rcp_f32_e32 v61, v60
	v_div_scale_f32 v62, vcc, 1.0, v59, 1.0
	v_fma_f32 v63, -v60, v61, 1.0
	v_fmac_f32_e32 v61, v63, v61
	v_mul_f32_e32 v63, v62, v61
	v_fma_f32 v64, -v60, v63, v62
	v_fmac_f32_e32 v63, v64, v61
	v_fma_f32 v60, -v60, v63, v62
	v_div_fmas_f32 v60, v60, v61, v63
	v_div_fixup_f32 v59, v60, v59, 1.0
	buffer_store_dword v59, v58, s[0:3], 0 offen
	v_xor_b32_e32 v58, 0x80000000, v59
.LBB91_3:
	ds_write_b32 v1, v58
	s_cmpk_eq_i32 s12, 0x79
	v_add_u32_e32 v58, 0x70, v1
	v_add_u32_e32 v59, 0, v1
	s_mov_b64 s[4:5], -1
	s_cbranch_scc1 .LBB91_267
; %bb.4:
	buffer_load_dword v60, off, s[0:3], 0 offset:104
	v_cmp_eq_u32_e64 s[4:5], 27, v0
	s_waitcnt vmcnt(0)
	ds_write_b32 v58, v60
	s_waitcnt lgkmcnt(0)
	; wave barrier
	s_waitcnt lgkmcnt(0)
	s_and_saveexec_b64 s[6:7], s[4:5]
	s_cbranch_execz .LBB91_10
; %bb.5:
	s_and_b64 vcc, exec, s[8:9]
	s_cbranch_vccz .LBB91_7
; %bb.6:
	buffer_load_dword v60, v59, s[0:3], 0 offen
	ds_read_b32 v61, v58
	s_waitcnt vmcnt(0) lgkmcnt(0)
	v_mul_f32_e32 v60, v60, v61
	s_cbranch_execz .LBB91_8
	s_branch .LBB91_9
.LBB91_7:
                                        ; implicit-def: $vgpr60
.LBB91_8:
	ds_read_b32 v60, v58
.LBB91_9:
	v_mov_b32_e32 v61, 0
	ds_read_b32 v61, v61 offset:104
	s_waitcnt lgkmcnt(0)
	v_mul_f32_e32 v60, v60, v61
	buffer_store_dword v60, off, s[0:3], 0 offset:104
.LBB91_10:
	s_or_b64 exec, exec, s[6:7]
	buffer_load_dword v72, off, s[0:3], 0 offset:100
	v_or_b32_e32 v60, 8, v71
	v_add_u32_e32 v61, 16, v71
	v_add_u32_e32 v62, 24, v71
	;; [unrolled: 1-line block ×11, first 2 shown]
	v_cmp_lt_u32_e64 s[6:7], 25, v0
	s_waitcnt vmcnt(0)
	ds_write_b32 v58, v72
	s_waitcnt lgkmcnt(0)
	; wave barrier
	s_waitcnt lgkmcnt(0)
	s_and_saveexec_b64 s[10:11], s[6:7]
	s_cbranch_execz .LBB91_16
; %bb.11:
	s_andn2_b64 vcc, exec, s[8:9]
	s_cbranch_vccnz .LBB91_13
; %bb.12:
	buffer_load_dword v72, v59, s[0:3], 0 offen
	ds_read_b32 v73, v58
	s_waitcnt vmcnt(0) lgkmcnt(0)
	v_mul_f32_e32 v72, v72, v73
	s_cbranch_execz .LBB91_14
	s_branch .LBB91_15
.LBB91_13:
                                        ; implicit-def: $vgpr72
.LBB91_14:
	ds_read_b32 v72, v58
.LBB91_15:
	buffer_load_dword v73, off, s[0:3], 0 offset:104
	v_mov_b32_e32 v74, 0
	ds_read2_b32 v[74:75], v74 offset0:25 offset1:54
	s_waitcnt vmcnt(0) lgkmcnt(0)
	v_fma_f32 v73, v73, v75, v72
	v_cndmask_b32_e64 v72, v72, v73, s[4:5]
	v_mul_f32_e32 v72, v72, v74
	buffer_store_dword v72, off, s[0:3], 0 offset:100
.LBB91_16:
	s_or_b64 exec, exec, s[10:11]
	buffer_load_dword v72, off, s[0:3], 0 offset:96
	v_cmp_lt_u32_e64 s[4:5], 24, v0
	s_waitcnt vmcnt(0)
	ds_write_b32 v58, v72
	s_waitcnt lgkmcnt(0)
	; wave barrier
	s_waitcnt lgkmcnt(0)
	s_and_saveexec_b64 s[10:11], s[4:5]
	s_cbranch_execz .LBB91_26
; %bb.17:
	s_andn2_b64 vcc, exec, s[8:9]
	s_cbranch_vccnz .LBB91_19
; %bb.18:
	buffer_load_dword v72, v59, s[0:3], 0 offen
	ds_read_b32 v73, v58
	s_waitcnt vmcnt(0) lgkmcnt(0)
	v_mul_f32_e32 v72, v72, v73
	s_cbranch_execz .LBB91_20
	s_branch .LBB91_21
.LBB91_19:
                                        ; implicit-def: $vgpr72
.LBB91_20:
	ds_read_b32 v72, v58
.LBB91_21:
	s_and_saveexec_b64 s[12:13], s[6:7]
	s_cbranch_execz .LBB91_25
; %bb.22:
	v_mov_b32_e32 v73, 0
	v_add_u32_e32 v73, 0x64, v73
	v_subrev_u32_e32 v74, 25, v0
	s_movk_i32 s14, 0xd4
	s_mov_b64 s[6:7], 0
.LBB91_23:                              ; =>This Inner Loop Header: Depth=1
	buffer_load_dword v75, v73, s[0:3], 0 offen
	v_mov_b32_e32 v76, s14
	ds_read_b32 v76, v76
	v_add_u32_e32 v74, -1, v74
	s_add_i32 s14, s14, 4
	v_cmp_eq_u32_e32 vcc, 0, v74
	v_add_u32_e32 v73, 4, v73
	s_or_b64 s[6:7], vcc, s[6:7]
	s_waitcnt vmcnt(0) lgkmcnt(0)
	v_fmac_f32_e32 v72, v75, v76
	s_andn2_b64 exec, exec, s[6:7]
	s_cbranch_execnz .LBB91_23
; %bb.24:
	s_or_b64 exec, exec, s[6:7]
.LBB91_25:
	s_or_b64 exec, exec, s[12:13]
	v_mov_b32_e32 v73, 0
	ds_read_b32 v73, v73 offset:96
	s_waitcnt lgkmcnt(0)
	v_mul_f32_e32 v72, v72, v73
	buffer_store_dword v72, off, s[0:3], 0 offset:96
.LBB91_26:
	s_or_b64 exec, exec, s[10:11]
	buffer_load_dword v72, off, s[0:3], 0 offset:92
	v_cmp_lt_u32_e64 s[6:7], 23, v0
	s_waitcnt vmcnt(0)
	ds_write_b32 v58, v72
	s_waitcnt lgkmcnt(0)
	; wave barrier
	s_waitcnt lgkmcnt(0)
	s_and_saveexec_b64 s[10:11], s[6:7]
	s_cbranch_execz .LBB91_36
; %bb.27:
	s_andn2_b64 vcc, exec, s[8:9]
	s_cbranch_vccnz .LBB91_29
; %bb.28:
	buffer_load_dword v72, v59, s[0:3], 0 offen
	ds_read_b32 v73, v58
	s_waitcnt vmcnt(0) lgkmcnt(0)
	v_mul_f32_e32 v72, v72, v73
	s_cbranch_execz .LBB91_30
	s_branch .LBB91_31
.LBB91_29:
                                        ; implicit-def: $vgpr72
.LBB91_30:
	ds_read_b32 v72, v58
.LBB91_31:
	s_and_saveexec_b64 s[12:13], s[4:5]
	s_cbranch_execz .LBB91_35
; %bb.32:
	v_subrev_u32_e32 v73, 24, v0
	s_movk_i32 s14, 0xd0
	s_mov_b64 s[4:5], 0
.LBB91_33:                              ; =>This Inner Loop Header: Depth=1
	buffer_load_dword v74, v71, s[0:3], 0 offen
	v_mov_b32_e32 v75, s14
	ds_read_b32 v75, v75
	v_add_u32_e32 v73, -1, v73
	s_add_i32 s14, s14, 4
	v_cmp_eq_u32_e32 vcc, 0, v73
	v_add_u32_e32 v71, 4, v71
	s_or_b64 s[4:5], vcc, s[4:5]
	s_waitcnt vmcnt(0) lgkmcnt(0)
	v_fmac_f32_e32 v72, v74, v75
	s_andn2_b64 exec, exec, s[4:5]
	s_cbranch_execnz .LBB91_33
; %bb.34:
	s_or_b64 exec, exec, s[4:5]
.LBB91_35:
	s_or_b64 exec, exec, s[12:13]
	v_mov_b32_e32 v71, 0
	ds_read_b32 v71, v71 offset:92
	s_waitcnt lgkmcnt(0)
	v_mul_f32_e32 v71, v72, v71
	buffer_store_dword v71, off, s[0:3], 0 offset:92
.LBB91_36:
	s_or_b64 exec, exec, s[10:11]
	buffer_load_dword v71, off, s[0:3], 0 offset:88
	v_cmp_lt_u32_e64 s[4:5], 22, v0
	s_waitcnt vmcnt(0)
	ds_write_b32 v58, v71
	s_waitcnt lgkmcnt(0)
	; wave barrier
	s_waitcnt lgkmcnt(0)
	s_and_saveexec_b64 s[10:11], s[4:5]
	s_cbranch_execz .LBB91_46
; %bb.37:
	s_andn2_b64 vcc, exec, s[8:9]
	s_cbranch_vccnz .LBB91_39
; %bb.38:
	buffer_load_dword v71, v59, s[0:3], 0 offen
	ds_read_b32 v72, v58
	s_waitcnt vmcnt(0) lgkmcnt(0)
	v_mul_f32_e32 v71, v71, v72
	s_cbranch_execz .LBB91_40
	s_branch .LBB91_41
.LBB91_39:
                                        ; implicit-def: $vgpr71
.LBB91_40:
	ds_read_b32 v71, v58
.LBB91_41:
	s_and_saveexec_b64 s[12:13], s[6:7]
	s_cbranch_execz .LBB91_45
; %bb.42:
	v_mov_b32_e32 v72, 0
	v_add_u32_e32 v72, 0x5c, v72
	v_subrev_u32_e32 v73, 23, v0
	s_movk_i32 s14, 0xcc
	s_mov_b64 s[6:7], 0
.LBB91_43:                              ; =>This Inner Loop Header: Depth=1
	buffer_load_dword v74, v72, s[0:3], 0 offen
	v_mov_b32_e32 v75, s14
	ds_read_b32 v75, v75
	v_add_u32_e32 v73, -1, v73
	s_add_i32 s14, s14, 4
	v_cmp_eq_u32_e32 vcc, 0, v73
	v_add_u32_e32 v72, 4, v72
	s_or_b64 s[6:7], vcc, s[6:7]
	s_waitcnt vmcnt(0) lgkmcnt(0)
	v_fmac_f32_e32 v71, v74, v75
	s_andn2_b64 exec, exec, s[6:7]
	s_cbranch_execnz .LBB91_43
; %bb.44:
	s_or_b64 exec, exec, s[6:7]
.LBB91_45:
	s_or_b64 exec, exec, s[12:13]
	v_mov_b32_e32 v72, 0
	ds_read_b32 v72, v72 offset:88
	s_waitcnt lgkmcnt(0)
	v_mul_f32_e32 v71, v71, v72
	buffer_store_dword v71, off, s[0:3], 0 offset:88
.LBB91_46:
	s_or_b64 exec, exec, s[10:11]
	buffer_load_dword v71, off, s[0:3], 0 offset:84
	v_cmp_lt_u32_e64 s[6:7], 21, v0
	s_waitcnt vmcnt(0)
	ds_write_b32 v58, v71
	s_waitcnt lgkmcnt(0)
	; wave barrier
	s_waitcnt lgkmcnt(0)
	s_and_saveexec_b64 s[10:11], s[6:7]
	s_cbranch_execz .LBB91_56
; %bb.47:
	s_andn2_b64 vcc, exec, s[8:9]
	s_cbranch_vccnz .LBB91_49
; %bb.48:
	buffer_load_dword v71, v59, s[0:3], 0 offen
	ds_read_b32 v72, v58
	s_waitcnt vmcnt(0) lgkmcnt(0)
	v_mul_f32_e32 v71, v71, v72
	s_cbranch_execz .LBB91_50
	s_branch .LBB91_51
.LBB91_49:
                                        ; implicit-def: $vgpr71
.LBB91_50:
	ds_read_b32 v71, v58
.LBB91_51:
	s_and_saveexec_b64 s[12:13], s[4:5]
	s_cbranch_execz .LBB91_55
; %bb.52:
	v_subrev_u32_e32 v72, 22, v0
	s_movk_i32 s14, 0xc8
	s_mov_b64 s[4:5], 0
.LBB91_53:                              ; =>This Inner Loop Header: Depth=1
	buffer_load_dword v73, v70, s[0:3], 0 offen
	v_mov_b32_e32 v74, s14
	ds_read_b32 v74, v74
	v_add_u32_e32 v72, -1, v72
	s_add_i32 s14, s14, 4
	v_cmp_eq_u32_e32 vcc, 0, v72
	v_add_u32_e32 v70, 4, v70
	s_or_b64 s[4:5], vcc, s[4:5]
	s_waitcnt vmcnt(0) lgkmcnt(0)
	v_fmac_f32_e32 v71, v73, v74
	s_andn2_b64 exec, exec, s[4:5]
	s_cbranch_execnz .LBB91_53
; %bb.54:
	s_or_b64 exec, exec, s[4:5]
.LBB91_55:
	s_or_b64 exec, exec, s[12:13]
	v_mov_b32_e32 v70, 0
	ds_read_b32 v70, v70 offset:84
	s_waitcnt lgkmcnt(0)
	v_mul_f32_e32 v70, v71, v70
	buffer_store_dword v70, off, s[0:3], 0 offset:84
.LBB91_56:
	s_or_b64 exec, exec, s[10:11]
	buffer_load_dword v70, off, s[0:3], 0 offset:80
	v_cmp_lt_u32_e64 s[4:5], 20, v0
	s_waitcnt vmcnt(0)
	ds_write_b32 v58, v70
	s_waitcnt lgkmcnt(0)
	; wave barrier
	s_waitcnt lgkmcnt(0)
	s_and_saveexec_b64 s[10:11], s[4:5]
	s_cbranch_execz .LBB91_66
; %bb.57:
	s_andn2_b64 vcc, exec, s[8:9]
	s_cbranch_vccnz .LBB91_59
; %bb.58:
	buffer_load_dword v70, v59, s[0:3], 0 offen
	ds_read_b32 v71, v58
	s_waitcnt vmcnt(0) lgkmcnt(0)
	v_mul_f32_e32 v70, v70, v71
	s_cbranch_execz .LBB91_60
	s_branch .LBB91_61
.LBB91_59:
                                        ; implicit-def: $vgpr70
.LBB91_60:
	ds_read_b32 v70, v58
.LBB91_61:
	s_and_saveexec_b64 s[12:13], s[6:7]
	s_cbranch_execz .LBB91_65
; %bb.62:
	v_mov_b32_e32 v71, 0
	v_add_u32_e32 v71, 0x54, v71
	v_subrev_u32_e32 v72, 21, v0
	s_movk_i32 s14, 0xc4
	s_mov_b64 s[6:7], 0
.LBB91_63:                              ; =>This Inner Loop Header: Depth=1
	buffer_load_dword v73, v71, s[0:3], 0 offen
	v_mov_b32_e32 v74, s14
	ds_read_b32 v74, v74
	v_add_u32_e32 v72, -1, v72
	s_add_i32 s14, s14, 4
	v_cmp_eq_u32_e32 vcc, 0, v72
	v_add_u32_e32 v71, 4, v71
	s_or_b64 s[6:7], vcc, s[6:7]
	s_waitcnt vmcnt(0) lgkmcnt(0)
	v_fmac_f32_e32 v70, v73, v74
	s_andn2_b64 exec, exec, s[6:7]
	s_cbranch_execnz .LBB91_63
; %bb.64:
	s_or_b64 exec, exec, s[6:7]
.LBB91_65:
	s_or_b64 exec, exec, s[12:13]
	v_mov_b32_e32 v71, 0
	ds_read_b32 v71, v71 offset:80
	s_waitcnt lgkmcnt(0)
	v_mul_f32_e32 v70, v70, v71
	buffer_store_dword v70, off, s[0:3], 0 offset:80
.LBB91_66:
	s_or_b64 exec, exec, s[10:11]
	buffer_load_dword v70, off, s[0:3], 0 offset:76
	v_cmp_lt_u32_e64 s[6:7], 19, v0
	s_waitcnt vmcnt(0)
	ds_write_b32 v58, v70
	s_waitcnt lgkmcnt(0)
	; wave barrier
	s_waitcnt lgkmcnt(0)
	s_and_saveexec_b64 s[10:11], s[6:7]
	s_cbranch_execz .LBB91_76
; %bb.67:
	s_andn2_b64 vcc, exec, s[8:9]
	s_cbranch_vccnz .LBB91_69
; %bb.68:
	buffer_load_dword v70, v59, s[0:3], 0 offen
	ds_read_b32 v71, v58
	s_waitcnt vmcnt(0) lgkmcnt(0)
	v_mul_f32_e32 v70, v70, v71
	s_cbranch_execz .LBB91_70
	s_branch .LBB91_71
.LBB91_69:
                                        ; implicit-def: $vgpr70
.LBB91_70:
	ds_read_b32 v70, v58
.LBB91_71:
	s_and_saveexec_b64 s[12:13], s[4:5]
	s_cbranch_execz .LBB91_75
; %bb.72:
	v_subrev_u32_e32 v71, 20, v0
	s_movk_i32 s14, 0xc0
	s_mov_b64 s[4:5], 0
.LBB91_73:                              ; =>This Inner Loop Header: Depth=1
	buffer_load_dword v72, v69, s[0:3], 0 offen
	v_mov_b32_e32 v73, s14
	ds_read_b32 v73, v73
	v_add_u32_e32 v71, -1, v71
	s_add_i32 s14, s14, 4
	v_cmp_eq_u32_e32 vcc, 0, v71
	v_add_u32_e32 v69, 4, v69
	s_or_b64 s[4:5], vcc, s[4:5]
	s_waitcnt vmcnt(0) lgkmcnt(0)
	v_fmac_f32_e32 v70, v72, v73
	s_andn2_b64 exec, exec, s[4:5]
	s_cbranch_execnz .LBB91_73
; %bb.74:
	s_or_b64 exec, exec, s[4:5]
.LBB91_75:
	s_or_b64 exec, exec, s[12:13]
	v_mov_b32_e32 v69, 0
	ds_read_b32 v69, v69 offset:76
	s_waitcnt lgkmcnt(0)
	v_mul_f32_e32 v69, v70, v69
	buffer_store_dword v69, off, s[0:3], 0 offset:76
.LBB91_76:
	s_or_b64 exec, exec, s[10:11]
	buffer_load_dword v69, off, s[0:3], 0 offset:72
	v_cmp_lt_u32_e64 s[4:5], 18, v0
	s_waitcnt vmcnt(0)
	ds_write_b32 v58, v69
	s_waitcnt lgkmcnt(0)
	; wave barrier
	s_waitcnt lgkmcnt(0)
	s_and_saveexec_b64 s[10:11], s[4:5]
	s_cbranch_execz .LBB91_86
; %bb.77:
	s_andn2_b64 vcc, exec, s[8:9]
	s_cbranch_vccnz .LBB91_79
; %bb.78:
	buffer_load_dword v69, v59, s[0:3], 0 offen
	ds_read_b32 v70, v58
	s_waitcnt vmcnt(0) lgkmcnt(0)
	v_mul_f32_e32 v69, v69, v70
	s_cbranch_execz .LBB91_80
	s_branch .LBB91_81
.LBB91_79:
                                        ; implicit-def: $vgpr69
.LBB91_80:
	ds_read_b32 v69, v58
.LBB91_81:
	s_and_saveexec_b64 s[12:13], s[6:7]
	s_cbranch_execz .LBB91_85
; %bb.82:
	v_mov_b32_e32 v70, 0
	v_add_u32_e32 v70, 0x4c, v70
	v_subrev_u32_e32 v71, 19, v0
	s_movk_i32 s14, 0xbc
	s_mov_b64 s[6:7], 0
.LBB91_83:                              ; =>This Inner Loop Header: Depth=1
	buffer_load_dword v72, v70, s[0:3], 0 offen
	v_mov_b32_e32 v73, s14
	ds_read_b32 v73, v73
	v_add_u32_e32 v71, -1, v71
	s_add_i32 s14, s14, 4
	v_cmp_eq_u32_e32 vcc, 0, v71
	v_add_u32_e32 v70, 4, v70
	s_or_b64 s[6:7], vcc, s[6:7]
	s_waitcnt vmcnt(0) lgkmcnt(0)
	v_fmac_f32_e32 v69, v72, v73
	s_andn2_b64 exec, exec, s[6:7]
	s_cbranch_execnz .LBB91_83
; %bb.84:
	s_or_b64 exec, exec, s[6:7]
.LBB91_85:
	s_or_b64 exec, exec, s[12:13]
	v_mov_b32_e32 v70, 0
	ds_read_b32 v70, v70 offset:72
	s_waitcnt lgkmcnt(0)
	v_mul_f32_e32 v69, v69, v70
	buffer_store_dword v69, off, s[0:3], 0 offset:72
.LBB91_86:
	s_or_b64 exec, exec, s[10:11]
	buffer_load_dword v69, off, s[0:3], 0 offset:68
	v_cmp_lt_u32_e64 s[6:7], 17, v0
	s_waitcnt vmcnt(0)
	ds_write_b32 v58, v69
	s_waitcnt lgkmcnt(0)
	; wave barrier
	s_waitcnt lgkmcnt(0)
	s_and_saveexec_b64 s[10:11], s[6:7]
	s_cbranch_execz .LBB91_96
; %bb.87:
	s_andn2_b64 vcc, exec, s[8:9]
	s_cbranch_vccnz .LBB91_89
; %bb.88:
	buffer_load_dword v69, v59, s[0:3], 0 offen
	ds_read_b32 v70, v58
	s_waitcnt vmcnt(0) lgkmcnt(0)
	v_mul_f32_e32 v69, v69, v70
	s_cbranch_execz .LBB91_90
	s_branch .LBB91_91
.LBB91_89:
                                        ; implicit-def: $vgpr69
.LBB91_90:
	ds_read_b32 v69, v58
.LBB91_91:
	s_and_saveexec_b64 s[12:13], s[4:5]
	s_cbranch_execz .LBB91_95
; %bb.92:
	v_subrev_u32_e32 v70, 18, v0
	s_movk_i32 s14, 0xb8
	s_mov_b64 s[4:5], 0
.LBB91_93:                              ; =>This Inner Loop Header: Depth=1
	buffer_load_dword v71, v68, s[0:3], 0 offen
	v_mov_b32_e32 v72, s14
	ds_read_b32 v72, v72
	v_add_u32_e32 v70, -1, v70
	s_add_i32 s14, s14, 4
	v_cmp_eq_u32_e32 vcc, 0, v70
	v_add_u32_e32 v68, 4, v68
	s_or_b64 s[4:5], vcc, s[4:5]
	s_waitcnt vmcnt(0) lgkmcnt(0)
	v_fmac_f32_e32 v69, v71, v72
	s_andn2_b64 exec, exec, s[4:5]
	s_cbranch_execnz .LBB91_93
; %bb.94:
	s_or_b64 exec, exec, s[4:5]
.LBB91_95:
	s_or_b64 exec, exec, s[12:13]
	v_mov_b32_e32 v68, 0
	ds_read_b32 v68, v68 offset:68
	s_waitcnt lgkmcnt(0)
	v_mul_f32_e32 v68, v69, v68
	buffer_store_dword v68, off, s[0:3], 0 offset:68
.LBB91_96:
	s_or_b64 exec, exec, s[10:11]
	buffer_load_dword v68, off, s[0:3], 0 offset:64
	v_cmp_lt_u32_e64 s[4:5], 16, v0
	s_waitcnt vmcnt(0)
	ds_write_b32 v58, v68
	s_waitcnt lgkmcnt(0)
	; wave barrier
	s_waitcnt lgkmcnt(0)
	s_and_saveexec_b64 s[10:11], s[4:5]
	s_cbranch_execz .LBB91_106
; %bb.97:
	s_andn2_b64 vcc, exec, s[8:9]
	s_cbranch_vccnz .LBB91_99
; %bb.98:
	buffer_load_dword v68, v59, s[0:3], 0 offen
	ds_read_b32 v69, v58
	s_waitcnt vmcnt(0) lgkmcnt(0)
	v_mul_f32_e32 v68, v68, v69
	s_cbranch_execz .LBB91_100
	s_branch .LBB91_101
.LBB91_99:
                                        ; implicit-def: $vgpr68
.LBB91_100:
	ds_read_b32 v68, v58
.LBB91_101:
	s_and_saveexec_b64 s[12:13], s[6:7]
	s_cbranch_execz .LBB91_105
; %bb.102:
	v_mov_b32_e32 v69, 0
	v_add_u32_e32 v69, 0x44, v69
	v_subrev_u32_e32 v70, 17, v0
	s_movk_i32 s14, 0xb4
	s_mov_b64 s[6:7], 0
.LBB91_103:                             ; =>This Inner Loop Header: Depth=1
	buffer_load_dword v71, v69, s[0:3], 0 offen
	v_mov_b32_e32 v72, s14
	ds_read_b32 v72, v72
	v_add_u32_e32 v70, -1, v70
	s_add_i32 s14, s14, 4
	v_cmp_eq_u32_e32 vcc, 0, v70
	v_add_u32_e32 v69, 4, v69
	s_or_b64 s[6:7], vcc, s[6:7]
	s_waitcnt vmcnt(0) lgkmcnt(0)
	v_fmac_f32_e32 v68, v71, v72
	s_andn2_b64 exec, exec, s[6:7]
	s_cbranch_execnz .LBB91_103
; %bb.104:
	s_or_b64 exec, exec, s[6:7]
.LBB91_105:
	s_or_b64 exec, exec, s[12:13]
	v_mov_b32_e32 v69, 0
	ds_read_b32 v69, v69 offset:64
	s_waitcnt lgkmcnt(0)
	v_mul_f32_e32 v68, v68, v69
	buffer_store_dword v68, off, s[0:3], 0 offset:64
.LBB91_106:
	s_or_b64 exec, exec, s[10:11]
	buffer_load_dword v68, off, s[0:3], 0 offset:60
	v_cmp_lt_u32_e64 s[6:7], 15, v0
	s_waitcnt vmcnt(0)
	ds_write_b32 v58, v68
	s_waitcnt lgkmcnt(0)
	; wave barrier
	s_waitcnt lgkmcnt(0)
	s_and_saveexec_b64 s[10:11], s[6:7]
	s_cbranch_execz .LBB91_116
; %bb.107:
	s_andn2_b64 vcc, exec, s[8:9]
	s_cbranch_vccnz .LBB91_109
; %bb.108:
	buffer_load_dword v68, v59, s[0:3], 0 offen
	ds_read_b32 v69, v58
	s_waitcnt vmcnt(0) lgkmcnt(0)
	v_mul_f32_e32 v68, v68, v69
	s_cbranch_execz .LBB91_110
	s_branch .LBB91_111
.LBB91_109:
                                        ; implicit-def: $vgpr68
.LBB91_110:
	ds_read_b32 v68, v58
.LBB91_111:
	s_and_saveexec_b64 s[12:13], s[4:5]
	s_cbranch_execz .LBB91_115
; %bb.112:
	v_add_u32_e32 v69, -16, v0
	s_movk_i32 s14, 0xb0
	s_mov_b64 s[4:5], 0
.LBB91_113:                             ; =>This Inner Loop Header: Depth=1
	buffer_load_dword v70, v67, s[0:3], 0 offen
	v_mov_b32_e32 v71, s14
	ds_read_b32 v71, v71
	v_add_u32_e32 v69, -1, v69
	s_add_i32 s14, s14, 4
	v_cmp_eq_u32_e32 vcc, 0, v69
	v_add_u32_e32 v67, 4, v67
	s_or_b64 s[4:5], vcc, s[4:5]
	s_waitcnt vmcnt(0) lgkmcnt(0)
	v_fmac_f32_e32 v68, v70, v71
	s_andn2_b64 exec, exec, s[4:5]
	s_cbranch_execnz .LBB91_113
; %bb.114:
	s_or_b64 exec, exec, s[4:5]
.LBB91_115:
	s_or_b64 exec, exec, s[12:13]
	v_mov_b32_e32 v67, 0
	ds_read_b32 v67, v67 offset:60
	s_waitcnt lgkmcnt(0)
	v_mul_f32_e32 v67, v68, v67
	buffer_store_dword v67, off, s[0:3], 0 offset:60
.LBB91_116:
	s_or_b64 exec, exec, s[10:11]
	buffer_load_dword v67, off, s[0:3], 0 offset:56
	v_cmp_lt_u32_e64 s[4:5], 14, v0
	s_waitcnt vmcnt(0)
	ds_write_b32 v58, v67
	s_waitcnt lgkmcnt(0)
	; wave barrier
	s_waitcnt lgkmcnt(0)
	s_and_saveexec_b64 s[10:11], s[4:5]
	s_cbranch_execz .LBB91_126
; %bb.117:
	s_andn2_b64 vcc, exec, s[8:9]
	s_cbranch_vccnz .LBB91_119
; %bb.118:
	buffer_load_dword v67, v59, s[0:3], 0 offen
	ds_read_b32 v68, v58
	s_waitcnt vmcnt(0) lgkmcnt(0)
	v_mul_f32_e32 v67, v67, v68
	s_cbranch_execz .LBB91_120
	s_branch .LBB91_121
.LBB91_119:
                                        ; implicit-def: $vgpr67
.LBB91_120:
	ds_read_b32 v67, v58
.LBB91_121:
	s_and_saveexec_b64 s[12:13], s[6:7]
	s_cbranch_execz .LBB91_125
; %bb.122:
	v_mov_b32_e32 v68, 0
	v_add_u32_e32 v68, 60, v68
	v_add_u32_e32 v69, -15, v0
	s_movk_i32 s14, 0xac
	s_mov_b64 s[6:7], 0
.LBB91_123:                             ; =>This Inner Loop Header: Depth=1
	buffer_load_dword v70, v68, s[0:3], 0 offen
	v_mov_b32_e32 v71, s14
	ds_read_b32 v71, v71
	v_add_u32_e32 v69, -1, v69
	s_add_i32 s14, s14, 4
	v_cmp_eq_u32_e32 vcc, 0, v69
	v_add_u32_e32 v68, 4, v68
	s_or_b64 s[6:7], vcc, s[6:7]
	s_waitcnt vmcnt(0) lgkmcnt(0)
	v_fmac_f32_e32 v67, v70, v71
	s_andn2_b64 exec, exec, s[6:7]
	s_cbranch_execnz .LBB91_123
; %bb.124:
	s_or_b64 exec, exec, s[6:7]
.LBB91_125:
	s_or_b64 exec, exec, s[12:13]
	v_mov_b32_e32 v68, 0
	ds_read_b32 v68, v68 offset:56
	s_waitcnt lgkmcnt(0)
	v_mul_f32_e32 v67, v67, v68
	buffer_store_dword v67, off, s[0:3], 0 offset:56
.LBB91_126:
	s_or_b64 exec, exec, s[10:11]
	buffer_load_dword v67, off, s[0:3], 0 offset:52
	v_cmp_lt_u32_e64 s[6:7], 13, v0
	s_waitcnt vmcnt(0)
	ds_write_b32 v58, v67
	s_waitcnt lgkmcnt(0)
	; wave barrier
	s_waitcnt lgkmcnt(0)
	s_and_saveexec_b64 s[10:11], s[6:7]
	s_cbranch_execz .LBB91_136
; %bb.127:
	s_andn2_b64 vcc, exec, s[8:9]
	s_cbranch_vccnz .LBB91_129
; %bb.128:
	buffer_load_dword v67, v59, s[0:3], 0 offen
	ds_read_b32 v68, v58
	s_waitcnt vmcnt(0) lgkmcnt(0)
	v_mul_f32_e32 v67, v67, v68
	s_cbranch_execz .LBB91_130
	s_branch .LBB91_131
.LBB91_129:
                                        ; implicit-def: $vgpr67
.LBB91_130:
	ds_read_b32 v67, v58
.LBB91_131:
	s_and_saveexec_b64 s[12:13], s[4:5]
	s_cbranch_execz .LBB91_135
; %bb.132:
	v_add_u32_e32 v68, -14, v0
	s_movk_i32 s14, 0xa8
	s_mov_b64 s[4:5], 0
.LBB91_133:                             ; =>This Inner Loop Header: Depth=1
	buffer_load_dword v69, v66, s[0:3], 0 offen
	v_mov_b32_e32 v70, s14
	ds_read_b32 v70, v70
	v_add_u32_e32 v68, -1, v68
	s_add_i32 s14, s14, 4
	v_cmp_eq_u32_e32 vcc, 0, v68
	v_add_u32_e32 v66, 4, v66
	s_or_b64 s[4:5], vcc, s[4:5]
	s_waitcnt vmcnt(0) lgkmcnt(0)
	v_fmac_f32_e32 v67, v69, v70
	s_andn2_b64 exec, exec, s[4:5]
	s_cbranch_execnz .LBB91_133
; %bb.134:
	s_or_b64 exec, exec, s[4:5]
.LBB91_135:
	s_or_b64 exec, exec, s[12:13]
	v_mov_b32_e32 v66, 0
	ds_read_b32 v66, v66 offset:52
	s_waitcnt lgkmcnt(0)
	v_mul_f32_e32 v66, v67, v66
	buffer_store_dword v66, off, s[0:3], 0 offset:52
.LBB91_136:
	s_or_b64 exec, exec, s[10:11]
	buffer_load_dword v66, off, s[0:3], 0 offset:48
	v_cmp_lt_u32_e64 s[4:5], 12, v0
	s_waitcnt vmcnt(0)
	ds_write_b32 v58, v66
	s_waitcnt lgkmcnt(0)
	; wave barrier
	s_waitcnt lgkmcnt(0)
	s_and_saveexec_b64 s[10:11], s[4:5]
	s_cbranch_execz .LBB91_146
; %bb.137:
	s_andn2_b64 vcc, exec, s[8:9]
	s_cbranch_vccnz .LBB91_139
; %bb.138:
	buffer_load_dword v66, v59, s[0:3], 0 offen
	ds_read_b32 v67, v58
	s_waitcnt vmcnt(0) lgkmcnt(0)
	v_mul_f32_e32 v66, v66, v67
	s_cbranch_execz .LBB91_140
	s_branch .LBB91_141
.LBB91_139:
                                        ; implicit-def: $vgpr66
.LBB91_140:
	ds_read_b32 v66, v58
.LBB91_141:
	s_and_saveexec_b64 s[12:13], s[6:7]
	s_cbranch_execz .LBB91_145
; %bb.142:
	v_mov_b32_e32 v67, 0
	v_add_u32_e32 v67, 52, v67
	v_add_u32_e32 v68, -13, v0
	s_movk_i32 s14, 0xa4
	s_mov_b64 s[6:7], 0
.LBB91_143:                             ; =>This Inner Loop Header: Depth=1
	buffer_load_dword v69, v67, s[0:3], 0 offen
	v_mov_b32_e32 v70, s14
	ds_read_b32 v70, v70
	v_add_u32_e32 v68, -1, v68
	s_add_i32 s14, s14, 4
	v_cmp_eq_u32_e32 vcc, 0, v68
	v_add_u32_e32 v67, 4, v67
	s_or_b64 s[6:7], vcc, s[6:7]
	s_waitcnt vmcnt(0) lgkmcnt(0)
	v_fmac_f32_e32 v66, v69, v70
	s_andn2_b64 exec, exec, s[6:7]
	s_cbranch_execnz .LBB91_143
; %bb.144:
	s_or_b64 exec, exec, s[6:7]
.LBB91_145:
	s_or_b64 exec, exec, s[12:13]
	v_mov_b32_e32 v67, 0
	ds_read_b32 v67, v67 offset:48
	s_waitcnt lgkmcnt(0)
	v_mul_f32_e32 v66, v66, v67
	buffer_store_dword v66, off, s[0:3], 0 offset:48
.LBB91_146:
	s_or_b64 exec, exec, s[10:11]
	buffer_load_dword v66, off, s[0:3], 0 offset:44
	v_cmp_lt_u32_e64 s[6:7], 11, v0
	s_waitcnt vmcnt(0)
	ds_write_b32 v58, v66
	s_waitcnt lgkmcnt(0)
	; wave barrier
	s_waitcnt lgkmcnt(0)
	s_and_saveexec_b64 s[10:11], s[6:7]
	s_cbranch_execz .LBB91_156
; %bb.147:
	s_andn2_b64 vcc, exec, s[8:9]
	s_cbranch_vccnz .LBB91_149
; %bb.148:
	buffer_load_dword v66, v59, s[0:3], 0 offen
	ds_read_b32 v67, v58
	s_waitcnt vmcnt(0) lgkmcnt(0)
	v_mul_f32_e32 v66, v66, v67
	s_cbranch_execz .LBB91_150
	s_branch .LBB91_151
.LBB91_149:
                                        ; implicit-def: $vgpr66
.LBB91_150:
	ds_read_b32 v66, v58
.LBB91_151:
	s_and_saveexec_b64 s[12:13], s[4:5]
	s_cbranch_execz .LBB91_155
; %bb.152:
	v_add_u32_e32 v67, -12, v0
	s_movk_i32 s14, 0xa0
	s_mov_b64 s[4:5], 0
.LBB91_153:                             ; =>This Inner Loop Header: Depth=1
	buffer_load_dword v68, v65, s[0:3], 0 offen
	v_mov_b32_e32 v69, s14
	ds_read_b32 v69, v69
	v_add_u32_e32 v67, -1, v67
	s_add_i32 s14, s14, 4
	v_cmp_eq_u32_e32 vcc, 0, v67
	v_add_u32_e32 v65, 4, v65
	s_or_b64 s[4:5], vcc, s[4:5]
	s_waitcnt vmcnt(0) lgkmcnt(0)
	v_fmac_f32_e32 v66, v68, v69
	s_andn2_b64 exec, exec, s[4:5]
	s_cbranch_execnz .LBB91_153
; %bb.154:
	s_or_b64 exec, exec, s[4:5]
.LBB91_155:
	s_or_b64 exec, exec, s[12:13]
	v_mov_b32_e32 v65, 0
	ds_read_b32 v65, v65 offset:44
	s_waitcnt lgkmcnt(0)
	v_mul_f32_e32 v65, v66, v65
	buffer_store_dword v65, off, s[0:3], 0 offset:44
.LBB91_156:
	s_or_b64 exec, exec, s[10:11]
	buffer_load_dword v65, off, s[0:3], 0 offset:40
	v_cmp_lt_u32_e64 s[4:5], 10, v0
	s_waitcnt vmcnt(0)
	ds_write_b32 v58, v65
	s_waitcnt lgkmcnt(0)
	; wave barrier
	s_waitcnt lgkmcnt(0)
	s_and_saveexec_b64 s[10:11], s[4:5]
	s_cbranch_execz .LBB91_166
; %bb.157:
	s_andn2_b64 vcc, exec, s[8:9]
	s_cbranch_vccnz .LBB91_159
; %bb.158:
	buffer_load_dword v65, v59, s[0:3], 0 offen
	ds_read_b32 v66, v58
	s_waitcnt vmcnt(0) lgkmcnt(0)
	v_mul_f32_e32 v65, v65, v66
	s_cbranch_execz .LBB91_160
	s_branch .LBB91_161
.LBB91_159:
                                        ; implicit-def: $vgpr65
.LBB91_160:
	ds_read_b32 v65, v58
.LBB91_161:
	s_and_saveexec_b64 s[12:13], s[6:7]
	s_cbranch_execz .LBB91_165
; %bb.162:
	v_mov_b32_e32 v66, 0
	v_add_u32_e32 v66, 44, v66
	v_add_u32_e32 v67, -11, v0
	s_movk_i32 s14, 0x9c
	s_mov_b64 s[6:7], 0
.LBB91_163:                             ; =>This Inner Loop Header: Depth=1
	buffer_load_dword v68, v66, s[0:3], 0 offen
	v_mov_b32_e32 v69, s14
	ds_read_b32 v69, v69
	v_add_u32_e32 v67, -1, v67
	s_add_i32 s14, s14, 4
	v_cmp_eq_u32_e32 vcc, 0, v67
	v_add_u32_e32 v66, 4, v66
	s_or_b64 s[6:7], vcc, s[6:7]
	s_waitcnt vmcnt(0) lgkmcnt(0)
	v_fmac_f32_e32 v65, v68, v69
	s_andn2_b64 exec, exec, s[6:7]
	s_cbranch_execnz .LBB91_163
; %bb.164:
	s_or_b64 exec, exec, s[6:7]
.LBB91_165:
	s_or_b64 exec, exec, s[12:13]
	v_mov_b32_e32 v66, 0
	ds_read_b32 v66, v66 offset:40
	s_waitcnt lgkmcnt(0)
	v_mul_f32_e32 v65, v65, v66
	buffer_store_dword v65, off, s[0:3], 0 offset:40
.LBB91_166:
	s_or_b64 exec, exec, s[10:11]
	buffer_load_dword v65, off, s[0:3], 0 offset:36
	v_cmp_lt_u32_e64 s[6:7], 9, v0
	s_waitcnt vmcnt(0)
	ds_write_b32 v58, v65
	s_waitcnt lgkmcnt(0)
	; wave barrier
	s_waitcnt lgkmcnt(0)
	s_and_saveexec_b64 s[10:11], s[6:7]
	s_cbranch_execz .LBB91_176
; %bb.167:
	s_andn2_b64 vcc, exec, s[8:9]
	s_cbranch_vccnz .LBB91_169
; %bb.168:
	buffer_load_dword v65, v59, s[0:3], 0 offen
	ds_read_b32 v66, v58
	s_waitcnt vmcnt(0) lgkmcnt(0)
	v_mul_f32_e32 v65, v65, v66
	s_cbranch_execz .LBB91_170
	s_branch .LBB91_171
.LBB91_169:
                                        ; implicit-def: $vgpr65
.LBB91_170:
	ds_read_b32 v65, v58
.LBB91_171:
	s_and_saveexec_b64 s[12:13], s[4:5]
	s_cbranch_execz .LBB91_175
; %bb.172:
	v_add_u32_e32 v66, -10, v0
	s_movk_i32 s14, 0x98
	s_mov_b64 s[4:5], 0
.LBB91_173:                             ; =>This Inner Loop Header: Depth=1
	buffer_load_dword v67, v64, s[0:3], 0 offen
	v_mov_b32_e32 v68, s14
	ds_read_b32 v68, v68
	v_add_u32_e32 v66, -1, v66
	s_add_i32 s14, s14, 4
	v_cmp_eq_u32_e32 vcc, 0, v66
	v_add_u32_e32 v64, 4, v64
	s_or_b64 s[4:5], vcc, s[4:5]
	s_waitcnt vmcnt(0) lgkmcnt(0)
	v_fmac_f32_e32 v65, v67, v68
	s_andn2_b64 exec, exec, s[4:5]
	s_cbranch_execnz .LBB91_173
; %bb.174:
	s_or_b64 exec, exec, s[4:5]
.LBB91_175:
	s_or_b64 exec, exec, s[12:13]
	v_mov_b32_e32 v64, 0
	ds_read_b32 v64, v64 offset:36
	s_waitcnt lgkmcnt(0)
	v_mul_f32_e32 v64, v65, v64
	buffer_store_dword v64, off, s[0:3], 0 offset:36
.LBB91_176:
	s_or_b64 exec, exec, s[10:11]
	buffer_load_dword v64, off, s[0:3], 0 offset:32
	v_cmp_lt_u32_e64 s[4:5], 8, v0
	s_waitcnt vmcnt(0)
	ds_write_b32 v58, v64
	s_waitcnt lgkmcnt(0)
	; wave barrier
	s_waitcnt lgkmcnt(0)
	s_and_saveexec_b64 s[10:11], s[4:5]
	s_cbranch_execz .LBB91_186
; %bb.177:
	s_andn2_b64 vcc, exec, s[8:9]
	s_cbranch_vccnz .LBB91_179
; %bb.178:
	buffer_load_dword v64, v59, s[0:3], 0 offen
	ds_read_b32 v65, v58
	s_waitcnt vmcnt(0) lgkmcnt(0)
	v_mul_f32_e32 v64, v64, v65
	s_cbranch_execz .LBB91_180
	s_branch .LBB91_181
.LBB91_179:
                                        ; implicit-def: $vgpr64
.LBB91_180:
	ds_read_b32 v64, v58
.LBB91_181:
	s_and_saveexec_b64 s[12:13], s[6:7]
	s_cbranch_execz .LBB91_185
; %bb.182:
	v_mov_b32_e32 v65, 0
	v_add_u32_e32 v65, 36, v65
	v_add_u32_e32 v66, -9, v0
	s_movk_i32 s14, 0x94
	s_mov_b64 s[6:7], 0
.LBB91_183:                             ; =>This Inner Loop Header: Depth=1
	buffer_load_dword v67, v65, s[0:3], 0 offen
	v_mov_b32_e32 v68, s14
	ds_read_b32 v68, v68
	v_add_u32_e32 v66, -1, v66
	s_add_i32 s14, s14, 4
	v_cmp_eq_u32_e32 vcc, 0, v66
	v_add_u32_e32 v65, 4, v65
	s_or_b64 s[6:7], vcc, s[6:7]
	s_waitcnt vmcnt(0) lgkmcnt(0)
	v_fmac_f32_e32 v64, v67, v68
	s_andn2_b64 exec, exec, s[6:7]
	s_cbranch_execnz .LBB91_183
; %bb.184:
	s_or_b64 exec, exec, s[6:7]
.LBB91_185:
	s_or_b64 exec, exec, s[12:13]
	v_mov_b32_e32 v65, 0
	ds_read_b32 v65, v65 offset:32
	s_waitcnt lgkmcnt(0)
	v_mul_f32_e32 v64, v64, v65
	buffer_store_dword v64, off, s[0:3], 0 offset:32
.LBB91_186:
	s_or_b64 exec, exec, s[10:11]
	buffer_load_dword v64, off, s[0:3], 0 offset:28
	v_cmp_lt_u32_e64 s[6:7], 7, v0
	s_waitcnt vmcnt(0)
	ds_write_b32 v58, v64
	s_waitcnt lgkmcnt(0)
	; wave barrier
	s_waitcnt lgkmcnt(0)
	s_and_saveexec_b64 s[10:11], s[6:7]
	s_cbranch_execz .LBB91_196
; %bb.187:
	s_andn2_b64 vcc, exec, s[8:9]
	s_cbranch_vccnz .LBB91_189
; %bb.188:
	buffer_load_dword v64, v59, s[0:3], 0 offen
	ds_read_b32 v65, v58
	s_waitcnt vmcnt(0) lgkmcnt(0)
	v_mul_f32_e32 v64, v64, v65
	s_cbranch_execz .LBB91_190
	s_branch .LBB91_191
.LBB91_189:
                                        ; implicit-def: $vgpr64
.LBB91_190:
	ds_read_b32 v64, v58
.LBB91_191:
	s_and_saveexec_b64 s[12:13], s[4:5]
	s_cbranch_execz .LBB91_195
; %bb.192:
	v_add_u32_e32 v65, -8, v0
	s_movk_i32 s14, 0x90
	s_mov_b64 s[4:5], 0
.LBB91_193:                             ; =>This Inner Loop Header: Depth=1
	buffer_load_dword v66, v63, s[0:3], 0 offen
	v_mov_b32_e32 v67, s14
	ds_read_b32 v67, v67
	v_add_u32_e32 v65, -1, v65
	s_add_i32 s14, s14, 4
	v_cmp_eq_u32_e32 vcc, 0, v65
	v_add_u32_e32 v63, 4, v63
	s_or_b64 s[4:5], vcc, s[4:5]
	s_waitcnt vmcnt(0) lgkmcnt(0)
	v_fmac_f32_e32 v64, v66, v67
	s_andn2_b64 exec, exec, s[4:5]
	s_cbranch_execnz .LBB91_193
; %bb.194:
	s_or_b64 exec, exec, s[4:5]
.LBB91_195:
	s_or_b64 exec, exec, s[12:13]
	v_mov_b32_e32 v63, 0
	ds_read_b32 v63, v63 offset:28
	s_waitcnt lgkmcnt(0)
	v_mul_f32_e32 v63, v64, v63
	buffer_store_dword v63, off, s[0:3], 0 offset:28
.LBB91_196:
	s_or_b64 exec, exec, s[10:11]
	buffer_load_dword v63, off, s[0:3], 0 offset:24
	v_cmp_lt_u32_e64 s[4:5], 6, v0
	s_waitcnt vmcnt(0)
	ds_write_b32 v58, v63
	s_waitcnt lgkmcnt(0)
	; wave barrier
	s_waitcnt lgkmcnt(0)
	s_and_saveexec_b64 s[10:11], s[4:5]
	s_cbranch_execz .LBB91_206
; %bb.197:
	s_andn2_b64 vcc, exec, s[8:9]
	s_cbranch_vccnz .LBB91_199
; %bb.198:
	buffer_load_dword v63, v59, s[0:3], 0 offen
	ds_read_b32 v64, v58
	s_waitcnt vmcnt(0) lgkmcnt(0)
	v_mul_f32_e32 v63, v63, v64
	s_cbranch_execz .LBB91_200
	s_branch .LBB91_201
.LBB91_199:
                                        ; implicit-def: $vgpr63
.LBB91_200:
	ds_read_b32 v63, v58
.LBB91_201:
	s_and_saveexec_b64 s[12:13], s[6:7]
	s_cbranch_execz .LBB91_205
; %bb.202:
	v_mov_b32_e32 v64, 0
	v_add_u32_e32 v64, 28, v64
	v_add_u32_e32 v65, -7, v0
	s_movk_i32 s14, 0x8c
	s_mov_b64 s[6:7], 0
.LBB91_203:                             ; =>This Inner Loop Header: Depth=1
	buffer_load_dword v66, v64, s[0:3], 0 offen
	v_mov_b32_e32 v67, s14
	ds_read_b32 v67, v67
	v_add_u32_e32 v65, -1, v65
	s_add_i32 s14, s14, 4
	v_cmp_eq_u32_e32 vcc, 0, v65
	v_add_u32_e32 v64, 4, v64
	s_or_b64 s[6:7], vcc, s[6:7]
	s_waitcnt vmcnt(0) lgkmcnt(0)
	v_fmac_f32_e32 v63, v66, v67
	s_andn2_b64 exec, exec, s[6:7]
	s_cbranch_execnz .LBB91_203
; %bb.204:
	s_or_b64 exec, exec, s[6:7]
.LBB91_205:
	s_or_b64 exec, exec, s[12:13]
	v_mov_b32_e32 v64, 0
	ds_read_b32 v64, v64 offset:24
	s_waitcnt lgkmcnt(0)
	v_mul_f32_e32 v63, v63, v64
	buffer_store_dword v63, off, s[0:3], 0 offset:24
.LBB91_206:
	s_or_b64 exec, exec, s[10:11]
	buffer_load_dword v63, off, s[0:3], 0 offset:20
	v_cmp_lt_u32_e64 s[6:7], 5, v0
	s_waitcnt vmcnt(0)
	ds_write_b32 v58, v63
	s_waitcnt lgkmcnt(0)
	; wave barrier
	s_waitcnt lgkmcnt(0)
	s_and_saveexec_b64 s[10:11], s[6:7]
	s_cbranch_execz .LBB91_216
; %bb.207:
	s_andn2_b64 vcc, exec, s[8:9]
	s_cbranch_vccnz .LBB91_209
; %bb.208:
	buffer_load_dword v63, v59, s[0:3], 0 offen
	ds_read_b32 v64, v58
	s_waitcnt vmcnt(0) lgkmcnt(0)
	v_mul_f32_e32 v63, v63, v64
	s_cbranch_execz .LBB91_210
	s_branch .LBB91_211
.LBB91_209:
                                        ; implicit-def: $vgpr63
.LBB91_210:
	ds_read_b32 v63, v58
.LBB91_211:
	s_and_saveexec_b64 s[12:13], s[4:5]
	s_cbranch_execz .LBB91_215
; %bb.212:
	v_add_u32_e32 v64, -6, v0
	s_movk_i32 s14, 0x88
	s_mov_b64 s[4:5], 0
.LBB91_213:                             ; =>This Inner Loop Header: Depth=1
	buffer_load_dword v65, v62, s[0:3], 0 offen
	v_mov_b32_e32 v66, s14
	ds_read_b32 v66, v66
	v_add_u32_e32 v64, -1, v64
	s_add_i32 s14, s14, 4
	v_cmp_eq_u32_e32 vcc, 0, v64
	v_add_u32_e32 v62, 4, v62
	s_or_b64 s[4:5], vcc, s[4:5]
	s_waitcnt vmcnt(0) lgkmcnt(0)
	v_fmac_f32_e32 v63, v65, v66
	s_andn2_b64 exec, exec, s[4:5]
	s_cbranch_execnz .LBB91_213
; %bb.214:
	s_or_b64 exec, exec, s[4:5]
.LBB91_215:
	s_or_b64 exec, exec, s[12:13]
	v_mov_b32_e32 v62, 0
	ds_read_b32 v62, v62 offset:20
	s_waitcnt lgkmcnt(0)
	v_mul_f32_e32 v62, v63, v62
	buffer_store_dword v62, off, s[0:3], 0 offset:20
.LBB91_216:
	s_or_b64 exec, exec, s[10:11]
	buffer_load_dword v62, off, s[0:3], 0 offset:16
	v_cmp_lt_u32_e64 s[4:5], 4, v0
	s_waitcnt vmcnt(0)
	ds_write_b32 v58, v62
	s_waitcnt lgkmcnt(0)
	; wave barrier
	s_waitcnt lgkmcnt(0)
	s_and_saveexec_b64 s[10:11], s[4:5]
	s_cbranch_execz .LBB91_226
; %bb.217:
	s_andn2_b64 vcc, exec, s[8:9]
	s_cbranch_vccnz .LBB91_219
; %bb.218:
	buffer_load_dword v62, v59, s[0:3], 0 offen
	ds_read_b32 v63, v58
	s_waitcnt vmcnt(0) lgkmcnt(0)
	v_mul_f32_e32 v62, v62, v63
	s_cbranch_execz .LBB91_220
	s_branch .LBB91_221
.LBB91_219:
                                        ; implicit-def: $vgpr62
.LBB91_220:
	ds_read_b32 v62, v58
.LBB91_221:
	s_and_saveexec_b64 s[12:13], s[6:7]
	s_cbranch_execz .LBB91_225
; %bb.222:
	v_mov_b32_e32 v63, 0
	v_add_u32_e32 v63, 20, v63
	v_add_u32_e32 v64, -5, v0
	s_movk_i32 s14, 0x84
	s_mov_b64 s[6:7], 0
.LBB91_223:                             ; =>This Inner Loop Header: Depth=1
	buffer_load_dword v65, v63, s[0:3], 0 offen
	v_mov_b32_e32 v66, s14
	ds_read_b32 v66, v66
	v_add_u32_e32 v64, -1, v64
	s_add_i32 s14, s14, 4
	v_cmp_eq_u32_e32 vcc, 0, v64
	v_add_u32_e32 v63, 4, v63
	s_or_b64 s[6:7], vcc, s[6:7]
	s_waitcnt vmcnt(0) lgkmcnt(0)
	v_fmac_f32_e32 v62, v65, v66
	s_andn2_b64 exec, exec, s[6:7]
	s_cbranch_execnz .LBB91_223
; %bb.224:
	s_or_b64 exec, exec, s[6:7]
.LBB91_225:
	s_or_b64 exec, exec, s[12:13]
	v_mov_b32_e32 v63, 0
	ds_read_b32 v63, v63 offset:16
	s_waitcnt lgkmcnt(0)
	v_mul_f32_e32 v62, v62, v63
	buffer_store_dword v62, off, s[0:3], 0 offset:16
.LBB91_226:
	s_or_b64 exec, exec, s[10:11]
	buffer_load_dword v62, off, s[0:3], 0 offset:12
	v_cmp_lt_u32_e64 s[6:7], 3, v0
	s_waitcnt vmcnt(0)
	ds_write_b32 v58, v62
	s_waitcnt lgkmcnt(0)
	; wave barrier
	s_waitcnt lgkmcnt(0)
	s_and_saveexec_b64 s[10:11], s[6:7]
	s_cbranch_execz .LBB91_236
; %bb.227:
	s_andn2_b64 vcc, exec, s[8:9]
	s_cbranch_vccnz .LBB91_229
; %bb.228:
	buffer_load_dword v62, v59, s[0:3], 0 offen
	ds_read_b32 v63, v58
	s_waitcnt vmcnt(0) lgkmcnt(0)
	v_mul_f32_e32 v62, v62, v63
	s_cbranch_execz .LBB91_230
	s_branch .LBB91_231
.LBB91_229:
                                        ; implicit-def: $vgpr62
.LBB91_230:
	ds_read_b32 v62, v58
.LBB91_231:
	s_and_saveexec_b64 s[12:13], s[4:5]
	s_cbranch_execz .LBB91_235
; %bb.232:
	v_add_u32_e32 v63, -4, v0
	s_movk_i32 s14, 0x80
	s_mov_b64 s[4:5], 0
.LBB91_233:                             ; =>This Inner Loop Header: Depth=1
	buffer_load_dword v64, v61, s[0:3], 0 offen
	v_mov_b32_e32 v65, s14
	ds_read_b32 v65, v65
	v_add_u32_e32 v63, -1, v63
	s_add_i32 s14, s14, 4
	v_cmp_eq_u32_e32 vcc, 0, v63
	v_add_u32_e32 v61, 4, v61
	s_or_b64 s[4:5], vcc, s[4:5]
	s_waitcnt vmcnt(0) lgkmcnt(0)
	v_fmac_f32_e32 v62, v64, v65
	s_andn2_b64 exec, exec, s[4:5]
	s_cbranch_execnz .LBB91_233
; %bb.234:
	s_or_b64 exec, exec, s[4:5]
.LBB91_235:
	s_or_b64 exec, exec, s[12:13]
	v_mov_b32_e32 v61, 0
	ds_read_b32 v61, v61 offset:12
	s_waitcnt lgkmcnt(0)
	v_mul_f32_e32 v61, v62, v61
	buffer_store_dword v61, off, s[0:3], 0 offset:12
.LBB91_236:
	s_or_b64 exec, exec, s[10:11]
	buffer_load_dword v61, off, s[0:3], 0 offset:8
	v_cmp_lt_u32_e64 s[4:5], 2, v0
	s_waitcnt vmcnt(0)
	ds_write_b32 v58, v61
	s_waitcnt lgkmcnt(0)
	; wave barrier
	s_waitcnt lgkmcnt(0)
	s_and_saveexec_b64 s[10:11], s[4:5]
	s_cbranch_execz .LBB91_246
; %bb.237:
	s_andn2_b64 vcc, exec, s[8:9]
	s_cbranch_vccnz .LBB91_239
; %bb.238:
	buffer_load_dword v61, v59, s[0:3], 0 offen
	ds_read_b32 v62, v58
	s_waitcnt vmcnt(0) lgkmcnt(0)
	v_mul_f32_e32 v61, v61, v62
	s_cbranch_execz .LBB91_240
	s_branch .LBB91_241
.LBB91_239:
                                        ; implicit-def: $vgpr61
.LBB91_240:
	ds_read_b32 v61, v58
.LBB91_241:
	s_and_saveexec_b64 s[12:13], s[6:7]
	s_cbranch_execz .LBB91_245
; %bb.242:
	v_mov_b32_e32 v62, 0
	v_or_b32_e32 v62, 12, v62
	v_add_u32_e32 v63, -3, v0
	s_movk_i32 s14, 0x7c
	s_mov_b64 s[6:7], 0
.LBB91_243:                             ; =>This Inner Loop Header: Depth=1
	buffer_load_dword v64, v62, s[0:3], 0 offen
	v_mov_b32_e32 v65, s14
	ds_read_b32 v65, v65
	v_add_u32_e32 v63, -1, v63
	s_add_i32 s14, s14, 4
	v_cmp_eq_u32_e32 vcc, 0, v63
	v_add_u32_e32 v62, 4, v62
	s_or_b64 s[6:7], vcc, s[6:7]
	s_waitcnt vmcnt(0) lgkmcnt(0)
	v_fmac_f32_e32 v61, v64, v65
	s_andn2_b64 exec, exec, s[6:7]
	s_cbranch_execnz .LBB91_243
; %bb.244:
	s_or_b64 exec, exec, s[6:7]
.LBB91_245:
	s_or_b64 exec, exec, s[12:13]
	v_mov_b32_e32 v62, 0
	ds_read_b32 v62, v62 offset:8
	s_waitcnt lgkmcnt(0)
	v_mul_f32_e32 v61, v61, v62
	buffer_store_dword v61, off, s[0:3], 0 offset:8
.LBB91_246:
	s_or_b64 exec, exec, s[10:11]
	buffer_load_dword v61, off, s[0:3], 0 offset:4
	v_cmp_lt_u32_e64 s[6:7], 1, v0
	s_waitcnt vmcnt(0)
	ds_write_b32 v58, v61
	s_waitcnt lgkmcnt(0)
	; wave barrier
	s_waitcnt lgkmcnt(0)
	s_and_saveexec_b64 s[10:11], s[6:7]
	s_cbranch_execz .LBB91_256
; %bb.247:
	s_andn2_b64 vcc, exec, s[8:9]
	s_cbranch_vccnz .LBB91_249
; %bb.248:
	buffer_load_dword v61, v59, s[0:3], 0 offen
	ds_read_b32 v62, v58
	s_waitcnt vmcnt(0) lgkmcnt(0)
	v_mul_f32_e32 v61, v61, v62
	s_cbranch_execz .LBB91_250
	s_branch .LBB91_251
.LBB91_249:
                                        ; implicit-def: $vgpr61
.LBB91_250:
	ds_read_b32 v61, v58
.LBB91_251:
	s_and_saveexec_b64 s[12:13], s[4:5]
	s_cbranch_execz .LBB91_255
; %bb.252:
	v_add_u32_e32 v62, -2, v0
	s_movk_i32 s14, 0x78
	s_mov_b64 s[4:5], 0
.LBB91_253:                             ; =>This Inner Loop Header: Depth=1
	buffer_load_dword v63, v60, s[0:3], 0 offen
	v_mov_b32_e32 v64, s14
	ds_read_b32 v64, v64
	v_add_u32_e32 v62, -1, v62
	s_add_i32 s14, s14, 4
	v_cmp_eq_u32_e32 vcc, 0, v62
	v_add_u32_e32 v60, 4, v60
	s_or_b64 s[4:5], vcc, s[4:5]
	s_waitcnt vmcnt(0) lgkmcnt(0)
	v_fmac_f32_e32 v61, v63, v64
	s_andn2_b64 exec, exec, s[4:5]
	s_cbranch_execnz .LBB91_253
; %bb.254:
	s_or_b64 exec, exec, s[4:5]
.LBB91_255:
	s_or_b64 exec, exec, s[12:13]
	v_mov_b32_e32 v60, 0
	ds_read_b32 v60, v60 offset:4
	s_waitcnt lgkmcnt(0)
	v_mul_f32_e32 v60, v61, v60
	buffer_store_dword v60, off, s[0:3], 0 offset:4
.LBB91_256:
	s_or_b64 exec, exec, s[10:11]
	buffer_load_dword v60, off, s[0:3], 0
	v_cmp_ne_u32_e32 vcc, 0, v0
	s_waitcnt vmcnt(0)
	ds_write_b32 v58, v60
	s_waitcnt lgkmcnt(0)
	; wave barrier
	s_waitcnt lgkmcnt(0)
	s_and_saveexec_b64 s[4:5], vcc
	s_cbranch_execz .LBB91_266
; %bb.257:
	s_andn2_b64 vcc, exec, s[8:9]
	s_cbranch_vccnz .LBB91_259
; %bb.258:
	buffer_load_dword v60, v59, s[0:3], 0 offen
	ds_read_b32 v61, v58
	s_waitcnt vmcnt(0) lgkmcnt(0)
	v_mul_f32_e32 v60, v60, v61
	s_cbranch_execz .LBB91_260
	s_branch .LBB91_261
.LBB91_259:
                                        ; implicit-def: $vgpr60
.LBB91_260:
	ds_read_b32 v60, v58
.LBB91_261:
	s_and_saveexec_b64 s[10:11], s[6:7]
	s_cbranch_execz .LBB91_265
; %bb.262:
	v_mov_b32_e32 v61, 0
	v_or_b32_e32 v61, 4, v61
	v_add_u32_e32 v62, -1, v0
	s_movk_i32 s12, 0x74
	s_mov_b64 s[6:7], 0
.LBB91_263:                             ; =>This Inner Loop Header: Depth=1
	buffer_load_dword v63, v61, s[0:3], 0 offen
	v_mov_b32_e32 v64, s12
	ds_read_b32 v64, v64
	v_add_u32_e32 v62, -1, v62
	s_add_i32 s12, s12, 4
	v_cmp_eq_u32_e32 vcc, 0, v62
	v_add_u32_e32 v61, 4, v61
	s_or_b64 s[6:7], vcc, s[6:7]
	s_waitcnt vmcnt(0) lgkmcnt(0)
	v_fmac_f32_e32 v60, v63, v64
	s_andn2_b64 exec, exec, s[6:7]
	s_cbranch_execnz .LBB91_263
; %bb.264:
	s_or_b64 exec, exec, s[6:7]
.LBB91_265:
	s_or_b64 exec, exec, s[10:11]
	v_mov_b32_e32 v61, 0
	ds_read_b32 v61, v61
	s_waitcnt lgkmcnt(0)
	v_mul_f32_e32 v60, v60, v61
	buffer_store_dword v60, off, s[0:3], 0
.LBB91_266:
	s_or_b64 exec, exec, s[4:5]
	s_mov_b64 s[4:5], 0
.LBB91_267:
	s_and_b64 vcc, exec, s[4:5]
	s_cbranch_vccz .LBB91_531
; %bb.268:
	buffer_load_dword v60, off, s[0:3], 0 offset:4
	v_cmp_eq_u32_e64 s[6:7], 0, v0
	s_waitcnt vmcnt(0)
	ds_write_b32 v58, v60
	s_waitcnt lgkmcnt(0)
	; wave barrier
	s_waitcnt lgkmcnt(0)
	s_and_saveexec_b64 s[4:5], s[6:7]
	s_cbranch_execz .LBB91_274
; %bb.269:
	s_and_b64 vcc, exec, s[8:9]
	s_cbranch_vccz .LBB91_271
; %bb.270:
	buffer_load_dword v60, v59, s[0:3], 0 offen
	ds_read_b32 v61, v58
	s_waitcnt vmcnt(0) lgkmcnt(0)
	v_mul_f32_e32 v60, v60, v61
	s_cbranch_execz .LBB91_272
	s_branch .LBB91_273
.LBB91_271:
                                        ; implicit-def: $vgpr60
.LBB91_272:
	ds_read_b32 v60, v58
.LBB91_273:
	v_mov_b32_e32 v61, 0
	ds_read_b32 v61, v61 offset:4
	s_waitcnt lgkmcnt(0)
	v_mul_f32_e32 v60, v60, v61
	buffer_store_dword v60, off, s[0:3], 0 offset:4
.LBB91_274:
	s_or_b64 exec, exec, s[4:5]
	buffer_load_dword v60, off, s[0:3], 0 offset:8
	v_cndmask_b32_e64 v61, 0, 1, s[8:9]
	v_cmp_gt_u32_e32 vcc, 2, v0
	v_cmp_ne_u32_e64 s[4:5], 1, v61
	s_waitcnt vmcnt(0)
	ds_write_b32 v58, v60
	s_waitcnt lgkmcnt(0)
	; wave barrier
	s_waitcnt lgkmcnt(0)
	s_and_saveexec_b64 s[8:9], vcc
	s_cbranch_execz .LBB91_282
; %bb.275:
	s_and_b64 vcc, exec, s[4:5]
	s_cbranch_vccnz .LBB91_277
; %bb.276:
	buffer_load_dword v60, v59, s[0:3], 0 offen
	ds_read_b32 v61, v58
	s_waitcnt vmcnt(0) lgkmcnt(0)
	v_mul_f32_e32 v60, v60, v61
	s_cbranch_execz .LBB91_278
	s_branch .LBB91_279
.LBB91_277:
                                        ; implicit-def: $vgpr60
.LBB91_278:
	ds_read_b32 v60, v58
.LBB91_279:
	s_and_saveexec_b64 s[10:11], s[6:7]
	s_cbranch_execz .LBB91_281
; %bb.280:
	buffer_load_dword v61, v59, s[0:3], 0 offen offset:4
	ds_read_b32 v62, v58 offset:4
	s_waitcnt vmcnt(0) lgkmcnt(0)
	v_fmac_f32_e32 v60, v61, v62
.LBB91_281:
	s_or_b64 exec, exec, s[10:11]
	v_mov_b32_e32 v61, 0
	ds_read_b32 v61, v61 offset:8
	s_waitcnt lgkmcnt(0)
	v_mul_f32_e32 v60, v60, v61
	buffer_store_dword v60, off, s[0:3], 0 offset:8
.LBB91_282:
	s_or_b64 exec, exec, s[8:9]
	buffer_load_dword v60, off, s[0:3], 0 offset:12
	v_cmp_gt_u32_e32 vcc, 3, v0
	s_waitcnt vmcnt(0)
	ds_write_b32 v58, v60
	s_waitcnt lgkmcnt(0)
	; wave barrier
	s_waitcnt lgkmcnt(0)
	s_and_saveexec_b64 s[8:9], vcc
	s_cbranch_execz .LBB91_290
; %bb.283:
	s_and_b64 vcc, exec, s[4:5]
	s_cbranch_vccnz .LBB91_285
; %bb.284:
	buffer_load_dword v60, v59, s[0:3], 0 offen
	ds_read_b32 v61, v58
	s_waitcnt vmcnt(0) lgkmcnt(0)
	v_mul_f32_e32 v60, v60, v61
	s_cbranch_execz .LBB91_286
	s_branch .LBB91_287
.LBB91_285:
                                        ; implicit-def: $vgpr60
.LBB91_286:
	ds_read_b32 v60, v58
.LBB91_287:
	v_cmp_ne_u32_e32 vcc, 2, v0
	s_and_saveexec_b64 s[10:11], vcc
	s_cbranch_execz .LBB91_289
; %bb.288:
	buffer_load_dword v61, v59, s[0:3], 0 offen offset:4
	buffer_load_dword v62, off, s[0:3], 0 offset:8
	v_mov_b32_e32 v63, 0
	ds_read_b32 v64, v58 offset:4
	ds_read_b32 v63, v63 offset:120
	s_waitcnt vmcnt(1) lgkmcnt(1)
	v_fmac_f32_e32 v60, v61, v64
	s_waitcnt vmcnt(0) lgkmcnt(0)
	v_fma_f32 v61, v62, v63, v60
	v_cndmask_b32_e64 v60, v60, v61, s[6:7]
.LBB91_289:
	s_or_b64 exec, exec, s[10:11]
	v_mov_b32_e32 v61, 0
	ds_read_b32 v61, v61 offset:12
	s_waitcnt lgkmcnt(0)
	v_mul_f32_e32 v60, v60, v61
	buffer_store_dword v60, off, s[0:3], 0 offset:12
.LBB91_290:
	s_or_b64 exec, exec, s[8:9]
	buffer_load_dword v60, off, s[0:3], 0 offset:16
	v_cmp_gt_u32_e32 vcc, 4, v0
	s_waitcnt vmcnt(0)
	ds_write_b32 v58, v60
	s_waitcnt lgkmcnt(0)
	; wave barrier
	s_waitcnt lgkmcnt(0)
	s_and_saveexec_b64 s[6:7], vcc
	s_cbranch_execz .LBB91_300
; %bb.291:
	s_and_b64 vcc, exec, s[4:5]
	s_cbranch_vccnz .LBB91_293
; %bb.292:
	buffer_load_dword v60, v59, s[0:3], 0 offen
	ds_read_b32 v61, v58
	s_waitcnt vmcnt(0) lgkmcnt(0)
	v_mul_f32_e32 v60, v60, v61
	s_cbranch_execz .LBB91_294
	s_branch .LBB91_295
.LBB91_293:
                                        ; implicit-def: $vgpr60
.LBB91_294:
	ds_read_b32 v60, v58
.LBB91_295:
	v_cmp_ne_u32_e32 vcc, 3, v0
	s_and_saveexec_b64 s[8:9], vcc
	s_cbranch_execz .LBB91_299
; %bb.296:
	v_mov_b32_e32 v62, 0
	v_add_u32_e32 v61, 0x74, v1
	v_add3_u32 v62, v1, v62, 4
	s_mov_b64 s[10:11], 0
	v_mov_b32_e32 v63, v0
.LBB91_297:                             ; =>This Inner Loop Header: Depth=1
	buffer_load_dword v64, v62, s[0:3], 0 offen
	ds_read_b32 v65, v61
	v_add_u32_e32 v63, 1, v63
	v_cmp_lt_u32_e32 vcc, 2, v63
	v_add_u32_e32 v61, 4, v61
	v_add_u32_e32 v62, 4, v62
	s_or_b64 s[10:11], vcc, s[10:11]
	s_waitcnt vmcnt(0) lgkmcnt(0)
	v_fmac_f32_e32 v60, v64, v65
	s_andn2_b64 exec, exec, s[10:11]
	s_cbranch_execnz .LBB91_297
; %bb.298:
	s_or_b64 exec, exec, s[10:11]
.LBB91_299:
	s_or_b64 exec, exec, s[8:9]
	v_mov_b32_e32 v61, 0
	ds_read_b32 v61, v61 offset:16
	s_waitcnt lgkmcnt(0)
	v_mul_f32_e32 v60, v60, v61
	buffer_store_dword v60, off, s[0:3], 0 offset:16
.LBB91_300:
	s_or_b64 exec, exec, s[6:7]
	buffer_load_dword v60, off, s[0:3], 0 offset:20
	v_cmp_gt_u32_e32 vcc, 5, v0
	s_waitcnt vmcnt(0)
	ds_write_b32 v58, v60
	s_waitcnt lgkmcnt(0)
	; wave barrier
	s_waitcnt lgkmcnt(0)
	s_and_saveexec_b64 s[6:7], vcc
	s_cbranch_execz .LBB91_310
; %bb.301:
	s_and_b64 vcc, exec, s[4:5]
	s_cbranch_vccnz .LBB91_303
; %bb.302:
	buffer_load_dword v60, v59, s[0:3], 0 offen
	ds_read_b32 v61, v58
	s_waitcnt vmcnt(0) lgkmcnt(0)
	v_mul_f32_e32 v60, v60, v61
	s_cbranch_execz .LBB91_304
	s_branch .LBB91_305
.LBB91_303:
                                        ; implicit-def: $vgpr60
.LBB91_304:
	ds_read_b32 v60, v58
.LBB91_305:
	v_cmp_ne_u32_e32 vcc, 4, v0
	s_and_saveexec_b64 s[8:9], vcc
	s_cbranch_execz .LBB91_309
; %bb.306:
	v_mov_b32_e32 v62, 0
	v_add_u32_e32 v61, 0x74, v1
	v_add3_u32 v62, v1, v62, 4
	s_mov_b64 s[10:11], 0
	v_mov_b32_e32 v63, v0
.LBB91_307:                             ; =>This Inner Loop Header: Depth=1
	buffer_load_dword v64, v62, s[0:3], 0 offen
	ds_read_b32 v65, v61
	v_add_u32_e32 v63, 1, v63
	v_cmp_lt_u32_e32 vcc, 3, v63
	v_add_u32_e32 v61, 4, v61
	v_add_u32_e32 v62, 4, v62
	s_or_b64 s[10:11], vcc, s[10:11]
	s_waitcnt vmcnt(0) lgkmcnt(0)
	v_fmac_f32_e32 v60, v64, v65
	s_andn2_b64 exec, exec, s[10:11]
	s_cbranch_execnz .LBB91_307
; %bb.308:
	s_or_b64 exec, exec, s[10:11]
.LBB91_309:
	s_or_b64 exec, exec, s[8:9]
	v_mov_b32_e32 v61, 0
	ds_read_b32 v61, v61 offset:20
	s_waitcnt lgkmcnt(0)
	v_mul_f32_e32 v60, v60, v61
	buffer_store_dword v60, off, s[0:3], 0 offset:20
.LBB91_310:
	;; [unrolled: 56-line block ×22, first 2 shown]
	s_or_b64 exec, exec, s[6:7]
	buffer_load_dword v60, off, s[0:3], 0 offset:104
	v_cmp_gt_u32_e64 s[6:7], 26, v0
	s_waitcnt vmcnt(0)
	ds_write_b32 v58, v60
	s_waitcnt lgkmcnt(0)
	; wave barrier
	s_waitcnt lgkmcnt(0)
	s_and_saveexec_b64 s[8:9], s[6:7]
	s_cbranch_execz .LBB91_520
; %bb.511:
	s_and_b64 vcc, exec, s[4:5]
	s_cbranch_vccnz .LBB91_513
; %bb.512:
	buffer_load_dword v60, v59, s[0:3], 0 offen
	ds_read_b32 v61, v58
	s_waitcnt vmcnt(0) lgkmcnt(0)
	v_mul_f32_e32 v60, v60, v61
	s_cbranch_execz .LBB91_514
	s_branch .LBB91_515
.LBB91_513:
                                        ; implicit-def: $vgpr60
.LBB91_514:
	ds_read_b32 v60, v58
.LBB91_515:
	v_cmp_ne_u32_e32 vcc, 25, v0
	s_and_saveexec_b64 s[10:11], vcc
	s_cbranch_execz .LBB91_519
; %bb.516:
	v_mov_b32_e32 v62, 0
	v_add_u32_e32 v61, 0x74, v1
	v_add3_u32 v62, v1, v62, 4
	s_mov_b64 s[12:13], 0
	v_mov_b32_e32 v63, v0
.LBB91_517:                             ; =>This Inner Loop Header: Depth=1
	buffer_load_dword v64, v62, s[0:3], 0 offen
	ds_read_b32 v65, v61
	v_add_u32_e32 v63, 1, v63
	v_cmp_lt_u32_e32 vcc, 24, v63
	v_add_u32_e32 v61, 4, v61
	v_add_u32_e32 v62, 4, v62
	s_or_b64 s[12:13], vcc, s[12:13]
	s_waitcnt vmcnt(0) lgkmcnt(0)
	v_fmac_f32_e32 v60, v64, v65
	s_andn2_b64 exec, exec, s[12:13]
	s_cbranch_execnz .LBB91_517
; %bb.518:
	s_or_b64 exec, exec, s[12:13]
.LBB91_519:
	s_or_b64 exec, exec, s[10:11]
	v_mov_b32_e32 v61, 0
	ds_read_b32 v61, v61 offset:104
	s_waitcnt lgkmcnt(0)
	v_mul_f32_e32 v60, v60, v61
	buffer_store_dword v60, off, s[0:3], 0 offset:104
.LBB91_520:
	s_or_b64 exec, exec, s[8:9]
	buffer_load_dword v60, off, s[0:3], 0 offset:108
	v_cmp_ne_u32_e32 vcc, 27, v0
	s_waitcnt vmcnt(0)
	ds_write_b32 v58, v60
	s_waitcnt lgkmcnt(0)
	; wave barrier
	s_waitcnt lgkmcnt(0)
	s_and_saveexec_b64 s[8:9], vcc
	s_cbranch_execz .LBB91_530
; %bb.521:
	s_and_b64 vcc, exec, s[4:5]
	s_cbranch_vccnz .LBB91_523
; %bb.522:
	buffer_load_dword v59, v59, s[0:3], 0 offen
	ds_read_b32 v60, v58
	s_waitcnt vmcnt(0) lgkmcnt(0)
	v_mul_f32_e32 v59, v59, v60
	s_cbranch_execz .LBB91_524
	s_branch .LBB91_525
.LBB91_523:
                                        ; implicit-def: $vgpr59
.LBB91_524:
	ds_read_b32 v59, v58
.LBB91_525:
	s_and_saveexec_b64 s[4:5], s[6:7]
	s_cbranch_execz .LBB91_529
; %bb.526:
	v_mov_b32_e32 v60, 0
	v_add_u32_e32 v58, 0x74, v1
	v_add3_u32 v1, v1, v60, 4
	s_mov_b64 s[6:7], 0
.LBB91_527:                             ; =>This Inner Loop Header: Depth=1
	buffer_load_dword v60, v1, s[0:3], 0 offen
	ds_read_b32 v61, v58
	v_add_u32_e32 v0, 1, v0
	v_cmp_lt_u32_e32 vcc, 25, v0
	v_add_u32_e32 v58, 4, v58
	v_add_u32_e32 v1, 4, v1
	s_or_b64 s[6:7], vcc, s[6:7]
	s_waitcnt vmcnt(0) lgkmcnt(0)
	v_fmac_f32_e32 v59, v60, v61
	s_andn2_b64 exec, exec, s[6:7]
	s_cbranch_execnz .LBB91_527
; %bb.528:
	s_or_b64 exec, exec, s[6:7]
.LBB91_529:
	s_or_b64 exec, exec, s[4:5]
	v_mov_b32_e32 v0, 0
	ds_read_b32 v0, v0 offset:108
	s_waitcnt lgkmcnt(0)
	v_mul_f32_e32 v0, v59, v0
	buffer_store_dword v0, off, s[0:3], 0 offset:108
.LBB91_530:
	s_or_b64 exec, exec, s[8:9]
.LBB91_531:
	buffer_load_dword v0, off, s[0:3], 0
	buffer_load_dword v1, off, s[0:3], 0 offset:4
	buffer_load_dword v58, off, s[0:3], 0 offset:8
	;; [unrolled: 1-line block ×15, first 2 shown]
	s_waitcnt vmcnt(15)
	global_store_dword v[2:3], v0, off
	s_waitcnt vmcnt(15)
	global_store_dword v[46:47], v1, off
	buffer_load_dword v0, off, s[0:3], 0 offset:64
	s_nop 0
	buffer_load_dword v1, off, s[0:3], 0 offset:68
	buffer_load_dword v2, off, s[0:3], 0 offset:72
	;; [unrolled: 1-line block ×7, first 2 shown]
	s_waitcnt vmcnt(23)
	global_store_dword v[4:5], v58, off
	buffer_load_dword v4, off, s[0:3], 0 offset:96
	s_nop 0
	buffer_load_dword v5, off, s[0:3], 0 offset:100
	buffer_load_dword v58, off, s[0:3], 0 offset:104
	;; [unrolled: 1-line block ×3, first 2 shown]
	s_waitcnt vmcnt(27)
	global_store_dword v[6:7], v59, off
	s_waitcnt vmcnt(27)
	global_store_dword v[8:9], v60, off
	;; [unrolled: 2-line block ×25, first 2 shown]
.LBB91_532:
	s_endpgm
	.section	.rodata,"a",@progbits
	.p2align	6, 0x0
	.amdhsa_kernel _ZN9rocsolver6v33100L18trti2_kernel_smallILi28EfPKPfEEv13rocblas_fill_17rocblas_diagonal_T1_iil
		.amdhsa_group_segment_fixed_size 224
		.amdhsa_private_segment_fixed_size 128
		.amdhsa_kernarg_size 32
		.amdhsa_user_sgpr_count 8
		.amdhsa_user_sgpr_private_segment_buffer 1
		.amdhsa_user_sgpr_dispatch_ptr 0
		.amdhsa_user_sgpr_queue_ptr 0
		.amdhsa_user_sgpr_kernarg_segment_ptr 1
		.amdhsa_user_sgpr_dispatch_id 0
		.amdhsa_user_sgpr_flat_scratch_init 1
		.amdhsa_user_sgpr_kernarg_preload_length 0
		.amdhsa_user_sgpr_kernarg_preload_offset 0
		.amdhsa_user_sgpr_private_segment_size 0
		.amdhsa_uses_dynamic_stack 0
		.amdhsa_system_sgpr_private_segment_wavefront_offset 1
		.amdhsa_system_sgpr_workgroup_id_x 1
		.amdhsa_system_sgpr_workgroup_id_y 0
		.amdhsa_system_sgpr_workgroup_id_z 0
		.amdhsa_system_sgpr_workgroup_info 0
		.amdhsa_system_vgpr_workitem_id 0
		.amdhsa_next_free_vgpr 77
		.amdhsa_next_free_sgpr 16
		.amdhsa_accum_offset 80
		.amdhsa_reserve_vcc 1
		.amdhsa_reserve_flat_scratch 0
		.amdhsa_float_round_mode_32 0
		.amdhsa_float_round_mode_16_64 0
		.amdhsa_float_denorm_mode_32 3
		.amdhsa_float_denorm_mode_16_64 3
		.amdhsa_dx10_clamp 1
		.amdhsa_ieee_mode 1
		.amdhsa_fp16_overflow 0
		.amdhsa_tg_split 0
		.amdhsa_exception_fp_ieee_invalid_op 0
		.amdhsa_exception_fp_denorm_src 0
		.amdhsa_exception_fp_ieee_div_zero 0
		.amdhsa_exception_fp_ieee_overflow 0
		.amdhsa_exception_fp_ieee_underflow 0
		.amdhsa_exception_fp_ieee_inexact 0
		.amdhsa_exception_int_div_zero 0
	.end_amdhsa_kernel
	.section	.text._ZN9rocsolver6v33100L18trti2_kernel_smallILi28EfPKPfEEv13rocblas_fill_17rocblas_diagonal_T1_iil,"axG",@progbits,_ZN9rocsolver6v33100L18trti2_kernel_smallILi28EfPKPfEEv13rocblas_fill_17rocblas_diagonal_T1_iil,comdat
.Lfunc_end91:
	.size	_ZN9rocsolver6v33100L18trti2_kernel_smallILi28EfPKPfEEv13rocblas_fill_17rocblas_diagonal_T1_iil, .Lfunc_end91-_ZN9rocsolver6v33100L18trti2_kernel_smallILi28EfPKPfEEv13rocblas_fill_17rocblas_diagonal_T1_iil
                                        ; -- End function
	.section	.AMDGPU.csdata,"",@progbits
; Kernel info:
; codeLenInByte = 13572
; NumSgprs: 20
; NumVgprs: 77
; NumAgprs: 0
; TotalNumVgprs: 77
; ScratchSize: 128
; MemoryBound: 0
; FloatMode: 240
; IeeeMode: 1
; LDSByteSize: 224 bytes/workgroup (compile time only)
; SGPRBlocks: 2
; VGPRBlocks: 9
; NumSGPRsForWavesPerEU: 20
; NumVGPRsForWavesPerEU: 77
; AccumOffset: 80
; Occupancy: 6
; WaveLimiterHint : 1
; COMPUTE_PGM_RSRC2:SCRATCH_EN: 1
; COMPUTE_PGM_RSRC2:USER_SGPR: 8
; COMPUTE_PGM_RSRC2:TRAP_HANDLER: 0
; COMPUTE_PGM_RSRC2:TGID_X_EN: 1
; COMPUTE_PGM_RSRC2:TGID_Y_EN: 0
; COMPUTE_PGM_RSRC2:TGID_Z_EN: 0
; COMPUTE_PGM_RSRC2:TIDIG_COMP_CNT: 0
; COMPUTE_PGM_RSRC3_GFX90A:ACCUM_OFFSET: 19
; COMPUTE_PGM_RSRC3_GFX90A:TG_SPLIT: 0
	.section	.text._ZN9rocsolver6v33100L18trti2_kernel_smallILi29EfPKPfEEv13rocblas_fill_17rocblas_diagonal_T1_iil,"axG",@progbits,_ZN9rocsolver6v33100L18trti2_kernel_smallILi29EfPKPfEEv13rocblas_fill_17rocblas_diagonal_T1_iil,comdat
	.globl	_ZN9rocsolver6v33100L18trti2_kernel_smallILi29EfPKPfEEv13rocblas_fill_17rocblas_diagonal_T1_iil ; -- Begin function _ZN9rocsolver6v33100L18trti2_kernel_smallILi29EfPKPfEEv13rocblas_fill_17rocblas_diagonal_T1_iil
	.p2align	8
	.type	_ZN9rocsolver6v33100L18trti2_kernel_smallILi29EfPKPfEEv13rocblas_fill_17rocblas_diagonal_T1_iil,@function
_ZN9rocsolver6v33100L18trti2_kernel_smallILi29EfPKPfEEv13rocblas_fill_17rocblas_diagonal_T1_iil: ; @_ZN9rocsolver6v33100L18trti2_kernel_smallILi29EfPKPfEEv13rocblas_fill_17rocblas_diagonal_T1_iil
; %bb.0:
	s_add_u32 s0, s0, s9
	s_addc_u32 s1, s1, 0
	v_cmp_gt_u32_e32 vcc, 29, v0
	s_and_saveexec_b64 s[6:7], vcc
	s_cbranch_execz .LBB92_552
; %bb.1:
	s_load_dwordx2 s[6:7], s[4:5], 0x10
	s_load_dwordx4 s[12:15], s[4:5], 0x0
	s_ashr_i32 s9, s8, 31
	s_lshl_b64 s[4:5], s[8:9], 3
	v_lshlrev_b32_e32 v1, 2, v0
	s_waitcnt lgkmcnt(0)
	s_ashr_i32 s9, s6, 31
	s_add_u32 s4, s14, s4
	s_addc_u32 s5, s15, s5
	s_load_dwordx2 s[4:5], s[4:5], 0x0
	s_mov_b32 s8, s6
	s_lshl_b64 s[8:9], s[8:9], 2
	s_waitcnt lgkmcnt(0)
	s_add_u32 s4, s4, s8
	s_addc_u32 s5, s5, s9
	s_add_i32 s6, s7, s7
	v_add_u32_e32 v4, s6, v0
	v_ashrrev_i32_e32 v5, 31, v4
	v_lshlrev_b64 v[2:3], 2, v[4:5]
	v_add_u32_e32 v6, s7, v4
	v_mov_b32_e32 v5, s5
	v_add_co_u32_e32 v2, vcc, s4, v2
	v_ashrrev_i32_e32 v7, 31, v6
	v_addc_co_u32_e32 v3, vcc, v5, v3, vcc
	v_lshlrev_b64 v[4:5], 2, v[6:7]
	v_add_u32_e32 v8, s7, v6
	v_mov_b32_e32 v7, s5
	v_add_co_u32_e32 v4, vcc, s4, v4
	v_ashrrev_i32_e32 v9, 31, v8
	v_addc_co_u32_e32 v5, vcc, v7, v5, vcc
	;; [unrolled: 6-line block ×17, first 2 shown]
	v_lshlrev_b64 v[36:37], 2, v[38:39]
	v_mov_b32_e32 v39, s5
	v_add_co_u32_e32 v36, vcc, s4, v36
	v_addc_co_u32_e32 v37, vcc, v39, v37, vcc
	v_mov_b32_e32 v42, s5
	v_add_u32_e32 v40, s7, v38
	v_add_co_u32_e32 v52, vcc, s4, v1
	s_ashr_i32 s9, s7, 31
	s_mov_b32 s8, s7
	v_ashrrev_i32_e32 v41, 31, v40
	v_addc_co_u32_e32 v53, vcc, 0, v42, vcc
	s_lshl_b64 s[8:9], s[8:9], 2
	v_lshlrev_b64 v[38:39], 2, v[40:41]
	v_mov_b32_e32 v41, s9
	v_add_co_u32_e32 v56, vcc, s8, v52
	v_addc_co_u32_e32 v57, vcc, v53, v41, vcc
	global_load_dword v60, v1, s[4:5]
	global_load_dword v61, v[56:57], off
	v_add_u32_e32 v42, s7, v40
	v_mov_b32_e32 v41, s5
	v_add_co_u32_e32 v38, vcc, s4, v38
	v_ashrrev_i32_e32 v43, 31, v42
	v_addc_co_u32_e32 v39, vcc, v41, v39, vcc
	v_lshlrev_b64 v[40:41], 2, v[42:43]
	v_add_u32_e32 v44, s7, v42
	v_mov_b32_e32 v43, s5
	v_add_co_u32_e32 v40, vcc, s4, v40
	v_ashrrev_i32_e32 v45, 31, v44
	v_addc_co_u32_e32 v41, vcc, v43, v41, vcc
	v_lshlrev_b64 v[42:43], 2, v[44:45]
	;; [unrolled: 6-line block ×7, first 2 shown]
	v_mov_b32_e32 v59, s5
	v_add_co_u32_e32 v54, vcc, s4, v54
	v_add_u32_e32 v58, s7, v58
	v_addc_co_u32_e32 v55, vcc, v59, v55, vcc
	v_ashrrev_i32_e32 v59, 31, v58
	v_lshlrev_b64 v[58:59], 2, v[58:59]
	v_mov_b32_e32 v62, s5
	v_add_co_u32_e32 v58, vcc, s4, v58
	v_addc_co_u32_e32 v59, vcc, v62, v59, vcc
	global_load_dword v62, v[2:3], off
	global_load_dword v63, v[4:5], off
	;; [unrolled: 1-line block ×9, first 2 shown]
	s_waitcnt vmcnt(10)
	buffer_store_dword v60, off, s[0:3], 0
	s_waitcnt vmcnt(10)
	buffer_store_dword v61, off, s[0:3], 0 offset:4
	global_load_dword v60, v[22:23], off
	s_nop 0
	global_load_dword v61, v[24:25], off
	global_load_dword v71, v[26:27], off
	;; [unrolled: 1-line block ×6, first 2 shown]
	s_waitcnt vmcnt(17)
	buffer_store_dword v62, off, s[0:3], 0 offset:8
	s_waitcnt vmcnt(17)
	buffer_store_dword v63, off, s[0:3], 0 offset:12
	;; [unrolled: 2-line block ×8, first 2 shown]
	global_load_dword v62, v[32:33], off
	global_load_dword v63, v[34:35], off
	;; [unrolled: 1-line block ×8, first 2 shown]
	s_waitcnt vmcnt(17)
	buffer_store_dword v74, off, s[0:3], 0 offset:44
	s_waitcnt vmcnt(17)
	buffer_store_dword v75, off, s[0:3], 0 offset:40
	buffer_store_dword v60, off, s[0:3], 0 offset:48
	global_load_dword v74, v[48:49], off
	s_nop 0
	global_load_dword v60, v[54:55], off
	global_load_dword v75, v[50:51], off
	s_cmpk_lg_i32 s13, 0x84
	buffer_store_dword v61, off, s[0:3], 0 offset:52
	buffer_store_dword v71, off, s[0:3], 0 offset:56
	;; [unrolled: 1-line block ×4, first 2 shown]
	s_waitcnt vmcnt(17)
	buffer_store_dword v62, off, s[0:3], 0 offset:68
	s_waitcnt vmcnt(17)
	buffer_store_dword v63, off, s[0:3], 0 offset:72
	;; [unrolled: 2-line block ×5, first 2 shown]
	buffer_store_dword v66, off, s[0:3], 0 offset:92
	buffer_store_dword v67, off, s[0:3], 0 offset:88
	s_waitcnt vmcnt(13)
	buffer_store_dword v74, off, s[0:3], 0 offset:100
	buffer_store_dword v65, off, s[0:3], 0 offset:96
	s_waitcnt vmcnt(14)
	buffer_store_dword v60, off, s[0:3], 0 offset:108
	s_waitcnt vmcnt(14)
	buffer_store_dword v75, off, s[0:3], 0 offset:104
	buffer_store_dword v70, off, s[0:3], 0 offset:112
	s_cselect_b64 s[10:11], -1, 0
	s_cmpk_eq_i32 s13, 0x84
	v_mov_b32_e32 v74, 0
	v_mov_b32_e32 v60, -1.0
	s_cbranch_scc1 .LBB92_3
; %bb.2:
	v_lshl_add_u32 v60, v0, 2, v74
	buffer_load_dword v61, v60, s[0:3], 0 offen
	s_waitcnt vmcnt(0)
	v_div_scale_f32 v62, s[4:5], v61, v61, 1.0
	v_rcp_f32_e32 v63, v62
	v_div_scale_f32 v64, vcc, 1.0, v61, 1.0
	v_fma_f32 v65, -v62, v63, 1.0
	v_fmac_f32_e32 v63, v65, v63
	v_mul_f32_e32 v65, v64, v63
	v_fma_f32 v66, -v62, v65, v64
	v_fmac_f32_e32 v65, v66, v63
	v_fma_f32 v62, -v62, v65, v64
	v_div_fmas_f32 v62, v62, v63, v65
	v_div_fixup_f32 v61, v62, v61, 1.0
	buffer_store_dword v61, v60, s[0:3], 0 offen
	v_xor_b32_e32 v60, 0x80000000, v61
.LBB92_3:
	ds_write_b32 v1, v60
	s_cmpk_eq_i32 s12, 0x79
	v_add_u32_e32 v60, 0x80, v1
	v_add_u32_e32 v61, 0, v1
	s_mov_b64 s[4:5], -1
	s_cbranch_scc1 .LBB92_277
; %bb.4:
	buffer_load_dword v62, off, s[0:3], 0 offset:108
	v_cmp_eq_u32_e64 s[4:5], 28, v0
	s_waitcnt vmcnt(0)
	ds_write_b32 v60, v62
	s_waitcnt lgkmcnt(0)
	; wave barrier
	s_waitcnt lgkmcnt(0)
	s_and_saveexec_b64 s[6:7], s[4:5]
	s_cbranch_execz .LBB92_10
; %bb.5:
	s_and_b64 vcc, exec, s[10:11]
	s_cbranch_vccz .LBB92_7
; %bb.6:
	buffer_load_dword v62, v61, s[0:3], 0 offen
	ds_read_b32 v63, v60
	s_waitcnt vmcnt(0) lgkmcnt(0)
	v_mul_f32_e32 v62, v62, v63
	s_cbranch_execz .LBB92_8
	s_branch .LBB92_9
.LBB92_7:
                                        ; implicit-def: $vgpr62
.LBB92_8:
	ds_read_b32 v62, v60
.LBB92_9:
	v_mov_b32_e32 v63, 0
	ds_read_b32 v63, v63 offset:108
	s_waitcnt lgkmcnt(0)
	v_mul_f32_e32 v62, v62, v63
	buffer_store_dword v62, off, s[0:3], 0 offset:108
.LBB92_10:
	s_or_b64 exec, exec, s[6:7]
	buffer_load_dword v75, off, s[0:3], 0 offset:104
	v_or_b32_e32 v62, 8, v74
	v_add_u32_e32 v63, 16, v74
	v_add_u32_e32 v64, 24, v74
	;; [unrolled: 1-line block ×12, first 2 shown]
	v_cmp_lt_u32_e64 s[8:9], 26, v0
	s_waitcnt vmcnt(0)
	ds_write_b32 v60, v75
	s_waitcnt lgkmcnt(0)
	; wave barrier
	s_waitcnt lgkmcnt(0)
	s_and_saveexec_b64 s[6:7], s[8:9]
	s_cbranch_execz .LBB92_16
; %bb.11:
	s_andn2_b64 vcc, exec, s[10:11]
	s_cbranch_vccnz .LBB92_13
; %bb.12:
	buffer_load_dword v75, v61, s[0:3], 0 offen
	ds_read_b32 v76, v60
	s_waitcnt vmcnt(0) lgkmcnt(0)
	v_mul_f32_e32 v75, v75, v76
	s_cbranch_execz .LBB92_14
	s_branch .LBB92_15
.LBB92_13:
                                        ; implicit-def: $vgpr75
.LBB92_14:
	ds_read_b32 v75, v60
.LBB92_15:
	buffer_load_dword v78, off, s[0:3], 0 offset:108
	v_mov_b32_e32 v76, 0
	ds_read2_b32 v[76:77], v76 offset0:26 offset1:59
	s_waitcnt vmcnt(0) lgkmcnt(0)
	v_fma_f32 v77, v78, v77, v75
	v_cndmask_b32_e64 v75, v75, v77, s[4:5]
	v_mul_f32_e32 v75, v75, v76
	buffer_store_dword v75, off, s[0:3], 0 offset:104
.LBB92_16:
	s_or_b64 exec, exec, s[6:7]
	buffer_load_dword v75, off, s[0:3], 0 offset:100
	v_cmp_lt_u32_e64 s[6:7], 25, v0
	s_waitcnt vmcnt(0)
	ds_write_b32 v60, v75
	s_waitcnt lgkmcnt(0)
	; wave barrier
	s_waitcnt lgkmcnt(0)
	s_and_saveexec_b64 s[4:5], s[6:7]
	s_cbranch_execz .LBB92_26
; %bb.17:
	s_andn2_b64 vcc, exec, s[10:11]
	s_cbranch_vccnz .LBB92_19
; %bb.18:
	buffer_load_dword v75, v61, s[0:3], 0 offen
	ds_read_b32 v76, v60
	s_waitcnt vmcnt(0) lgkmcnt(0)
	v_mul_f32_e32 v75, v75, v76
	s_cbranch_execz .LBB92_20
	s_branch .LBB92_21
.LBB92_19:
                                        ; implicit-def: $vgpr75
.LBB92_20:
	ds_read_b32 v75, v60
.LBB92_21:
	s_and_saveexec_b64 s[12:13], s[8:9]
	s_cbranch_execz .LBB92_25
; %bb.22:
	v_subrev_u32_e32 v76, 26, v0
	s_movk_i32 s14, 0xe8
	s_mov_b64 s[8:9], 0
.LBB92_23:                              ; =>This Inner Loop Header: Depth=1
	buffer_load_dword v77, v74, s[0:3], 0 offen
	v_mov_b32_e32 v78, s14
	ds_read_b32 v78, v78
	v_add_u32_e32 v76, -1, v76
	s_add_i32 s14, s14, 4
	v_cmp_eq_u32_e32 vcc, 0, v76
	v_add_u32_e32 v74, 4, v74
	s_or_b64 s[8:9], vcc, s[8:9]
	s_waitcnt vmcnt(0) lgkmcnt(0)
	v_fmac_f32_e32 v75, v77, v78
	s_andn2_b64 exec, exec, s[8:9]
	s_cbranch_execnz .LBB92_23
; %bb.24:
	s_or_b64 exec, exec, s[8:9]
.LBB92_25:
	s_or_b64 exec, exec, s[12:13]
	v_mov_b32_e32 v74, 0
	ds_read_b32 v74, v74 offset:100
	s_waitcnt lgkmcnt(0)
	v_mul_f32_e32 v74, v75, v74
	buffer_store_dword v74, off, s[0:3], 0 offset:100
.LBB92_26:
	s_or_b64 exec, exec, s[4:5]
	buffer_load_dword v74, off, s[0:3], 0 offset:96
	v_cmp_lt_u32_e64 s[4:5], 24, v0
	s_waitcnt vmcnt(0)
	ds_write_b32 v60, v74
	s_waitcnt lgkmcnt(0)
	; wave barrier
	s_waitcnt lgkmcnt(0)
	s_and_saveexec_b64 s[8:9], s[4:5]
	s_cbranch_execz .LBB92_36
; %bb.27:
	s_andn2_b64 vcc, exec, s[10:11]
	s_cbranch_vccnz .LBB92_29
; %bb.28:
	buffer_load_dword v74, v61, s[0:3], 0 offen
	ds_read_b32 v75, v60
	s_waitcnt vmcnt(0) lgkmcnt(0)
	v_mul_f32_e32 v74, v74, v75
	s_cbranch_execz .LBB92_30
	s_branch .LBB92_31
.LBB92_29:
                                        ; implicit-def: $vgpr74
.LBB92_30:
	ds_read_b32 v74, v60
.LBB92_31:
	s_and_saveexec_b64 s[12:13], s[6:7]
	s_cbranch_execz .LBB92_35
; %bb.32:
	v_mov_b32_e32 v75, 0
	v_add_u32_e32 v75, 0x64, v75
	v_subrev_u32_e32 v76, 25, v0
	s_movk_i32 s14, 0xe4
	s_mov_b64 s[6:7], 0
.LBB92_33:                              ; =>This Inner Loop Header: Depth=1
	buffer_load_dword v77, v75, s[0:3], 0 offen
	v_mov_b32_e32 v78, s14
	ds_read_b32 v78, v78
	v_add_u32_e32 v76, -1, v76
	s_add_i32 s14, s14, 4
	v_cmp_eq_u32_e32 vcc, 0, v76
	v_add_u32_e32 v75, 4, v75
	s_or_b64 s[6:7], vcc, s[6:7]
	s_waitcnt vmcnt(0) lgkmcnt(0)
	v_fmac_f32_e32 v74, v77, v78
	s_andn2_b64 exec, exec, s[6:7]
	s_cbranch_execnz .LBB92_33
; %bb.34:
	s_or_b64 exec, exec, s[6:7]
.LBB92_35:
	s_or_b64 exec, exec, s[12:13]
	v_mov_b32_e32 v75, 0
	ds_read_b32 v75, v75 offset:96
	s_waitcnt lgkmcnt(0)
	v_mul_f32_e32 v74, v74, v75
	buffer_store_dword v74, off, s[0:3], 0 offset:96
.LBB92_36:
	s_or_b64 exec, exec, s[8:9]
	buffer_load_dword v74, off, s[0:3], 0 offset:92
	v_cmp_lt_u32_e64 s[6:7], 23, v0
	s_waitcnt vmcnt(0)
	ds_write_b32 v60, v74
	s_waitcnt lgkmcnt(0)
	; wave barrier
	s_waitcnt lgkmcnt(0)
	s_and_saveexec_b64 s[8:9], s[6:7]
	s_cbranch_execz .LBB92_46
; %bb.37:
	s_andn2_b64 vcc, exec, s[10:11]
	s_cbranch_vccnz .LBB92_39
; %bb.38:
	buffer_load_dword v74, v61, s[0:3], 0 offen
	ds_read_b32 v75, v60
	s_waitcnt vmcnt(0) lgkmcnt(0)
	v_mul_f32_e32 v74, v74, v75
	s_cbranch_execz .LBB92_40
	s_branch .LBB92_41
.LBB92_39:
                                        ; implicit-def: $vgpr74
.LBB92_40:
	ds_read_b32 v74, v60
.LBB92_41:
	s_and_saveexec_b64 s[12:13], s[4:5]
	s_cbranch_execz .LBB92_45
; %bb.42:
	v_subrev_u32_e32 v75, 24, v0
	s_movk_i32 s14, 0xe0
	s_mov_b64 s[4:5], 0
.LBB92_43:                              ; =>This Inner Loop Header: Depth=1
	buffer_load_dword v76, v73, s[0:3], 0 offen
	v_mov_b32_e32 v77, s14
	ds_read_b32 v77, v77
	v_add_u32_e32 v75, -1, v75
	s_add_i32 s14, s14, 4
	v_cmp_eq_u32_e32 vcc, 0, v75
	v_add_u32_e32 v73, 4, v73
	s_or_b64 s[4:5], vcc, s[4:5]
	s_waitcnt vmcnt(0) lgkmcnt(0)
	v_fmac_f32_e32 v74, v76, v77
	s_andn2_b64 exec, exec, s[4:5]
	s_cbranch_execnz .LBB92_43
; %bb.44:
	s_or_b64 exec, exec, s[4:5]
.LBB92_45:
	s_or_b64 exec, exec, s[12:13]
	v_mov_b32_e32 v73, 0
	ds_read_b32 v73, v73 offset:92
	s_waitcnt lgkmcnt(0)
	v_mul_f32_e32 v73, v74, v73
	buffer_store_dword v73, off, s[0:3], 0 offset:92
.LBB92_46:
	s_or_b64 exec, exec, s[8:9]
	buffer_load_dword v73, off, s[0:3], 0 offset:88
	v_cmp_lt_u32_e64 s[4:5], 22, v0
	s_waitcnt vmcnt(0)
	ds_write_b32 v60, v73
	s_waitcnt lgkmcnt(0)
	; wave barrier
	s_waitcnt lgkmcnt(0)
	s_and_saveexec_b64 s[8:9], s[4:5]
	s_cbranch_execz .LBB92_56
; %bb.47:
	s_andn2_b64 vcc, exec, s[10:11]
	s_cbranch_vccnz .LBB92_49
; %bb.48:
	buffer_load_dword v73, v61, s[0:3], 0 offen
	ds_read_b32 v74, v60
	s_waitcnt vmcnt(0) lgkmcnt(0)
	v_mul_f32_e32 v73, v73, v74
	s_cbranch_execz .LBB92_50
	s_branch .LBB92_51
.LBB92_49:
                                        ; implicit-def: $vgpr73
.LBB92_50:
	ds_read_b32 v73, v60
.LBB92_51:
	s_and_saveexec_b64 s[12:13], s[6:7]
	s_cbranch_execz .LBB92_55
; %bb.52:
	v_mov_b32_e32 v74, 0
	v_add_u32_e32 v74, 0x5c, v74
	v_subrev_u32_e32 v75, 23, v0
	s_movk_i32 s14, 0xdc
	s_mov_b64 s[6:7], 0
.LBB92_53:                              ; =>This Inner Loop Header: Depth=1
	buffer_load_dword v76, v74, s[0:3], 0 offen
	v_mov_b32_e32 v77, s14
	ds_read_b32 v77, v77
	v_add_u32_e32 v75, -1, v75
	s_add_i32 s14, s14, 4
	v_cmp_eq_u32_e32 vcc, 0, v75
	v_add_u32_e32 v74, 4, v74
	s_or_b64 s[6:7], vcc, s[6:7]
	s_waitcnt vmcnt(0) lgkmcnt(0)
	v_fmac_f32_e32 v73, v76, v77
	s_andn2_b64 exec, exec, s[6:7]
	s_cbranch_execnz .LBB92_53
; %bb.54:
	s_or_b64 exec, exec, s[6:7]
.LBB92_55:
	s_or_b64 exec, exec, s[12:13]
	v_mov_b32_e32 v74, 0
	ds_read_b32 v74, v74 offset:88
	s_waitcnt lgkmcnt(0)
	v_mul_f32_e32 v73, v73, v74
	buffer_store_dword v73, off, s[0:3], 0 offset:88
.LBB92_56:
	s_or_b64 exec, exec, s[8:9]
	buffer_load_dword v73, off, s[0:3], 0 offset:84
	v_cmp_lt_u32_e64 s[6:7], 21, v0
	s_waitcnt vmcnt(0)
	ds_write_b32 v60, v73
	s_waitcnt lgkmcnt(0)
	; wave barrier
	s_waitcnt lgkmcnt(0)
	s_and_saveexec_b64 s[8:9], s[6:7]
	s_cbranch_execz .LBB92_66
; %bb.57:
	s_andn2_b64 vcc, exec, s[10:11]
	s_cbranch_vccnz .LBB92_59
; %bb.58:
	buffer_load_dword v73, v61, s[0:3], 0 offen
	ds_read_b32 v74, v60
	s_waitcnt vmcnt(0) lgkmcnt(0)
	v_mul_f32_e32 v73, v73, v74
	s_cbranch_execz .LBB92_60
	s_branch .LBB92_61
.LBB92_59:
                                        ; implicit-def: $vgpr73
.LBB92_60:
	ds_read_b32 v73, v60
.LBB92_61:
	s_and_saveexec_b64 s[12:13], s[4:5]
	s_cbranch_execz .LBB92_65
; %bb.62:
	v_subrev_u32_e32 v74, 22, v0
	s_movk_i32 s14, 0xd8
	s_mov_b64 s[4:5], 0
.LBB92_63:                              ; =>This Inner Loop Header: Depth=1
	buffer_load_dword v75, v72, s[0:3], 0 offen
	v_mov_b32_e32 v76, s14
	ds_read_b32 v76, v76
	v_add_u32_e32 v74, -1, v74
	s_add_i32 s14, s14, 4
	v_cmp_eq_u32_e32 vcc, 0, v74
	v_add_u32_e32 v72, 4, v72
	s_or_b64 s[4:5], vcc, s[4:5]
	s_waitcnt vmcnt(0) lgkmcnt(0)
	v_fmac_f32_e32 v73, v75, v76
	s_andn2_b64 exec, exec, s[4:5]
	s_cbranch_execnz .LBB92_63
; %bb.64:
	s_or_b64 exec, exec, s[4:5]
.LBB92_65:
	s_or_b64 exec, exec, s[12:13]
	v_mov_b32_e32 v72, 0
	ds_read_b32 v72, v72 offset:84
	s_waitcnt lgkmcnt(0)
	v_mul_f32_e32 v72, v73, v72
	buffer_store_dword v72, off, s[0:3], 0 offset:84
.LBB92_66:
	s_or_b64 exec, exec, s[8:9]
	buffer_load_dword v72, off, s[0:3], 0 offset:80
	v_cmp_lt_u32_e64 s[4:5], 20, v0
	s_waitcnt vmcnt(0)
	ds_write_b32 v60, v72
	s_waitcnt lgkmcnt(0)
	; wave barrier
	s_waitcnt lgkmcnt(0)
	s_and_saveexec_b64 s[8:9], s[4:5]
	s_cbranch_execz .LBB92_76
; %bb.67:
	s_andn2_b64 vcc, exec, s[10:11]
	s_cbranch_vccnz .LBB92_69
; %bb.68:
	buffer_load_dword v72, v61, s[0:3], 0 offen
	ds_read_b32 v73, v60
	s_waitcnt vmcnt(0) lgkmcnt(0)
	v_mul_f32_e32 v72, v72, v73
	s_cbranch_execz .LBB92_70
	s_branch .LBB92_71
.LBB92_69:
                                        ; implicit-def: $vgpr72
.LBB92_70:
	ds_read_b32 v72, v60
.LBB92_71:
	s_and_saveexec_b64 s[12:13], s[6:7]
	s_cbranch_execz .LBB92_75
; %bb.72:
	v_mov_b32_e32 v73, 0
	v_add_u32_e32 v73, 0x54, v73
	v_subrev_u32_e32 v74, 21, v0
	s_movk_i32 s14, 0xd4
	s_mov_b64 s[6:7], 0
.LBB92_73:                              ; =>This Inner Loop Header: Depth=1
	buffer_load_dword v75, v73, s[0:3], 0 offen
	v_mov_b32_e32 v76, s14
	ds_read_b32 v76, v76
	v_add_u32_e32 v74, -1, v74
	s_add_i32 s14, s14, 4
	v_cmp_eq_u32_e32 vcc, 0, v74
	v_add_u32_e32 v73, 4, v73
	s_or_b64 s[6:7], vcc, s[6:7]
	s_waitcnt vmcnt(0) lgkmcnt(0)
	v_fmac_f32_e32 v72, v75, v76
	s_andn2_b64 exec, exec, s[6:7]
	s_cbranch_execnz .LBB92_73
; %bb.74:
	s_or_b64 exec, exec, s[6:7]
.LBB92_75:
	s_or_b64 exec, exec, s[12:13]
	v_mov_b32_e32 v73, 0
	ds_read_b32 v73, v73 offset:80
	s_waitcnt lgkmcnt(0)
	v_mul_f32_e32 v72, v72, v73
	buffer_store_dword v72, off, s[0:3], 0 offset:80
.LBB92_76:
	s_or_b64 exec, exec, s[8:9]
	buffer_load_dword v72, off, s[0:3], 0 offset:76
	v_cmp_lt_u32_e64 s[6:7], 19, v0
	s_waitcnt vmcnt(0)
	ds_write_b32 v60, v72
	s_waitcnt lgkmcnt(0)
	; wave barrier
	s_waitcnt lgkmcnt(0)
	s_and_saveexec_b64 s[8:9], s[6:7]
	s_cbranch_execz .LBB92_86
; %bb.77:
	s_andn2_b64 vcc, exec, s[10:11]
	s_cbranch_vccnz .LBB92_79
; %bb.78:
	buffer_load_dword v72, v61, s[0:3], 0 offen
	ds_read_b32 v73, v60
	s_waitcnt vmcnt(0) lgkmcnt(0)
	v_mul_f32_e32 v72, v72, v73
	s_cbranch_execz .LBB92_80
	s_branch .LBB92_81
.LBB92_79:
                                        ; implicit-def: $vgpr72
.LBB92_80:
	ds_read_b32 v72, v60
.LBB92_81:
	s_and_saveexec_b64 s[12:13], s[4:5]
	s_cbranch_execz .LBB92_85
; %bb.82:
	v_subrev_u32_e32 v73, 20, v0
	s_movk_i32 s14, 0xd0
	s_mov_b64 s[4:5], 0
.LBB92_83:                              ; =>This Inner Loop Header: Depth=1
	buffer_load_dword v74, v71, s[0:3], 0 offen
	v_mov_b32_e32 v75, s14
	ds_read_b32 v75, v75
	v_add_u32_e32 v73, -1, v73
	s_add_i32 s14, s14, 4
	v_cmp_eq_u32_e32 vcc, 0, v73
	v_add_u32_e32 v71, 4, v71
	s_or_b64 s[4:5], vcc, s[4:5]
	s_waitcnt vmcnt(0) lgkmcnt(0)
	v_fmac_f32_e32 v72, v74, v75
	s_andn2_b64 exec, exec, s[4:5]
	s_cbranch_execnz .LBB92_83
; %bb.84:
	s_or_b64 exec, exec, s[4:5]
.LBB92_85:
	s_or_b64 exec, exec, s[12:13]
	v_mov_b32_e32 v71, 0
	ds_read_b32 v71, v71 offset:76
	s_waitcnt lgkmcnt(0)
	v_mul_f32_e32 v71, v72, v71
	buffer_store_dword v71, off, s[0:3], 0 offset:76
.LBB92_86:
	s_or_b64 exec, exec, s[8:9]
	buffer_load_dword v71, off, s[0:3], 0 offset:72
	v_cmp_lt_u32_e64 s[4:5], 18, v0
	s_waitcnt vmcnt(0)
	ds_write_b32 v60, v71
	s_waitcnt lgkmcnt(0)
	; wave barrier
	s_waitcnt lgkmcnt(0)
	s_and_saveexec_b64 s[8:9], s[4:5]
	s_cbranch_execz .LBB92_96
; %bb.87:
	s_andn2_b64 vcc, exec, s[10:11]
	s_cbranch_vccnz .LBB92_89
; %bb.88:
	buffer_load_dword v71, v61, s[0:3], 0 offen
	ds_read_b32 v72, v60
	s_waitcnt vmcnt(0) lgkmcnt(0)
	v_mul_f32_e32 v71, v71, v72
	s_cbranch_execz .LBB92_90
	s_branch .LBB92_91
.LBB92_89:
                                        ; implicit-def: $vgpr71
.LBB92_90:
	ds_read_b32 v71, v60
.LBB92_91:
	s_and_saveexec_b64 s[12:13], s[6:7]
	s_cbranch_execz .LBB92_95
; %bb.92:
	v_mov_b32_e32 v72, 0
	v_add_u32_e32 v72, 0x4c, v72
	v_subrev_u32_e32 v73, 19, v0
	s_movk_i32 s14, 0xcc
	s_mov_b64 s[6:7], 0
.LBB92_93:                              ; =>This Inner Loop Header: Depth=1
	buffer_load_dword v74, v72, s[0:3], 0 offen
	v_mov_b32_e32 v75, s14
	ds_read_b32 v75, v75
	v_add_u32_e32 v73, -1, v73
	s_add_i32 s14, s14, 4
	v_cmp_eq_u32_e32 vcc, 0, v73
	v_add_u32_e32 v72, 4, v72
	s_or_b64 s[6:7], vcc, s[6:7]
	s_waitcnt vmcnt(0) lgkmcnt(0)
	v_fmac_f32_e32 v71, v74, v75
	s_andn2_b64 exec, exec, s[6:7]
	s_cbranch_execnz .LBB92_93
; %bb.94:
	s_or_b64 exec, exec, s[6:7]
.LBB92_95:
	s_or_b64 exec, exec, s[12:13]
	v_mov_b32_e32 v72, 0
	ds_read_b32 v72, v72 offset:72
	s_waitcnt lgkmcnt(0)
	v_mul_f32_e32 v71, v71, v72
	buffer_store_dword v71, off, s[0:3], 0 offset:72
.LBB92_96:
	s_or_b64 exec, exec, s[8:9]
	buffer_load_dword v71, off, s[0:3], 0 offset:68
	v_cmp_lt_u32_e64 s[6:7], 17, v0
	s_waitcnt vmcnt(0)
	ds_write_b32 v60, v71
	s_waitcnt lgkmcnt(0)
	; wave barrier
	s_waitcnt lgkmcnt(0)
	s_and_saveexec_b64 s[8:9], s[6:7]
	s_cbranch_execz .LBB92_106
; %bb.97:
	s_andn2_b64 vcc, exec, s[10:11]
	s_cbranch_vccnz .LBB92_99
; %bb.98:
	buffer_load_dword v71, v61, s[0:3], 0 offen
	ds_read_b32 v72, v60
	s_waitcnt vmcnt(0) lgkmcnt(0)
	v_mul_f32_e32 v71, v71, v72
	s_cbranch_execz .LBB92_100
	s_branch .LBB92_101
.LBB92_99:
                                        ; implicit-def: $vgpr71
.LBB92_100:
	ds_read_b32 v71, v60
.LBB92_101:
	s_and_saveexec_b64 s[12:13], s[4:5]
	s_cbranch_execz .LBB92_105
; %bb.102:
	v_subrev_u32_e32 v72, 18, v0
	s_movk_i32 s14, 0xc8
	s_mov_b64 s[4:5], 0
.LBB92_103:                             ; =>This Inner Loop Header: Depth=1
	buffer_load_dword v73, v70, s[0:3], 0 offen
	v_mov_b32_e32 v74, s14
	ds_read_b32 v74, v74
	v_add_u32_e32 v72, -1, v72
	s_add_i32 s14, s14, 4
	v_cmp_eq_u32_e32 vcc, 0, v72
	v_add_u32_e32 v70, 4, v70
	s_or_b64 s[4:5], vcc, s[4:5]
	s_waitcnt vmcnt(0) lgkmcnt(0)
	v_fmac_f32_e32 v71, v73, v74
	s_andn2_b64 exec, exec, s[4:5]
	s_cbranch_execnz .LBB92_103
; %bb.104:
	s_or_b64 exec, exec, s[4:5]
.LBB92_105:
	s_or_b64 exec, exec, s[12:13]
	v_mov_b32_e32 v70, 0
	ds_read_b32 v70, v70 offset:68
	s_waitcnt lgkmcnt(0)
	v_mul_f32_e32 v70, v71, v70
	buffer_store_dword v70, off, s[0:3], 0 offset:68
.LBB92_106:
	s_or_b64 exec, exec, s[8:9]
	buffer_load_dword v70, off, s[0:3], 0 offset:64
	v_cmp_lt_u32_e64 s[4:5], 16, v0
	s_waitcnt vmcnt(0)
	ds_write_b32 v60, v70
	s_waitcnt lgkmcnt(0)
	; wave barrier
	s_waitcnt lgkmcnt(0)
	s_and_saveexec_b64 s[8:9], s[4:5]
	s_cbranch_execz .LBB92_116
; %bb.107:
	s_andn2_b64 vcc, exec, s[10:11]
	s_cbranch_vccnz .LBB92_109
; %bb.108:
	buffer_load_dword v70, v61, s[0:3], 0 offen
	ds_read_b32 v71, v60
	s_waitcnt vmcnt(0) lgkmcnt(0)
	v_mul_f32_e32 v70, v70, v71
	s_cbranch_execz .LBB92_110
	s_branch .LBB92_111
.LBB92_109:
                                        ; implicit-def: $vgpr70
.LBB92_110:
	ds_read_b32 v70, v60
.LBB92_111:
	s_and_saveexec_b64 s[12:13], s[6:7]
	s_cbranch_execz .LBB92_115
; %bb.112:
	v_mov_b32_e32 v71, 0
	v_add_u32_e32 v71, 0x44, v71
	v_subrev_u32_e32 v72, 17, v0
	s_movk_i32 s14, 0xc4
	s_mov_b64 s[6:7], 0
.LBB92_113:                             ; =>This Inner Loop Header: Depth=1
	buffer_load_dword v73, v71, s[0:3], 0 offen
	v_mov_b32_e32 v74, s14
	ds_read_b32 v74, v74
	v_add_u32_e32 v72, -1, v72
	s_add_i32 s14, s14, 4
	v_cmp_eq_u32_e32 vcc, 0, v72
	v_add_u32_e32 v71, 4, v71
	s_or_b64 s[6:7], vcc, s[6:7]
	s_waitcnt vmcnt(0) lgkmcnt(0)
	v_fmac_f32_e32 v70, v73, v74
	s_andn2_b64 exec, exec, s[6:7]
	s_cbranch_execnz .LBB92_113
; %bb.114:
	s_or_b64 exec, exec, s[6:7]
.LBB92_115:
	s_or_b64 exec, exec, s[12:13]
	v_mov_b32_e32 v71, 0
	ds_read_b32 v71, v71 offset:64
	s_waitcnt lgkmcnt(0)
	v_mul_f32_e32 v70, v70, v71
	buffer_store_dword v70, off, s[0:3], 0 offset:64
.LBB92_116:
	s_or_b64 exec, exec, s[8:9]
	buffer_load_dword v70, off, s[0:3], 0 offset:60
	v_cmp_lt_u32_e64 s[6:7], 15, v0
	s_waitcnt vmcnt(0)
	ds_write_b32 v60, v70
	s_waitcnt lgkmcnt(0)
	; wave barrier
	s_waitcnt lgkmcnt(0)
	s_and_saveexec_b64 s[8:9], s[6:7]
	s_cbranch_execz .LBB92_126
; %bb.117:
	s_andn2_b64 vcc, exec, s[10:11]
	s_cbranch_vccnz .LBB92_119
; %bb.118:
	buffer_load_dword v70, v61, s[0:3], 0 offen
	ds_read_b32 v71, v60
	s_waitcnt vmcnt(0) lgkmcnt(0)
	v_mul_f32_e32 v70, v70, v71
	s_cbranch_execz .LBB92_120
	s_branch .LBB92_121
.LBB92_119:
                                        ; implicit-def: $vgpr70
.LBB92_120:
	ds_read_b32 v70, v60
.LBB92_121:
	s_and_saveexec_b64 s[12:13], s[4:5]
	s_cbranch_execz .LBB92_125
; %bb.122:
	v_add_u32_e32 v71, -16, v0
	s_movk_i32 s14, 0xc0
	s_mov_b64 s[4:5], 0
.LBB92_123:                             ; =>This Inner Loop Header: Depth=1
	buffer_load_dword v72, v69, s[0:3], 0 offen
	v_mov_b32_e32 v73, s14
	ds_read_b32 v73, v73
	v_add_u32_e32 v71, -1, v71
	s_add_i32 s14, s14, 4
	v_cmp_eq_u32_e32 vcc, 0, v71
	v_add_u32_e32 v69, 4, v69
	s_or_b64 s[4:5], vcc, s[4:5]
	s_waitcnt vmcnt(0) lgkmcnt(0)
	v_fmac_f32_e32 v70, v72, v73
	s_andn2_b64 exec, exec, s[4:5]
	s_cbranch_execnz .LBB92_123
; %bb.124:
	s_or_b64 exec, exec, s[4:5]
.LBB92_125:
	s_or_b64 exec, exec, s[12:13]
	v_mov_b32_e32 v69, 0
	ds_read_b32 v69, v69 offset:60
	s_waitcnt lgkmcnt(0)
	v_mul_f32_e32 v69, v70, v69
	buffer_store_dword v69, off, s[0:3], 0 offset:60
.LBB92_126:
	s_or_b64 exec, exec, s[8:9]
	buffer_load_dword v69, off, s[0:3], 0 offset:56
	v_cmp_lt_u32_e64 s[4:5], 14, v0
	s_waitcnt vmcnt(0)
	ds_write_b32 v60, v69
	s_waitcnt lgkmcnt(0)
	; wave barrier
	s_waitcnt lgkmcnt(0)
	s_and_saveexec_b64 s[8:9], s[4:5]
	s_cbranch_execz .LBB92_136
; %bb.127:
	s_andn2_b64 vcc, exec, s[10:11]
	s_cbranch_vccnz .LBB92_129
; %bb.128:
	buffer_load_dword v69, v61, s[0:3], 0 offen
	ds_read_b32 v70, v60
	s_waitcnt vmcnt(0) lgkmcnt(0)
	v_mul_f32_e32 v69, v69, v70
	s_cbranch_execz .LBB92_130
	s_branch .LBB92_131
.LBB92_129:
                                        ; implicit-def: $vgpr69
.LBB92_130:
	ds_read_b32 v69, v60
.LBB92_131:
	s_and_saveexec_b64 s[12:13], s[6:7]
	s_cbranch_execz .LBB92_135
; %bb.132:
	v_mov_b32_e32 v70, 0
	v_add_u32_e32 v70, 60, v70
	v_add_u32_e32 v71, -15, v0
	s_movk_i32 s14, 0xbc
	s_mov_b64 s[6:7], 0
.LBB92_133:                             ; =>This Inner Loop Header: Depth=1
	buffer_load_dword v72, v70, s[0:3], 0 offen
	v_mov_b32_e32 v73, s14
	ds_read_b32 v73, v73
	v_add_u32_e32 v71, -1, v71
	s_add_i32 s14, s14, 4
	v_cmp_eq_u32_e32 vcc, 0, v71
	v_add_u32_e32 v70, 4, v70
	s_or_b64 s[6:7], vcc, s[6:7]
	s_waitcnt vmcnt(0) lgkmcnt(0)
	v_fmac_f32_e32 v69, v72, v73
	s_andn2_b64 exec, exec, s[6:7]
	s_cbranch_execnz .LBB92_133
; %bb.134:
	s_or_b64 exec, exec, s[6:7]
.LBB92_135:
	s_or_b64 exec, exec, s[12:13]
	v_mov_b32_e32 v70, 0
	ds_read_b32 v70, v70 offset:56
	s_waitcnt lgkmcnt(0)
	v_mul_f32_e32 v69, v69, v70
	buffer_store_dword v69, off, s[0:3], 0 offset:56
.LBB92_136:
	s_or_b64 exec, exec, s[8:9]
	buffer_load_dword v69, off, s[0:3], 0 offset:52
	v_cmp_lt_u32_e64 s[6:7], 13, v0
	s_waitcnt vmcnt(0)
	ds_write_b32 v60, v69
	s_waitcnt lgkmcnt(0)
	; wave barrier
	s_waitcnt lgkmcnt(0)
	s_and_saveexec_b64 s[8:9], s[6:7]
	s_cbranch_execz .LBB92_146
; %bb.137:
	s_andn2_b64 vcc, exec, s[10:11]
	s_cbranch_vccnz .LBB92_139
; %bb.138:
	buffer_load_dword v69, v61, s[0:3], 0 offen
	ds_read_b32 v70, v60
	s_waitcnt vmcnt(0) lgkmcnt(0)
	v_mul_f32_e32 v69, v69, v70
	s_cbranch_execz .LBB92_140
	s_branch .LBB92_141
.LBB92_139:
                                        ; implicit-def: $vgpr69
.LBB92_140:
	ds_read_b32 v69, v60
.LBB92_141:
	s_and_saveexec_b64 s[12:13], s[4:5]
	s_cbranch_execz .LBB92_145
; %bb.142:
	v_add_u32_e32 v70, -14, v0
	s_movk_i32 s14, 0xb8
	s_mov_b64 s[4:5], 0
.LBB92_143:                             ; =>This Inner Loop Header: Depth=1
	buffer_load_dword v71, v68, s[0:3], 0 offen
	v_mov_b32_e32 v72, s14
	ds_read_b32 v72, v72
	v_add_u32_e32 v70, -1, v70
	s_add_i32 s14, s14, 4
	v_cmp_eq_u32_e32 vcc, 0, v70
	v_add_u32_e32 v68, 4, v68
	s_or_b64 s[4:5], vcc, s[4:5]
	s_waitcnt vmcnt(0) lgkmcnt(0)
	v_fmac_f32_e32 v69, v71, v72
	s_andn2_b64 exec, exec, s[4:5]
	s_cbranch_execnz .LBB92_143
; %bb.144:
	s_or_b64 exec, exec, s[4:5]
.LBB92_145:
	s_or_b64 exec, exec, s[12:13]
	v_mov_b32_e32 v68, 0
	ds_read_b32 v68, v68 offset:52
	s_waitcnt lgkmcnt(0)
	v_mul_f32_e32 v68, v69, v68
	buffer_store_dword v68, off, s[0:3], 0 offset:52
.LBB92_146:
	s_or_b64 exec, exec, s[8:9]
	buffer_load_dword v68, off, s[0:3], 0 offset:48
	v_cmp_lt_u32_e64 s[4:5], 12, v0
	s_waitcnt vmcnt(0)
	ds_write_b32 v60, v68
	s_waitcnt lgkmcnt(0)
	; wave barrier
	s_waitcnt lgkmcnt(0)
	s_and_saveexec_b64 s[8:9], s[4:5]
	s_cbranch_execz .LBB92_156
; %bb.147:
	s_andn2_b64 vcc, exec, s[10:11]
	s_cbranch_vccnz .LBB92_149
; %bb.148:
	buffer_load_dword v68, v61, s[0:3], 0 offen
	ds_read_b32 v69, v60
	s_waitcnt vmcnt(0) lgkmcnt(0)
	v_mul_f32_e32 v68, v68, v69
	s_cbranch_execz .LBB92_150
	s_branch .LBB92_151
.LBB92_149:
                                        ; implicit-def: $vgpr68
.LBB92_150:
	ds_read_b32 v68, v60
.LBB92_151:
	s_and_saveexec_b64 s[12:13], s[6:7]
	s_cbranch_execz .LBB92_155
; %bb.152:
	v_mov_b32_e32 v69, 0
	v_add_u32_e32 v69, 52, v69
	v_add_u32_e32 v70, -13, v0
	s_movk_i32 s14, 0xb4
	s_mov_b64 s[6:7], 0
.LBB92_153:                             ; =>This Inner Loop Header: Depth=1
	buffer_load_dword v71, v69, s[0:3], 0 offen
	v_mov_b32_e32 v72, s14
	ds_read_b32 v72, v72
	v_add_u32_e32 v70, -1, v70
	s_add_i32 s14, s14, 4
	v_cmp_eq_u32_e32 vcc, 0, v70
	v_add_u32_e32 v69, 4, v69
	s_or_b64 s[6:7], vcc, s[6:7]
	s_waitcnt vmcnt(0) lgkmcnt(0)
	v_fmac_f32_e32 v68, v71, v72
	s_andn2_b64 exec, exec, s[6:7]
	s_cbranch_execnz .LBB92_153
; %bb.154:
	s_or_b64 exec, exec, s[6:7]
.LBB92_155:
	s_or_b64 exec, exec, s[12:13]
	v_mov_b32_e32 v69, 0
	ds_read_b32 v69, v69 offset:48
	s_waitcnt lgkmcnt(0)
	v_mul_f32_e32 v68, v68, v69
	buffer_store_dword v68, off, s[0:3], 0 offset:48
.LBB92_156:
	s_or_b64 exec, exec, s[8:9]
	buffer_load_dword v68, off, s[0:3], 0 offset:44
	v_cmp_lt_u32_e64 s[6:7], 11, v0
	s_waitcnt vmcnt(0)
	ds_write_b32 v60, v68
	s_waitcnt lgkmcnt(0)
	; wave barrier
	s_waitcnt lgkmcnt(0)
	s_and_saveexec_b64 s[8:9], s[6:7]
	s_cbranch_execz .LBB92_166
; %bb.157:
	s_andn2_b64 vcc, exec, s[10:11]
	s_cbranch_vccnz .LBB92_159
; %bb.158:
	buffer_load_dword v68, v61, s[0:3], 0 offen
	ds_read_b32 v69, v60
	s_waitcnt vmcnt(0) lgkmcnt(0)
	v_mul_f32_e32 v68, v68, v69
	s_cbranch_execz .LBB92_160
	s_branch .LBB92_161
.LBB92_159:
                                        ; implicit-def: $vgpr68
.LBB92_160:
	ds_read_b32 v68, v60
.LBB92_161:
	s_and_saveexec_b64 s[12:13], s[4:5]
	s_cbranch_execz .LBB92_165
; %bb.162:
	v_add_u32_e32 v69, -12, v0
	s_movk_i32 s14, 0xb0
	s_mov_b64 s[4:5], 0
.LBB92_163:                             ; =>This Inner Loop Header: Depth=1
	buffer_load_dword v70, v67, s[0:3], 0 offen
	v_mov_b32_e32 v71, s14
	ds_read_b32 v71, v71
	v_add_u32_e32 v69, -1, v69
	s_add_i32 s14, s14, 4
	v_cmp_eq_u32_e32 vcc, 0, v69
	v_add_u32_e32 v67, 4, v67
	s_or_b64 s[4:5], vcc, s[4:5]
	s_waitcnt vmcnt(0) lgkmcnt(0)
	v_fmac_f32_e32 v68, v70, v71
	s_andn2_b64 exec, exec, s[4:5]
	s_cbranch_execnz .LBB92_163
; %bb.164:
	s_or_b64 exec, exec, s[4:5]
.LBB92_165:
	s_or_b64 exec, exec, s[12:13]
	v_mov_b32_e32 v67, 0
	ds_read_b32 v67, v67 offset:44
	s_waitcnt lgkmcnt(0)
	v_mul_f32_e32 v67, v68, v67
	buffer_store_dword v67, off, s[0:3], 0 offset:44
.LBB92_166:
	s_or_b64 exec, exec, s[8:9]
	buffer_load_dword v67, off, s[0:3], 0 offset:40
	v_cmp_lt_u32_e64 s[4:5], 10, v0
	s_waitcnt vmcnt(0)
	ds_write_b32 v60, v67
	s_waitcnt lgkmcnt(0)
	; wave barrier
	s_waitcnt lgkmcnt(0)
	s_and_saveexec_b64 s[8:9], s[4:5]
	s_cbranch_execz .LBB92_176
; %bb.167:
	s_andn2_b64 vcc, exec, s[10:11]
	s_cbranch_vccnz .LBB92_169
; %bb.168:
	buffer_load_dword v67, v61, s[0:3], 0 offen
	ds_read_b32 v68, v60
	s_waitcnt vmcnt(0) lgkmcnt(0)
	v_mul_f32_e32 v67, v67, v68
	s_cbranch_execz .LBB92_170
	s_branch .LBB92_171
.LBB92_169:
                                        ; implicit-def: $vgpr67
.LBB92_170:
	ds_read_b32 v67, v60
.LBB92_171:
	s_and_saveexec_b64 s[12:13], s[6:7]
	s_cbranch_execz .LBB92_175
; %bb.172:
	v_mov_b32_e32 v68, 0
	v_add_u32_e32 v68, 44, v68
	v_add_u32_e32 v69, -11, v0
	s_movk_i32 s14, 0xac
	s_mov_b64 s[6:7], 0
.LBB92_173:                             ; =>This Inner Loop Header: Depth=1
	buffer_load_dword v70, v68, s[0:3], 0 offen
	v_mov_b32_e32 v71, s14
	ds_read_b32 v71, v71
	v_add_u32_e32 v69, -1, v69
	s_add_i32 s14, s14, 4
	v_cmp_eq_u32_e32 vcc, 0, v69
	v_add_u32_e32 v68, 4, v68
	s_or_b64 s[6:7], vcc, s[6:7]
	s_waitcnt vmcnt(0) lgkmcnt(0)
	v_fmac_f32_e32 v67, v70, v71
	s_andn2_b64 exec, exec, s[6:7]
	s_cbranch_execnz .LBB92_173
; %bb.174:
	s_or_b64 exec, exec, s[6:7]
.LBB92_175:
	s_or_b64 exec, exec, s[12:13]
	v_mov_b32_e32 v68, 0
	ds_read_b32 v68, v68 offset:40
	s_waitcnt lgkmcnt(0)
	v_mul_f32_e32 v67, v67, v68
	buffer_store_dword v67, off, s[0:3], 0 offset:40
.LBB92_176:
	s_or_b64 exec, exec, s[8:9]
	buffer_load_dword v67, off, s[0:3], 0 offset:36
	v_cmp_lt_u32_e64 s[6:7], 9, v0
	s_waitcnt vmcnt(0)
	ds_write_b32 v60, v67
	s_waitcnt lgkmcnt(0)
	; wave barrier
	s_waitcnt lgkmcnt(0)
	s_and_saveexec_b64 s[8:9], s[6:7]
	s_cbranch_execz .LBB92_186
; %bb.177:
	s_andn2_b64 vcc, exec, s[10:11]
	s_cbranch_vccnz .LBB92_179
; %bb.178:
	buffer_load_dword v67, v61, s[0:3], 0 offen
	ds_read_b32 v68, v60
	s_waitcnt vmcnt(0) lgkmcnt(0)
	v_mul_f32_e32 v67, v67, v68
	s_cbranch_execz .LBB92_180
	s_branch .LBB92_181
.LBB92_179:
                                        ; implicit-def: $vgpr67
.LBB92_180:
	ds_read_b32 v67, v60
.LBB92_181:
	s_and_saveexec_b64 s[12:13], s[4:5]
	s_cbranch_execz .LBB92_185
; %bb.182:
	v_add_u32_e32 v68, -10, v0
	s_movk_i32 s14, 0xa8
	s_mov_b64 s[4:5], 0
.LBB92_183:                             ; =>This Inner Loop Header: Depth=1
	buffer_load_dword v69, v66, s[0:3], 0 offen
	v_mov_b32_e32 v70, s14
	ds_read_b32 v70, v70
	v_add_u32_e32 v68, -1, v68
	s_add_i32 s14, s14, 4
	v_cmp_eq_u32_e32 vcc, 0, v68
	v_add_u32_e32 v66, 4, v66
	s_or_b64 s[4:5], vcc, s[4:5]
	s_waitcnt vmcnt(0) lgkmcnt(0)
	v_fmac_f32_e32 v67, v69, v70
	s_andn2_b64 exec, exec, s[4:5]
	s_cbranch_execnz .LBB92_183
; %bb.184:
	s_or_b64 exec, exec, s[4:5]
.LBB92_185:
	s_or_b64 exec, exec, s[12:13]
	v_mov_b32_e32 v66, 0
	ds_read_b32 v66, v66 offset:36
	s_waitcnt lgkmcnt(0)
	v_mul_f32_e32 v66, v67, v66
	buffer_store_dword v66, off, s[0:3], 0 offset:36
.LBB92_186:
	s_or_b64 exec, exec, s[8:9]
	buffer_load_dword v66, off, s[0:3], 0 offset:32
	v_cmp_lt_u32_e64 s[4:5], 8, v0
	s_waitcnt vmcnt(0)
	ds_write_b32 v60, v66
	s_waitcnt lgkmcnt(0)
	; wave barrier
	s_waitcnt lgkmcnt(0)
	s_and_saveexec_b64 s[8:9], s[4:5]
	s_cbranch_execz .LBB92_196
; %bb.187:
	s_andn2_b64 vcc, exec, s[10:11]
	s_cbranch_vccnz .LBB92_189
; %bb.188:
	buffer_load_dword v66, v61, s[0:3], 0 offen
	ds_read_b32 v67, v60
	s_waitcnt vmcnt(0) lgkmcnt(0)
	v_mul_f32_e32 v66, v66, v67
	s_cbranch_execz .LBB92_190
	s_branch .LBB92_191
.LBB92_189:
                                        ; implicit-def: $vgpr66
.LBB92_190:
	ds_read_b32 v66, v60
.LBB92_191:
	s_and_saveexec_b64 s[12:13], s[6:7]
	s_cbranch_execz .LBB92_195
; %bb.192:
	v_mov_b32_e32 v67, 0
	v_add_u32_e32 v67, 36, v67
	v_add_u32_e32 v68, -9, v0
	s_movk_i32 s14, 0xa4
	s_mov_b64 s[6:7], 0
.LBB92_193:                             ; =>This Inner Loop Header: Depth=1
	buffer_load_dword v69, v67, s[0:3], 0 offen
	v_mov_b32_e32 v70, s14
	ds_read_b32 v70, v70
	v_add_u32_e32 v68, -1, v68
	s_add_i32 s14, s14, 4
	v_cmp_eq_u32_e32 vcc, 0, v68
	v_add_u32_e32 v67, 4, v67
	s_or_b64 s[6:7], vcc, s[6:7]
	s_waitcnt vmcnt(0) lgkmcnt(0)
	v_fmac_f32_e32 v66, v69, v70
	s_andn2_b64 exec, exec, s[6:7]
	s_cbranch_execnz .LBB92_193
; %bb.194:
	s_or_b64 exec, exec, s[6:7]
.LBB92_195:
	s_or_b64 exec, exec, s[12:13]
	v_mov_b32_e32 v67, 0
	ds_read_b32 v67, v67 offset:32
	s_waitcnt lgkmcnt(0)
	v_mul_f32_e32 v66, v66, v67
	buffer_store_dword v66, off, s[0:3], 0 offset:32
.LBB92_196:
	s_or_b64 exec, exec, s[8:9]
	buffer_load_dword v66, off, s[0:3], 0 offset:28
	v_cmp_lt_u32_e64 s[6:7], 7, v0
	s_waitcnt vmcnt(0)
	ds_write_b32 v60, v66
	s_waitcnt lgkmcnt(0)
	; wave barrier
	s_waitcnt lgkmcnt(0)
	s_and_saveexec_b64 s[8:9], s[6:7]
	s_cbranch_execz .LBB92_206
; %bb.197:
	s_andn2_b64 vcc, exec, s[10:11]
	s_cbranch_vccnz .LBB92_199
; %bb.198:
	buffer_load_dword v66, v61, s[0:3], 0 offen
	ds_read_b32 v67, v60
	s_waitcnt vmcnt(0) lgkmcnt(0)
	v_mul_f32_e32 v66, v66, v67
	s_cbranch_execz .LBB92_200
	s_branch .LBB92_201
.LBB92_199:
                                        ; implicit-def: $vgpr66
.LBB92_200:
	ds_read_b32 v66, v60
.LBB92_201:
	s_and_saveexec_b64 s[12:13], s[4:5]
	s_cbranch_execz .LBB92_205
; %bb.202:
	v_add_u32_e32 v67, -8, v0
	s_movk_i32 s14, 0xa0
	s_mov_b64 s[4:5], 0
.LBB92_203:                             ; =>This Inner Loop Header: Depth=1
	buffer_load_dword v68, v65, s[0:3], 0 offen
	v_mov_b32_e32 v69, s14
	ds_read_b32 v69, v69
	v_add_u32_e32 v67, -1, v67
	s_add_i32 s14, s14, 4
	v_cmp_eq_u32_e32 vcc, 0, v67
	v_add_u32_e32 v65, 4, v65
	s_or_b64 s[4:5], vcc, s[4:5]
	s_waitcnt vmcnt(0) lgkmcnt(0)
	v_fmac_f32_e32 v66, v68, v69
	s_andn2_b64 exec, exec, s[4:5]
	s_cbranch_execnz .LBB92_203
; %bb.204:
	s_or_b64 exec, exec, s[4:5]
.LBB92_205:
	s_or_b64 exec, exec, s[12:13]
	v_mov_b32_e32 v65, 0
	ds_read_b32 v65, v65 offset:28
	s_waitcnt lgkmcnt(0)
	v_mul_f32_e32 v65, v66, v65
	buffer_store_dword v65, off, s[0:3], 0 offset:28
.LBB92_206:
	s_or_b64 exec, exec, s[8:9]
	buffer_load_dword v65, off, s[0:3], 0 offset:24
	v_cmp_lt_u32_e64 s[4:5], 6, v0
	s_waitcnt vmcnt(0)
	ds_write_b32 v60, v65
	s_waitcnt lgkmcnt(0)
	; wave barrier
	s_waitcnt lgkmcnt(0)
	s_and_saveexec_b64 s[8:9], s[4:5]
	s_cbranch_execz .LBB92_216
; %bb.207:
	s_andn2_b64 vcc, exec, s[10:11]
	s_cbranch_vccnz .LBB92_209
; %bb.208:
	buffer_load_dword v65, v61, s[0:3], 0 offen
	ds_read_b32 v66, v60
	s_waitcnt vmcnt(0) lgkmcnt(0)
	v_mul_f32_e32 v65, v65, v66
	s_cbranch_execz .LBB92_210
	s_branch .LBB92_211
.LBB92_209:
                                        ; implicit-def: $vgpr65
.LBB92_210:
	ds_read_b32 v65, v60
.LBB92_211:
	s_and_saveexec_b64 s[12:13], s[6:7]
	s_cbranch_execz .LBB92_215
; %bb.212:
	v_mov_b32_e32 v66, 0
	v_add_u32_e32 v66, 28, v66
	v_add_u32_e32 v67, -7, v0
	s_movk_i32 s14, 0x9c
	s_mov_b64 s[6:7], 0
.LBB92_213:                             ; =>This Inner Loop Header: Depth=1
	buffer_load_dword v68, v66, s[0:3], 0 offen
	v_mov_b32_e32 v69, s14
	ds_read_b32 v69, v69
	v_add_u32_e32 v67, -1, v67
	s_add_i32 s14, s14, 4
	v_cmp_eq_u32_e32 vcc, 0, v67
	v_add_u32_e32 v66, 4, v66
	s_or_b64 s[6:7], vcc, s[6:7]
	s_waitcnt vmcnt(0) lgkmcnt(0)
	v_fmac_f32_e32 v65, v68, v69
	s_andn2_b64 exec, exec, s[6:7]
	s_cbranch_execnz .LBB92_213
; %bb.214:
	s_or_b64 exec, exec, s[6:7]
.LBB92_215:
	s_or_b64 exec, exec, s[12:13]
	v_mov_b32_e32 v66, 0
	ds_read_b32 v66, v66 offset:24
	s_waitcnt lgkmcnt(0)
	v_mul_f32_e32 v65, v65, v66
	buffer_store_dword v65, off, s[0:3], 0 offset:24
.LBB92_216:
	s_or_b64 exec, exec, s[8:9]
	buffer_load_dword v65, off, s[0:3], 0 offset:20
	v_cmp_lt_u32_e64 s[6:7], 5, v0
	s_waitcnt vmcnt(0)
	ds_write_b32 v60, v65
	s_waitcnt lgkmcnt(0)
	; wave barrier
	s_waitcnt lgkmcnt(0)
	s_and_saveexec_b64 s[8:9], s[6:7]
	s_cbranch_execz .LBB92_226
; %bb.217:
	s_andn2_b64 vcc, exec, s[10:11]
	s_cbranch_vccnz .LBB92_219
; %bb.218:
	buffer_load_dword v65, v61, s[0:3], 0 offen
	ds_read_b32 v66, v60
	s_waitcnt vmcnt(0) lgkmcnt(0)
	v_mul_f32_e32 v65, v65, v66
	s_cbranch_execz .LBB92_220
	s_branch .LBB92_221
.LBB92_219:
                                        ; implicit-def: $vgpr65
.LBB92_220:
	ds_read_b32 v65, v60
.LBB92_221:
	s_and_saveexec_b64 s[12:13], s[4:5]
	s_cbranch_execz .LBB92_225
; %bb.222:
	v_add_u32_e32 v66, -6, v0
	s_movk_i32 s14, 0x98
	s_mov_b64 s[4:5], 0
.LBB92_223:                             ; =>This Inner Loop Header: Depth=1
	buffer_load_dword v67, v64, s[0:3], 0 offen
	v_mov_b32_e32 v68, s14
	ds_read_b32 v68, v68
	v_add_u32_e32 v66, -1, v66
	s_add_i32 s14, s14, 4
	v_cmp_eq_u32_e32 vcc, 0, v66
	v_add_u32_e32 v64, 4, v64
	s_or_b64 s[4:5], vcc, s[4:5]
	s_waitcnt vmcnt(0) lgkmcnt(0)
	v_fmac_f32_e32 v65, v67, v68
	s_andn2_b64 exec, exec, s[4:5]
	s_cbranch_execnz .LBB92_223
; %bb.224:
	s_or_b64 exec, exec, s[4:5]
.LBB92_225:
	s_or_b64 exec, exec, s[12:13]
	v_mov_b32_e32 v64, 0
	ds_read_b32 v64, v64 offset:20
	s_waitcnt lgkmcnt(0)
	v_mul_f32_e32 v64, v65, v64
	buffer_store_dword v64, off, s[0:3], 0 offset:20
.LBB92_226:
	s_or_b64 exec, exec, s[8:9]
	buffer_load_dword v64, off, s[0:3], 0 offset:16
	v_cmp_lt_u32_e64 s[4:5], 4, v0
	s_waitcnt vmcnt(0)
	ds_write_b32 v60, v64
	s_waitcnt lgkmcnt(0)
	; wave barrier
	s_waitcnt lgkmcnt(0)
	s_and_saveexec_b64 s[8:9], s[4:5]
	s_cbranch_execz .LBB92_236
; %bb.227:
	s_andn2_b64 vcc, exec, s[10:11]
	s_cbranch_vccnz .LBB92_229
; %bb.228:
	buffer_load_dword v64, v61, s[0:3], 0 offen
	ds_read_b32 v65, v60
	s_waitcnt vmcnt(0) lgkmcnt(0)
	v_mul_f32_e32 v64, v64, v65
	s_cbranch_execz .LBB92_230
	s_branch .LBB92_231
.LBB92_229:
                                        ; implicit-def: $vgpr64
.LBB92_230:
	ds_read_b32 v64, v60
.LBB92_231:
	s_and_saveexec_b64 s[12:13], s[6:7]
	s_cbranch_execz .LBB92_235
; %bb.232:
	v_mov_b32_e32 v65, 0
	v_add_u32_e32 v65, 20, v65
	v_add_u32_e32 v66, -5, v0
	s_movk_i32 s14, 0x94
	s_mov_b64 s[6:7], 0
.LBB92_233:                             ; =>This Inner Loop Header: Depth=1
	buffer_load_dword v67, v65, s[0:3], 0 offen
	v_mov_b32_e32 v68, s14
	ds_read_b32 v68, v68
	v_add_u32_e32 v66, -1, v66
	s_add_i32 s14, s14, 4
	v_cmp_eq_u32_e32 vcc, 0, v66
	v_add_u32_e32 v65, 4, v65
	s_or_b64 s[6:7], vcc, s[6:7]
	s_waitcnt vmcnt(0) lgkmcnt(0)
	v_fmac_f32_e32 v64, v67, v68
	s_andn2_b64 exec, exec, s[6:7]
	s_cbranch_execnz .LBB92_233
; %bb.234:
	s_or_b64 exec, exec, s[6:7]
.LBB92_235:
	s_or_b64 exec, exec, s[12:13]
	v_mov_b32_e32 v65, 0
	ds_read_b32 v65, v65 offset:16
	s_waitcnt lgkmcnt(0)
	v_mul_f32_e32 v64, v64, v65
	buffer_store_dword v64, off, s[0:3], 0 offset:16
.LBB92_236:
	s_or_b64 exec, exec, s[8:9]
	buffer_load_dword v64, off, s[0:3], 0 offset:12
	v_cmp_lt_u32_e64 s[6:7], 3, v0
	s_waitcnt vmcnt(0)
	ds_write_b32 v60, v64
	s_waitcnt lgkmcnt(0)
	; wave barrier
	s_waitcnt lgkmcnt(0)
	s_and_saveexec_b64 s[8:9], s[6:7]
	s_cbranch_execz .LBB92_246
; %bb.237:
	s_andn2_b64 vcc, exec, s[10:11]
	s_cbranch_vccnz .LBB92_239
; %bb.238:
	buffer_load_dword v64, v61, s[0:3], 0 offen
	ds_read_b32 v65, v60
	s_waitcnt vmcnt(0) lgkmcnt(0)
	v_mul_f32_e32 v64, v64, v65
	s_cbranch_execz .LBB92_240
	s_branch .LBB92_241
.LBB92_239:
                                        ; implicit-def: $vgpr64
.LBB92_240:
	ds_read_b32 v64, v60
.LBB92_241:
	s_and_saveexec_b64 s[12:13], s[4:5]
	s_cbranch_execz .LBB92_245
; %bb.242:
	v_add_u32_e32 v65, -4, v0
	s_movk_i32 s14, 0x90
	s_mov_b64 s[4:5], 0
.LBB92_243:                             ; =>This Inner Loop Header: Depth=1
	buffer_load_dword v66, v63, s[0:3], 0 offen
	v_mov_b32_e32 v67, s14
	ds_read_b32 v67, v67
	v_add_u32_e32 v65, -1, v65
	s_add_i32 s14, s14, 4
	v_cmp_eq_u32_e32 vcc, 0, v65
	v_add_u32_e32 v63, 4, v63
	s_or_b64 s[4:5], vcc, s[4:5]
	s_waitcnt vmcnt(0) lgkmcnt(0)
	v_fmac_f32_e32 v64, v66, v67
	s_andn2_b64 exec, exec, s[4:5]
	s_cbranch_execnz .LBB92_243
; %bb.244:
	s_or_b64 exec, exec, s[4:5]
.LBB92_245:
	s_or_b64 exec, exec, s[12:13]
	v_mov_b32_e32 v63, 0
	ds_read_b32 v63, v63 offset:12
	s_waitcnt lgkmcnt(0)
	v_mul_f32_e32 v63, v64, v63
	buffer_store_dword v63, off, s[0:3], 0 offset:12
.LBB92_246:
	s_or_b64 exec, exec, s[8:9]
	buffer_load_dword v63, off, s[0:3], 0 offset:8
	v_cmp_lt_u32_e64 s[4:5], 2, v0
	s_waitcnt vmcnt(0)
	ds_write_b32 v60, v63
	s_waitcnt lgkmcnt(0)
	; wave barrier
	s_waitcnt lgkmcnt(0)
	s_and_saveexec_b64 s[8:9], s[4:5]
	s_cbranch_execz .LBB92_256
; %bb.247:
	s_andn2_b64 vcc, exec, s[10:11]
	s_cbranch_vccnz .LBB92_249
; %bb.248:
	buffer_load_dword v63, v61, s[0:3], 0 offen
	ds_read_b32 v64, v60
	s_waitcnt vmcnt(0) lgkmcnt(0)
	v_mul_f32_e32 v63, v63, v64
	s_cbranch_execz .LBB92_250
	s_branch .LBB92_251
.LBB92_249:
                                        ; implicit-def: $vgpr63
.LBB92_250:
	ds_read_b32 v63, v60
.LBB92_251:
	s_and_saveexec_b64 s[12:13], s[6:7]
	s_cbranch_execz .LBB92_255
; %bb.252:
	v_mov_b32_e32 v64, 0
	v_or_b32_e32 v64, 12, v64
	v_add_u32_e32 v65, -3, v0
	s_movk_i32 s14, 0x8c
	s_mov_b64 s[6:7], 0
.LBB92_253:                             ; =>This Inner Loop Header: Depth=1
	buffer_load_dword v66, v64, s[0:3], 0 offen
	v_mov_b32_e32 v67, s14
	ds_read_b32 v67, v67
	v_add_u32_e32 v65, -1, v65
	s_add_i32 s14, s14, 4
	v_cmp_eq_u32_e32 vcc, 0, v65
	v_add_u32_e32 v64, 4, v64
	s_or_b64 s[6:7], vcc, s[6:7]
	s_waitcnt vmcnt(0) lgkmcnt(0)
	v_fmac_f32_e32 v63, v66, v67
	s_andn2_b64 exec, exec, s[6:7]
	s_cbranch_execnz .LBB92_253
; %bb.254:
	s_or_b64 exec, exec, s[6:7]
.LBB92_255:
	s_or_b64 exec, exec, s[12:13]
	v_mov_b32_e32 v64, 0
	ds_read_b32 v64, v64 offset:8
	s_waitcnt lgkmcnt(0)
	v_mul_f32_e32 v63, v63, v64
	buffer_store_dword v63, off, s[0:3], 0 offset:8
.LBB92_256:
	s_or_b64 exec, exec, s[8:9]
	buffer_load_dword v63, off, s[0:3], 0 offset:4
	v_cmp_lt_u32_e64 s[6:7], 1, v0
	s_waitcnt vmcnt(0)
	ds_write_b32 v60, v63
	s_waitcnt lgkmcnt(0)
	; wave barrier
	s_waitcnt lgkmcnt(0)
	s_and_saveexec_b64 s[8:9], s[6:7]
	s_cbranch_execz .LBB92_266
; %bb.257:
	s_andn2_b64 vcc, exec, s[10:11]
	s_cbranch_vccnz .LBB92_259
; %bb.258:
	buffer_load_dword v63, v61, s[0:3], 0 offen
	ds_read_b32 v64, v60
	s_waitcnt vmcnt(0) lgkmcnt(0)
	v_mul_f32_e32 v63, v63, v64
	s_cbranch_execz .LBB92_260
	s_branch .LBB92_261
.LBB92_259:
                                        ; implicit-def: $vgpr63
.LBB92_260:
	ds_read_b32 v63, v60
.LBB92_261:
	s_and_saveexec_b64 s[12:13], s[4:5]
	s_cbranch_execz .LBB92_265
; %bb.262:
	v_add_u32_e32 v64, -2, v0
	s_movk_i32 s14, 0x88
	s_mov_b64 s[4:5], 0
.LBB92_263:                             ; =>This Inner Loop Header: Depth=1
	buffer_load_dword v65, v62, s[0:3], 0 offen
	v_mov_b32_e32 v66, s14
	ds_read_b32 v66, v66
	v_add_u32_e32 v64, -1, v64
	s_add_i32 s14, s14, 4
	v_cmp_eq_u32_e32 vcc, 0, v64
	v_add_u32_e32 v62, 4, v62
	s_or_b64 s[4:5], vcc, s[4:5]
	s_waitcnt vmcnt(0) lgkmcnt(0)
	v_fmac_f32_e32 v63, v65, v66
	s_andn2_b64 exec, exec, s[4:5]
	s_cbranch_execnz .LBB92_263
; %bb.264:
	s_or_b64 exec, exec, s[4:5]
.LBB92_265:
	s_or_b64 exec, exec, s[12:13]
	v_mov_b32_e32 v62, 0
	ds_read_b32 v62, v62 offset:4
	s_waitcnt lgkmcnt(0)
	v_mul_f32_e32 v62, v63, v62
	buffer_store_dword v62, off, s[0:3], 0 offset:4
.LBB92_266:
	s_or_b64 exec, exec, s[8:9]
	buffer_load_dword v62, off, s[0:3], 0
	v_cmp_ne_u32_e32 vcc, 0, v0
	s_waitcnt vmcnt(0)
	ds_write_b32 v60, v62
	s_waitcnt lgkmcnt(0)
	; wave barrier
	s_waitcnt lgkmcnt(0)
	s_and_saveexec_b64 s[4:5], vcc
	s_cbranch_execz .LBB92_276
; %bb.267:
	s_andn2_b64 vcc, exec, s[10:11]
	s_cbranch_vccnz .LBB92_269
; %bb.268:
	buffer_load_dword v62, v61, s[0:3], 0 offen
	ds_read_b32 v63, v60
	s_waitcnt vmcnt(0) lgkmcnt(0)
	v_mul_f32_e32 v62, v62, v63
	s_cbranch_execz .LBB92_270
	s_branch .LBB92_271
.LBB92_269:
                                        ; implicit-def: $vgpr62
.LBB92_270:
	ds_read_b32 v62, v60
.LBB92_271:
	s_and_saveexec_b64 s[8:9], s[6:7]
	s_cbranch_execz .LBB92_275
; %bb.272:
	v_mov_b32_e32 v63, 0
	v_or_b32_e32 v63, 4, v63
	v_add_u32_e32 v64, -1, v0
	s_movk_i32 s12, 0x84
	s_mov_b64 s[6:7], 0
.LBB92_273:                             ; =>This Inner Loop Header: Depth=1
	buffer_load_dword v65, v63, s[0:3], 0 offen
	v_mov_b32_e32 v66, s12
	ds_read_b32 v66, v66
	v_add_u32_e32 v64, -1, v64
	s_add_i32 s12, s12, 4
	v_cmp_eq_u32_e32 vcc, 0, v64
	v_add_u32_e32 v63, 4, v63
	s_or_b64 s[6:7], vcc, s[6:7]
	s_waitcnt vmcnt(0) lgkmcnt(0)
	v_fmac_f32_e32 v62, v65, v66
	s_andn2_b64 exec, exec, s[6:7]
	s_cbranch_execnz .LBB92_273
; %bb.274:
	s_or_b64 exec, exec, s[6:7]
.LBB92_275:
	s_or_b64 exec, exec, s[8:9]
	v_mov_b32_e32 v63, 0
	ds_read_b32 v63, v63
	s_waitcnt lgkmcnt(0)
	v_mul_f32_e32 v62, v62, v63
	buffer_store_dword v62, off, s[0:3], 0
.LBB92_276:
	s_or_b64 exec, exec, s[4:5]
	s_mov_b64 s[4:5], 0
.LBB92_277:
	s_and_b64 vcc, exec, s[4:5]
	s_cbranch_vccz .LBB92_551
; %bb.278:
	buffer_load_dword v62, off, s[0:3], 0 offset:4
	v_cmp_eq_u32_e64 s[6:7], 0, v0
	s_waitcnt vmcnt(0)
	ds_write_b32 v60, v62
	s_waitcnt lgkmcnt(0)
	; wave barrier
	s_waitcnt lgkmcnt(0)
	s_and_saveexec_b64 s[4:5], s[6:7]
	s_cbranch_execz .LBB92_284
; %bb.279:
	s_and_b64 vcc, exec, s[10:11]
	s_cbranch_vccz .LBB92_281
; %bb.280:
	buffer_load_dword v62, v61, s[0:3], 0 offen
	ds_read_b32 v63, v60
	s_waitcnt vmcnt(0) lgkmcnt(0)
	v_mul_f32_e32 v62, v62, v63
	s_cbranch_execz .LBB92_282
	s_branch .LBB92_283
.LBB92_281:
                                        ; implicit-def: $vgpr62
.LBB92_282:
	ds_read_b32 v62, v60
.LBB92_283:
	v_mov_b32_e32 v63, 0
	ds_read_b32 v63, v63 offset:4
	s_waitcnt lgkmcnt(0)
	v_mul_f32_e32 v62, v62, v63
	buffer_store_dword v62, off, s[0:3], 0 offset:4
.LBB92_284:
	s_or_b64 exec, exec, s[4:5]
	buffer_load_dword v62, off, s[0:3], 0 offset:8
	v_cndmask_b32_e64 v63, 0, 1, s[10:11]
	v_cmp_gt_u32_e32 vcc, 2, v0
	v_cmp_ne_u32_e64 s[4:5], 1, v63
	s_waitcnt vmcnt(0)
	ds_write_b32 v60, v62
	s_waitcnt lgkmcnt(0)
	; wave barrier
	s_waitcnt lgkmcnt(0)
	s_and_saveexec_b64 s[8:9], vcc
	s_cbranch_execz .LBB92_292
; %bb.285:
	s_and_b64 vcc, exec, s[4:5]
	s_cbranch_vccnz .LBB92_287
; %bb.286:
	buffer_load_dword v62, v61, s[0:3], 0 offen
	ds_read_b32 v63, v60
	s_waitcnt vmcnt(0) lgkmcnt(0)
	v_mul_f32_e32 v62, v62, v63
	s_cbranch_execz .LBB92_288
	s_branch .LBB92_289
.LBB92_287:
                                        ; implicit-def: $vgpr62
.LBB92_288:
	ds_read_b32 v62, v60
.LBB92_289:
	s_and_saveexec_b64 s[10:11], s[6:7]
	s_cbranch_execz .LBB92_291
; %bb.290:
	buffer_load_dword v63, v61, s[0:3], 0 offen offset:4
	ds_read_b32 v64, v60 offset:4
	s_waitcnt vmcnt(0) lgkmcnt(0)
	v_fmac_f32_e32 v62, v63, v64
.LBB92_291:
	s_or_b64 exec, exec, s[10:11]
	v_mov_b32_e32 v63, 0
	ds_read_b32 v63, v63 offset:8
	s_waitcnt lgkmcnt(0)
	v_mul_f32_e32 v62, v62, v63
	buffer_store_dword v62, off, s[0:3], 0 offset:8
.LBB92_292:
	s_or_b64 exec, exec, s[8:9]
	buffer_load_dword v62, off, s[0:3], 0 offset:12
	v_cmp_gt_u32_e32 vcc, 3, v0
	s_waitcnt vmcnt(0)
	ds_write_b32 v60, v62
	s_waitcnt lgkmcnt(0)
	; wave barrier
	s_waitcnt lgkmcnt(0)
	s_and_saveexec_b64 s[8:9], vcc
	s_cbranch_execz .LBB92_300
; %bb.293:
	s_and_b64 vcc, exec, s[4:5]
	s_cbranch_vccnz .LBB92_295
; %bb.294:
	buffer_load_dword v62, v61, s[0:3], 0 offen
	ds_read_b32 v63, v60
	s_waitcnt vmcnt(0) lgkmcnt(0)
	v_mul_f32_e32 v62, v62, v63
	s_cbranch_execz .LBB92_296
	s_branch .LBB92_297
.LBB92_295:
                                        ; implicit-def: $vgpr62
.LBB92_296:
	ds_read_b32 v62, v60
.LBB92_297:
	v_cmp_ne_u32_e32 vcc, 2, v0
	s_and_saveexec_b64 s[10:11], vcc
	s_cbranch_execz .LBB92_299
; %bb.298:
	buffer_load_dword v63, v61, s[0:3], 0 offen offset:4
	buffer_load_dword v64, off, s[0:3], 0 offset:8
	v_mov_b32_e32 v65, 0
	ds_read_b32 v66, v60 offset:4
	ds_read_b32 v65, v65 offset:136
	s_waitcnt vmcnt(1) lgkmcnt(1)
	v_fmac_f32_e32 v62, v63, v66
	s_waitcnt vmcnt(0) lgkmcnt(0)
	v_fma_f32 v63, v64, v65, v62
	v_cndmask_b32_e64 v62, v62, v63, s[6:7]
.LBB92_299:
	s_or_b64 exec, exec, s[10:11]
	v_mov_b32_e32 v63, 0
	ds_read_b32 v63, v63 offset:12
	s_waitcnt lgkmcnt(0)
	v_mul_f32_e32 v62, v62, v63
	buffer_store_dword v62, off, s[0:3], 0 offset:12
.LBB92_300:
	s_or_b64 exec, exec, s[8:9]
	buffer_load_dword v62, off, s[0:3], 0 offset:16
	v_cmp_gt_u32_e32 vcc, 4, v0
	s_waitcnt vmcnt(0)
	ds_write_b32 v60, v62
	s_waitcnt lgkmcnt(0)
	; wave barrier
	s_waitcnt lgkmcnt(0)
	s_and_saveexec_b64 s[6:7], vcc
	s_cbranch_execz .LBB92_310
; %bb.301:
	s_and_b64 vcc, exec, s[4:5]
	s_cbranch_vccnz .LBB92_303
; %bb.302:
	buffer_load_dword v62, v61, s[0:3], 0 offen
	ds_read_b32 v63, v60
	s_waitcnt vmcnt(0) lgkmcnt(0)
	v_mul_f32_e32 v62, v62, v63
	s_cbranch_execz .LBB92_304
	s_branch .LBB92_305
.LBB92_303:
                                        ; implicit-def: $vgpr62
.LBB92_304:
	ds_read_b32 v62, v60
.LBB92_305:
	v_cmp_ne_u32_e32 vcc, 3, v0
	s_and_saveexec_b64 s[8:9], vcc
	s_cbranch_execz .LBB92_309
; %bb.306:
	v_mov_b32_e32 v64, 0
	v_add_u32_e32 v63, 0x84, v1
	v_add3_u32 v64, v1, v64, 4
	s_mov_b64 s[10:11], 0
	v_mov_b32_e32 v65, v0
.LBB92_307:                             ; =>This Inner Loop Header: Depth=1
	buffer_load_dword v66, v64, s[0:3], 0 offen
	ds_read_b32 v67, v63
	v_add_u32_e32 v65, 1, v65
	v_cmp_lt_u32_e32 vcc, 2, v65
	v_add_u32_e32 v63, 4, v63
	v_add_u32_e32 v64, 4, v64
	s_or_b64 s[10:11], vcc, s[10:11]
	s_waitcnt vmcnt(0) lgkmcnt(0)
	v_fmac_f32_e32 v62, v66, v67
	s_andn2_b64 exec, exec, s[10:11]
	s_cbranch_execnz .LBB92_307
; %bb.308:
	s_or_b64 exec, exec, s[10:11]
.LBB92_309:
	s_or_b64 exec, exec, s[8:9]
	v_mov_b32_e32 v63, 0
	ds_read_b32 v63, v63 offset:16
	s_waitcnt lgkmcnt(0)
	v_mul_f32_e32 v62, v62, v63
	buffer_store_dword v62, off, s[0:3], 0 offset:16
.LBB92_310:
	s_or_b64 exec, exec, s[6:7]
	buffer_load_dword v62, off, s[0:3], 0 offset:20
	v_cmp_gt_u32_e32 vcc, 5, v0
	s_waitcnt vmcnt(0)
	ds_write_b32 v60, v62
	s_waitcnt lgkmcnt(0)
	; wave barrier
	s_waitcnt lgkmcnt(0)
	s_and_saveexec_b64 s[6:7], vcc
	s_cbranch_execz .LBB92_320
; %bb.311:
	s_and_b64 vcc, exec, s[4:5]
	s_cbranch_vccnz .LBB92_313
; %bb.312:
	buffer_load_dword v62, v61, s[0:3], 0 offen
	ds_read_b32 v63, v60
	s_waitcnt vmcnt(0) lgkmcnt(0)
	v_mul_f32_e32 v62, v62, v63
	s_cbranch_execz .LBB92_314
	s_branch .LBB92_315
.LBB92_313:
                                        ; implicit-def: $vgpr62
.LBB92_314:
	ds_read_b32 v62, v60
.LBB92_315:
	v_cmp_ne_u32_e32 vcc, 4, v0
	s_and_saveexec_b64 s[8:9], vcc
	s_cbranch_execz .LBB92_319
; %bb.316:
	v_mov_b32_e32 v64, 0
	v_add_u32_e32 v63, 0x84, v1
	v_add3_u32 v64, v1, v64, 4
	s_mov_b64 s[10:11], 0
	v_mov_b32_e32 v65, v0
.LBB92_317:                             ; =>This Inner Loop Header: Depth=1
	buffer_load_dword v66, v64, s[0:3], 0 offen
	ds_read_b32 v67, v63
	v_add_u32_e32 v65, 1, v65
	v_cmp_lt_u32_e32 vcc, 3, v65
	v_add_u32_e32 v63, 4, v63
	v_add_u32_e32 v64, 4, v64
	s_or_b64 s[10:11], vcc, s[10:11]
	s_waitcnt vmcnt(0) lgkmcnt(0)
	v_fmac_f32_e32 v62, v66, v67
	s_andn2_b64 exec, exec, s[10:11]
	s_cbranch_execnz .LBB92_317
; %bb.318:
	s_or_b64 exec, exec, s[10:11]
.LBB92_319:
	s_or_b64 exec, exec, s[8:9]
	v_mov_b32_e32 v63, 0
	ds_read_b32 v63, v63 offset:20
	s_waitcnt lgkmcnt(0)
	v_mul_f32_e32 v62, v62, v63
	buffer_store_dword v62, off, s[0:3], 0 offset:20
.LBB92_320:
	;; [unrolled: 56-line block ×23, first 2 shown]
	s_or_b64 exec, exec, s[6:7]
	buffer_load_dword v62, off, s[0:3], 0 offset:108
	v_cmp_gt_u32_e64 s[6:7], 27, v0
	s_waitcnt vmcnt(0)
	ds_write_b32 v60, v62
	s_waitcnt lgkmcnt(0)
	; wave barrier
	s_waitcnt lgkmcnt(0)
	s_and_saveexec_b64 s[8:9], s[6:7]
	s_cbranch_execz .LBB92_540
; %bb.531:
	s_and_b64 vcc, exec, s[4:5]
	s_cbranch_vccnz .LBB92_533
; %bb.532:
	buffer_load_dword v62, v61, s[0:3], 0 offen
	ds_read_b32 v63, v60
	s_waitcnt vmcnt(0) lgkmcnt(0)
	v_mul_f32_e32 v62, v62, v63
	s_cbranch_execz .LBB92_534
	s_branch .LBB92_535
.LBB92_533:
                                        ; implicit-def: $vgpr62
.LBB92_534:
	ds_read_b32 v62, v60
.LBB92_535:
	v_cmp_ne_u32_e32 vcc, 26, v0
	s_and_saveexec_b64 s[10:11], vcc
	s_cbranch_execz .LBB92_539
; %bb.536:
	v_mov_b32_e32 v64, 0
	v_add_u32_e32 v63, 0x84, v1
	v_add3_u32 v64, v1, v64, 4
	s_mov_b64 s[12:13], 0
	v_mov_b32_e32 v65, v0
.LBB92_537:                             ; =>This Inner Loop Header: Depth=1
	buffer_load_dword v66, v64, s[0:3], 0 offen
	ds_read_b32 v67, v63
	v_add_u32_e32 v65, 1, v65
	v_cmp_lt_u32_e32 vcc, 25, v65
	v_add_u32_e32 v63, 4, v63
	v_add_u32_e32 v64, 4, v64
	s_or_b64 s[12:13], vcc, s[12:13]
	s_waitcnt vmcnt(0) lgkmcnt(0)
	v_fmac_f32_e32 v62, v66, v67
	s_andn2_b64 exec, exec, s[12:13]
	s_cbranch_execnz .LBB92_537
; %bb.538:
	s_or_b64 exec, exec, s[12:13]
.LBB92_539:
	s_or_b64 exec, exec, s[10:11]
	v_mov_b32_e32 v63, 0
	ds_read_b32 v63, v63 offset:108
	s_waitcnt lgkmcnt(0)
	v_mul_f32_e32 v62, v62, v63
	buffer_store_dword v62, off, s[0:3], 0 offset:108
.LBB92_540:
	s_or_b64 exec, exec, s[8:9]
	buffer_load_dword v62, off, s[0:3], 0 offset:112
	v_cmp_ne_u32_e32 vcc, 28, v0
	s_waitcnt vmcnt(0)
	ds_write_b32 v60, v62
	s_waitcnt lgkmcnt(0)
	; wave barrier
	s_waitcnt lgkmcnt(0)
	s_and_saveexec_b64 s[8:9], vcc
	s_cbranch_execz .LBB92_550
; %bb.541:
	s_and_b64 vcc, exec, s[4:5]
	s_cbranch_vccnz .LBB92_543
; %bb.542:
	buffer_load_dword v61, v61, s[0:3], 0 offen
	ds_read_b32 v62, v60
	s_waitcnt vmcnt(0) lgkmcnt(0)
	v_mul_f32_e32 v61, v61, v62
	s_cbranch_execz .LBB92_544
	s_branch .LBB92_545
.LBB92_543:
                                        ; implicit-def: $vgpr61
.LBB92_544:
	ds_read_b32 v61, v60
.LBB92_545:
	s_and_saveexec_b64 s[4:5], s[6:7]
	s_cbranch_execz .LBB92_549
; %bb.546:
	v_mov_b32_e32 v62, 0
	v_add_u32_e32 v60, 0x84, v1
	v_add3_u32 v1, v1, v62, 4
	s_mov_b64 s[6:7], 0
.LBB92_547:                             ; =>This Inner Loop Header: Depth=1
	buffer_load_dword v62, v1, s[0:3], 0 offen
	ds_read_b32 v63, v60
	v_add_u32_e32 v0, 1, v0
	v_cmp_lt_u32_e32 vcc, 26, v0
	v_add_u32_e32 v60, 4, v60
	v_add_u32_e32 v1, 4, v1
	s_or_b64 s[6:7], vcc, s[6:7]
	s_waitcnt vmcnt(0) lgkmcnt(0)
	v_fmac_f32_e32 v61, v62, v63
	s_andn2_b64 exec, exec, s[6:7]
	s_cbranch_execnz .LBB92_547
; %bb.548:
	s_or_b64 exec, exec, s[6:7]
.LBB92_549:
	s_or_b64 exec, exec, s[4:5]
	v_mov_b32_e32 v0, 0
	ds_read_b32 v0, v0 offset:112
	s_waitcnt lgkmcnt(0)
	v_mul_f32_e32 v0, v61, v0
	buffer_store_dword v0, off, s[0:3], 0 offset:112
.LBB92_550:
	s_or_b64 exec, exec, s[8:9]
.LBB92_551:
	buffer_load_dword v0, off, s[0:3], 0
	buffer_load_dword v1, off, s[0:3], 0 offset:4
	buffer_load_dword v60, off, s[0:3], 0 offset:8
	;; [unrolled: 1-line block ×15, first 2 shown]
	s_waitcnt vmcnt(15)
	global_store_dword v[52:53], v0, off
	s_waitcnt vmcnt(15)
	global_store_dword v[56:57], v1, off
	buffer_load_dword v0, off, s[0:3], 0 offset:64
	s_nop 0
	buffer_load_dword v1, off, s[0:3], 0 offset:68
	buffer_load_dword v52, off, s[0:3], 0 offset:72
	;; [unrolled: 1-line block ×7, first 2 shown]
	s_waitcnt vmcnt(23)
	global_store_dword v[2:3], v60, off
	s_waitcnt vmcnt(23)
	global_store_dword v[4:5], v61, off
	buffer_load_dword v2, off, s[0:3], 0 offset:96
	buffer_load_dword v3, off, s[0:3], 0 offset:100
	s_nop 0
	buffer_load_dword v4, off, s[0:3], 0 offset:104
	buffer_load_dword v5, off, s[0:3], 0 offset:108
	;; [unrolled: 1-line block ×3, first 2 shown]
	s_waitcnt vmcnt(28)
	global_store_dword v[6:7], v62, off
	s_waitcnt vmcnt(28)
	global_store_dword v[8:9], v63, off
	;; [unrolled: 2-line block ×25, first 2 shown]
.LBB92_552:
	s_endpgm
	.section	.rodata,"a",@progbits
	.p2align	6, 0x0
	.amdhsa_kernel _ZN9rocsolver6v33100L18trti2_kernel_smallILi29EfPKPfEEv13rocblas_fill_17rocblas_diagonal_T1_iil
		.amdhsa_group_segment_fixed_size 244
		.amdhsa_private_segment_fixed_size 128
		.amdhsa_kernarg_size 32
		.amdhsa_user_sgpr_count 8
		.amdhsa_user_sgpr_private_segment_buffer 1
		.amdhsa_user_sgpr_dispatch_ptr 0
		.amdhsa_user_sgpr_queue_ptr 0
		.amdhsa_user_sgpr_kernarg_segment_ptr 1
		.amdhsa_user_sgpr_dispatch_id 0
		.amdhsa_user_sgpr_flat_scratch_init 1
		.amdhsa_user_sgpr_kernarg_preload_length 0
		.amdhsa_user_sgpr_kernarg_preload_offset 0
		.amdhsa_user_sgpr_private_segment_size 0
		.amdhsa_uses_dynamic_stack 0
		.amdhsa_system_sgpr_private_segment_wavefront_offset 1
		.amdhsa_system_sgpr_workgroup_id_x 1
		.amdhsa_system_sgpr_workgroup_id_y 0
		.amdhsa_system_sgpr_workgroup_id_z 0
		.amdhsa_system_sgpr_workgroup_info 0
		.amdhsa_system_vgpr_workitem_id 0
		.amdhsa_next_free_vgpr 79
		.amdhsa_next_free_sgpr 16
		.amdhsa_accum_offset 80
		.amdhsa_reserve_vcc 1
		.amdhsa_reserve_flat_scratch 0
		.amdhsa_float_round_mode_32 0
		.amdhsa_float_round_mode_16_64 0
		.amdhsa_float_denorm_mode_32 3
		.amdhsa_float_denorm_mode_16_64 3
		.amdhsa_dx10_clamp 1
		.amdhsa_ieee_mode 1
		.amdhsa_fp16_overflow 0
		.amdhsa_tg_split 0
		.amdhsa_exception_fp_ieee_invalid_op 0
		.amdhsa_exception_fp_denorm_src 0
		.amdhsa_exception_fp_ieee_div_zero 0
		.amdhsa_exception_fp_ieee_overflow 0
		.amdhsa_exception_fp_ieee_underflow 0
		.amdhsa_exception_fp_ieee_inexact 0
		.amdhsa_exception_int_div_zero 0
	.end_amdhsa_kernel
	.section	.text._ZN9rocsolver6v33100L18trti2_kernel_smallILi29EfPKPfEEv13rocblas_fill_17rocblas_diagonal_T1_iil,"axG",@progbits,_ZN9rocsolver6v33100L18trti2_kernel_smallILi29EfPKPfEEv13rocblas_fill_17rocblas_diagonal_T1_iil,comdat
.Lfunc_end92:
	.size	_ZN9rocsolver6v33100L18trti2_kernel_smallILi29EfPKPfEEv13rocblas_fill_17rocblas_diagonal_T1_iil, .Lfunc_end92-_ZN9rocsolver6v33100L18trti2_kernel_smallILi29EfPKPfEEv13rocblas_fill_17rocblas_diagonal_T1_iil
                                        ; -- End function
	.section	.AMDGPU.csdata,"",@progbits
; Kernel info:
; codeLenInByte = 14072
; NumSgprs: 20
; NumVgprs: 79
; NumAgprs: 0
; TotalNumVgprs: 79
; ScratchSize: 128
; MemoryBound: 0
; FloatMode: 240
; IeeeMode: 1
; LDSByteSize: 244 bytes/workgroup (compile time only)
; SGPRBlocks: 2
; VGPRBlocks: 9
; NumSGPRsForWavesPerEU: 20
; NumVGPRsForWavesPerEU: 79
; AccumOffset: 80
; Occupancy: 6
; WaveLimiterHint : 1
; COMPUTE_PGM_RSRC2:SCRATCH_EN: 1
; COMPUTE_PGM_RSRC2:USER_SGPR: 8
; COMPUTE_PGM_RSRC2:TRAP_HANDLER: 0
; COMPUTE_PGM_RSRC2:TGID_X_EN: 1
; COMPUTE_PGM_RSRC2:TGID_Y_EN: 0
; COMPUTE_PGM_RSRC2:TGID_Z_EN: 0
; COMPUTE_PGM_RSRC2:TIDIG_COMP_CNT: 0
; COMPUTE_PGM_RSRC3_GFX90A:ACCUM_OFFSET: 19
; COMPUTE_PGM_RSRC3_GFX90A:TG_SPLIT: 0
	.section	.text._ZN9rocsolver6v33100L18trti2_kernel_smallILi30EfPKPfEEv13rocblas_fill_17rocblas_diagonal_T1_iil,"axG",@progbits,_ZN9rocsolver6v33100L18trti2_kernel_smallILi30EfPKPfEEv13rocblas_fill_17rocblas_diagonal_T1_iil,comdat
	.globl	_ZN9rocsolver6v33100L18trti2_kernel_smallILi30EfPKPfEEv13rocblas_fill_17rocblas_diagonal_T1_iil ; -- Begin function _ZN9rocsolver6v33100L18trti2_kernel_smallILi30EfPKPfEEv13rocblas_fill_17rocblas_diagonal_T1_iil
	.p2align	8
	.type	_ZN9rocsolver6v33100L18trti2_kernel_smallILi30EfPKPfEEv13rocblas_fill_17rocblas_diagonal_T1_iil,@function
_ZN9rocsolver6v33100L18trti2_kernel_smallILi30EfPKPfEEv13rocblas_fill_17rocblas_diagonal_T1_iil: ; @_ZN9rocsolver6v33100L18trti2_kernel_smallILi30EfPKPfEEv13rocblas_fill_17rocblas_diagonal_T1_iil
; %bb.0:
	s_add_u32 s0, s0, s9
	s_addc_u32 s1, s1, 0
	v_cmp_gt_u32_e32 vcc, 30, v0
	s_and_saveexec_b64 s[6:7], vcc
	s_cbranch_execz .LBB93_572
; %bb.1:
	s_load_dwordx2 s[6:7], s[4:5], 0x10
	s_load_dwordx4 s[12:15], s[4:5], 0x0
	s_ashr_i32 s9, s8, 31
	s_lshl_b64 s[4:5], s[8:9], 3
	s_waitcnt lgkmcnt(0)
	s_ashr_i32 s9, s6, 31
	s_add_u32 s4, s14, s4
	s_addc_u32 s5, s15, s5
	s_load_dwordx2 s[4:5], s[4:5], 0x0
	s_mov_b32 s8, s6
	s_lshl_b64 s[8:9], s[8:9], 2
	s_waitcnt lgkmcnt(0)
	s_add_u32 s4, s4, s8
	s_addc_u32 s5, s5, s9
	s_add_i32 s6, s7, s7
	v_add_u32_e32 v4, s6, v0
	v_ashrrev_i32_e32 v5, 31, v4
	v_lshlrev_b64 v[2:3], 2, v[4:5]
	v_add_u32_e32 v6, s7, v4
	v_mov_b32_e32 v1, s5
	v_add_co_u32_e32 v2, vcc, s4, v2
	v_ashrrev_i32_e32 v7, 31, v6
	v_addc_co_u32_e32 v3, vcc, v1, v3, vcc
	v_lshlrev_b64 v[4:5], 2, v[6:7]
	v_add_u32_e32 v8, s7, v6
	v_add_co_u32_e32 v4, vcc, s4, v4
	v_ashrrev_i32_e32 v9, 31, v8
	v_addc_co_u32_e32 v5, vcc, v1, v5, vcc
	v_lshlrev_b64 v[6:7], 2, v[8:9]
	v_add_u32_e32 v10, s7, v8
	;; [unrolled: 5-line block ×25, first 2 shown]
	v_add_co_u32_e32 v52, vcc, s4, v52
	v_ashrrev_i32_e32 v57, 31, v56
	v_addc_co_u32_e32 v53, vcc, v1, v53, vcc
	v_lshlrev_b64 v[54:55], 2, v[56:57]
	v_add_co_u32_e32 v54, vcc, s4, v54
	v_add_u32_e32 v56, s7, v56
	v_addc_co_u32_e32 v55, vcc, v1, v55, vcc
	v_ashrrev_i32_e32 v57, 31, v56
	v_lshlrev_b32_e32 v1, 2, v0
	v_lshlrev_b64 v[60:61], 2, v[56:57]
	v_mov_b32_e32 v57, s5
	v_add_co_u32_e32 v56, vcc, s4, v1
	s_ashr_i32 s9, s7, 31
	s_mov_b32 s8, s7
	v_addc_co_u32_e32 v57, vcc, 0, v57, vcc
	s_lshl_b64 s[6:7], s[8:9], 2
	v_mov_b32_e32 v59, s7
	v_add_co_u32_e32 v58, vcc, s6, v56
	v_addc_co_u32_e32 v59, vcc, v57, v59, vcc
	v_mov_b32_e32 v62, s5
	v_add_co_u32_e32 v60, vcc, s4, v60
	global_load_dword v63, v1, s[4:5]
	global_load_dword v64, v[58:59], off
	global_load_dword v65, v[2:3], off
	;; [unrolled: 1-line block ×14, first 2 shown]
                                        ; kill: killed $sgpr5
	global_load_dword v78, v[20:21], off
	global_load_dword v79, v[18:19], off
	;; [unrolled: 1-line block ×10, first 2 shown]
	v_addc_co_u32_e32 v61, vcc, v62, v61, vcc
	global_load_dword v62, v[48:49], off
	global_load_dword v88, v[54:55], off
	;; [unrolled: 1-line block ×5, first 2 shown]
	s_cmpk_lg_i32 s13, 0x84
	s_waitcnt vmcnt(29)
	buffer_store_dword v63, off, s[0:3], 0
	s_waitcnt vmcnt(29)
	buffer_store_dword v64, off, s[0:3], 0 offset:4
	s_waitcnt vmcnt(29)
	buffer_store_dword v65, off, s[0:3], 0 offset:8
	;; [unrolled: 2-line block ×11, first 2 shown]
	buffer_store_dword v73, off, s[0:3], 0 offset:48
	buffer_store_dword v74, off, s[0:3], 0 offset:52
	;; [unrolled: 1-line block ×5, first 2 shown]
	s_waitcnt vmcnt(29)
	buffer_store_dword v80, off, s[0:3], 0 offset:68
	s_waitcnt vmcnt(29)
	buffer_store_dword v81, off, s[0:3], 0 offset:72
	;; [unrolled: 2-line block ×5, first 2 shown]
	buffer_store_dword v84, off, s[0:3], 0 offset:92
	buffer_store_dword v85, off, s[0:3], 0 offset:88
	s_waitcnt vmcnt(28)
	buffer_store_dword v62, off, s[0:3], 0 offset:100
	buffer_store_dword v83, off, s[0:3], 0 offset:96
	s_waitcnt vmcnt(28)
	buffer_store_dword v89, off, s[0:3], 0 offset:108
	s_waitcnt vmcnt(28)
	;; [unrolled: 2-line block ×3, first 2 shown]
	buffer_store_dword v91, off, s[0:3], 0 offset:116
	buffer_store_dword v88, off, s[0:3], 0 offset:112
	s_cselect_b64 s[8:9], -1, 0
	s_cmpk_eq_i32 s13, 0x84
	v_mov_b32_e32 v76, 0
	v_mov_b32_e32 v62, -1.0
	s_cbranch_scc1 .LBB93_3
; %bb.2:
	v_lshl_add_u32 v62, v0, 2, v76
	buffer_load_dword v63, v62, s[0:3], 0 offen
	s_waitcnt vmcnt(0)
	v_div_scale_f32 v64, s[4:5], v63, v63, 1.0
	v_rcp_f32_e32 v65, v64
	v_div_scale_f32 v66, vcc, 1.0, v63, 1.0
	v_fma_f32 v67, -v64, v65, 1.0
	v_fmac_f32_e32 v65, v67, v65
	v_mul_f32_e32 v67, v66, v65
	v_fma_f32 v68, -v64, v67, v66
	v_fmac_f32_e32 v67, v68, v65
	v_fma_f32 v64, -v64, v67, v66
	v_div_fmas_f32 v64, v64, v65, v67
	v_div_fixup_f32 v63, v64, v63, 1.0
	buffer_store_dword v63, v62, s[0:3], 0 offen
	v_xor_b32_e32 v62, 0x80000000, v63
.LBB93_3:
	ds_write_b32 v1, v62
	s_cmpk_eq_i32 s12, 0x79
	v_add_u32_e32 v62, 0x80, v1
	v_add_u32_e32 v63, 0, v1
	s_mov_b64 s[4:5], -1
	s_cbranch_scc1 .LBB93_287
; %bb.4:
	buffer_load_dword v64, off, s[0:3], 0 offset:112
	v_cmp_eq_u32_e64 s[4:5], 29, v0
	s_waitcnt vmcnt(0)
	ds_write_b32 v62, v64
	s_waitcnt lgkmcnt(0)
	; wave barrier
	s_waitcnt lgkmcnt(0)
	s_and_saveexec_b64 s[6:7], s[4:5]
	s_cbranch_execz .LBB93_10
; %bb.5:
	s_and_b64 vcc, exec, s[8:9]
	s_cbranch_vccz .LBB93_7
; %bb.6:
	buffer_load_dword v64, v63, s[0:3], 0 offen
	ds_read_b32 v65, v62
	s_waitcnt vmcnt(0) lgkmcnt(0)
	v_mul_f32_e32 v64, v64, v65
	s_cbranch_execz .LBB93_8
	s_branch .LBB93_9
.LBB93_7:
                                        ; implicit-def: $vgpr64
.LBB93_8:
	ds_read_b32 v64, v62
.LBB93_9:
	v_mov_b32_e32 v65, 0
	ds_read_b32 v65, v65 offset:112
	s_waitcnt lgkmcnt(0)
	v_mul_f32_e32 v64, v64, v65
	buffer_store_dword v64, off, s[0:3], 0 offset:112
.LBB93_10:
	s_or_b64 exec, exec, s[6:7]
	buffer_load_dword v77, off, s[0:3], 0 offset:108
	v_or_b32_e32 v64, 8, v76
	v_add_u32_e32 v65, 16, v76
	v_add_u32_e32 v66, 24, v76
	;; [unrolled: 1-line block ×12, first 2 shown]
	v_cmp_lt_u32_e64 s[6:7], 27, v0
	s_waitcnt vmcnt(0)
	ds_write_b32 v62, v77
	s_waitcnt lgkmcnt(0)
	; wave barrier
	s_waitcnt lgkmcnt(0)
	s_and_saveexec_b64 s[10:11], s[6:7]
	s_cbranch_execz .LBB93_16
; %bb.11:
	s_andn2_b64 vcc, exec, s[8:9]
	s_cbranch_vccnz .LBB93_13
; %bb.12:
	buffer_load_dword v77, v63, s[0:3], 0 offen
	ds_read_b32 v78, v62
	s_waitcnt vmcnt(0) lgkmcnt(0)
	v_mul_f32_e32 v77, v77, v78
	s_cbranch_execz .LBB93_14
	s_branch .LBB93_15
.LBB93_13:
                                        ; implicit-def: $vgpr77
.LBB93_14:
	ds_read_b32 v77, v62
.LBB93_15:
	buffer_load_dword v80, off, s[0:3], 0 offset:112
	v_mov_b32_e32 v78, 0
	ds_read2_b32 v[78:79], v78 offset0:27 offset1:60
	s_waitcnt vmcnt(0) lgkmcnt(0)
	v_fma_f32 v79, v80, v79, v77
	v_cndmask_b32_e64 v77, v77, v79, s[4:5]
	v_mul_f32_e32 v77, v77, v78
	buffer_store_dword v77, off, s[0:3], 0 offset:108
.LBB93_16:
	s_or_b64 exec, exec, s[10:11]
	buffer_load_dword v77, off, s[0:3], 0 offset:104
	v_cmp_lt_u32_e64 s[4:5], 26, v0
	s_waitcnt vmcnt(0)
	ds_write_b32 v62, v77
	s_waitcnt lgkmcnt(0)
	; wave barrier
	s_waitcnt lgkmcnt(0)
	s_and_saveexec_b64 s[10:11], s[4:5]
	s_cbranch_execz .LBB93_26
; %bb.17:
	s_andn2_b64 vcc, exec, s[8:9]
	s_cbranch_vccnz .LBB93_19
; %bb.18:
	buffer_load_dword v77, v63, s[0:3], 0 offen
	ds_read_b32 v78, v62
	s_waitcnt vmcnt(0) lgkmcnt(0)
	v_mul_f32_e32 v77, v77, v78
	s_cbranch_execz .LBB93_20
	s_branch .LBB93_21
.LBB93_19:
                                        ; implicit-def: $vgpr77
.LBB93_20:
	ds_read_b32 v77, v62
.LBB93_21:
	s_and_saveexec_b64 s[12:13], s[6:7]
	s_cbranch_execz .LBB93_25
; %bb.22:
	v_mov_b32_e32 v78, 0
	v_add_u32_e32 v78, 0x6c, v78
	v_subrev_u32_e32 v79, 27, v0
	s_movk_i32 s14, 0xec
	s_mov_b64 s[6:7], 0
.LBB93_23:                              ; =>This Inner Loop Header: Depth=1
	buffer_load_dword v80, v78, s[0:3], 0 offen
	v_mov_b32_e32 v81, s14
	ds_read_b32 v81, v81
	v_add_u32_e32 v79, -1, v79
	s_add_i32 s14, s14, 4
	v_cmp_eq_u32_e32 vcc, 0, v79
	v_add_u32_e32 v78, 4, v78
	s_or_b64 s[6:7], vcc, s[6:7]
	s_waitcnt vmcnt(0) lgkmcnt(0)
	v_fmac_f32_e32 v77, v80, v81
	s_andn2_b64 exec, exec, s[6:7]
	s_cbranch_execnz .LBB93_23
; %bb.24:
	s_or_b64 exec, exec, s[6:7]
.LBB93_25:
	s_or_b64 exec, exec, s[12:13]
	v_mov_b32_e32 v78, 0
	ds_read_b32 v78, v78 offset:104
	s_waitcnt lgkmcnt(0)
	v_mul_f32_e32 v77, v77, v78
	buffer_store_dword v77, off, s[0:3], 0 offset:104
.LBB93_26:
	s_or_b64 exec, exec, s[10:11]
	buffer_load_dword v77, off, s[0:3], 0 offset:100
	v_cmp_lt_u32_e64 s[6:7], 25, v0
	s_waitcnt vmcnt(0)
	ds_write_b32 v62, v77
	s_waitcnt lgkmcnt(0)
	; wave barrier
	s_waitcnt lgkmcnt(0)
	s_and_saveexec_b64 s[10:11], s[6:7]
	s_cbranch_execz .LBB93_36
; %bb.27:
	s_andn2_b64 vcc, exec, s[8:9]
	s_cbranch_vccnz .LBB93_29
; %bb.28:
	buffer_load_dword v77, v63, s[0:3], 0 offen
	ds_read_b32 v78, v62
	s_waitcnt vmcnt(0) lgkmcnt(0)
	v_mul_f32_e32 v77, v77, v78
	s_cbranch_execz .LBB93_30
	s_branch .LBB93_31
.LBB93_29:
                                        ; implicit-def: $vgpr77
.LBB93_30:
	ds_read_b32 v77, v62
.LBB93_31:
	s_and_saveexec_b64 s[12:13], s[4:5]
	s_cbranch_execz .LBB93_35
; %bb.32:
	v_subrev_u32_e32 v78, 26, v0
	s_movk_i32 s14, 0xe8
	s_mov_b64 s[4:5], 0
.LBB93_33:                              ; =>This Inner Loop Header: Depth=1
	buffer_load_dword v79, v76, s[0:3], 0 offen
	v_mov_b32_e32 v80, s14
	ds_read_b32 v80, v80
	v_add_u32_e32 v78, -1, v78
	s_add_i32 s14, s14, 4
	v_cmp_eq_u32_e32 vcc, 0, v78
	v_add_u32_e32 v76, 4, v76
	s_or_b64 s[4:5], vcc, s[4:5]
	s_waitcnt vmcnt(0) lgkmcnt(0)
	v_fmac_f32_e32 v77, v79, v80
	s_andn2_b64 exec, exec, s[4:5]
	s_cbranch_execnz .LBB93_33
; %bb.34:
	s_or_b64 exec, exec, s[4:5]
.LBB93_35:
	s_or_b64 exec, exec, s[12:13]
	v_mov_b32_e32 v76, 0
	ds_read_b32 v76, v76 offset:100
	s_waitcnt lgkmcnt(0)
	v_mul_f32_e32 v76, v77, v76
	buffer_store_dword v76, off, s[0:3], 0 offset:100
.LBB93_36:
	s_or_b64 exec, exec, s[10:11]
	buffer_load_dword v76, off, s[0:3], 0 offset:96
	v_cmp_lt_u32_e64 s[4:5], 24, v0
	s_waitcnt vmcnt(0)
	ds_write_b32 v62, v76
	s_waitcnt lgkmcnt(0)
	; wave barrier
	s_waitcnt lgkmcnt(0)
	s_and_saveexec_b64 s[10:11], s[4:5]
	s_cbranch_execz .LBB93_46
; %bb.37:
	s_andn2_b64 vcc, exec, s[8:9]
	s_cbranch_vccnz .LBB93_39
; %bb.38:
	buffer_load_dword v76, v63, s[0:3], 0 offen
	ds_read_b32 v77, v62
	s_waitcnt vmcnt(0) lgkmcnt(0)
	v_mul_f32_e32 v76, v76, v77
	s_cbranch_execz .LBB93_40
	s_branch .LBB93_41
.LBB93_39:
                                        ; implicit-def: $vgpr76
.LBB93_40:
	ds_read_b32 v76, v62
.LBB93_41:
	s_and_saveexec_b64 s[12:13], s[6:7]
	s_cbranch_execz .LBB93_45
; %bb.42:
	v_mov_b32_e32 v77, 0
	v_add_u32_e32 v77, 0x64, v77
	v_subrev_u32_e32 v78, 25, v0
	s_movk_i32 s14, 0xe4
	s_mov_b64 s[6:7], 0
.LBB93_43:                              ; =>This Inner Loop Header: Depth=1
	buffer_load_dword v79, v77, s[0:3], 0 offen
	v_mov_b32_e32 v80, s14
	ds_read_b32 v80, v80
	v_add_u32_e32 v78, -1, v78
	s_add_i32 s14, s14, 4
	v_cmp_eq_u32_e32 vcc, 0, v78
	v_add_u32_e32 v77, 4, v77
	s_or_b64 s[6:7], vcc, s[6:7]
	s_waitcnt vmcnt(0) lgkmcnt(0)
	v_fmac_f32_e32 v76, v79, v80
	s_andn2_b64 exec, exec, s[6:7]
	s_cbranch_execnz .LBB93_43
; %bb.44:
	s_or_b64 exec, exec, s[6:7]
.LBB93_45:
	s_or_b64 exec, exec, s[12:13]
	v_mov_b32_e32 v77, 0
	ds_read_b32 v77, v77 offset:96
	s_waitcnt lgkmcnt(0)
	v_mul_f32_e32 v76, v76, v77
	buffer_store_dword v76, off, s[0:3], 0 offset:96
.LBB93_46:
	s_or_b64 exec, exec, s[10:11]
	buffer_load_dword v76, off, s[0:3], 0 offset:92
	v_cmp_lt_u32_e64 s[6:7], 23, v0
	s_waitcnt vmcnt(0)
	ds_write_b32 v62, v76
	s_waitcnt lgkmcnt(0)
	; wave barrier
	s_waitcnt lgkmcnt(0)
	s_and_saveexec_b64 s[10:11], s[6:7]
	s_cbranch_execz .LBB93_56
; %bb.47:
	s_andn2_b64 vcc, exec, s[8:9]
	s_cbranch_vccnz .LBB93_49
; %bb.48:
	buffer_load_dword v76, v63, s[0:3], 0 offen
	ds_read_b32 v77, v62
	s_waitcnt vmcnt(0) lgkmcnt(0)
	v_mul_f32_e32 v76, v76, v77
	s_cbranch_execz .LBB93_50
	s_branch .LBB93_51
.LBB93_49:
                                        ; implicit-def: $vgpr76
.LBB93_50:
	ds_read_b32 v76, v62
.LBB93_51:
	s_and_saveexec_b64 s[12:13], s[4:5]
	s_cbranch_execz .LBB93_55
; %bb.52:
	v_subrev_u32_e32 v77, 24, v0
	s_movk_i32 s14, 0xe0
	s_mov_b64 s[4:5], 0
.LBB93_53:                              ; =>This Inner Loop Header: Depth=1
	buffer_load_dword v78, v75, s[0:3], 0 offen
	v_mov_b32_e32 v79, s14
	ds_read_b32 v79, v79
	v_add_u32_e32 v77, -1, v77
	s_add_i32 s14, s14, 4
	v_cmp_eq_u32_e32 vcc, 0, v77
	v_add_u32_e32 v75, 4, v75
	s_or_b64 s[4:5], vcc, s[4:5]
	s_waitcnt vmcnt(0) lgkmcnt(0)
	v_fmac_f32_e32 v76, v78, v79
	s_andn2_b64 exec, exec, s[4:5]
	s_cbranch_execnz .LBB93_53
; %bb.54:
	s_or_b64 exec, exec, s[4:5]
.LBB93_55:
	s_or_b64 exec, exec, s[12:13]
	v_mov_b32_e32 v75, 0
	ds_read_b32 v75, v75 offset:92
	s_waitcnt lgkmcnt(0)
	v_mul_f32_e32 v75, v76, v75
	buffer_store_dword v75, off, s[0:3], 0 offset:92
.LBB93_56:
	s_or_b64 exec, exec, s[10:11]
	buffer_load_dword v75, off, s[0:3], 0 offset:88
	v_cmp_lt_u32_e64 s[4:5], 22, v0
	s_waitcnt vmcnt(0)
	ds_write_b32 v62, v75
	s_waitcnt lgkmcnt(0)
	; wave barrier
	s_waitcnt lgkmcnt(0)
	s_and_saveexec_b64 s[10:11], s[4:5]
	s_cbranch_execz .LBB93_66
; %bb.57:
	s_andn2_b64 vcc, exec, s[8:9]
	s_cbranch_vccnz .LBB93_59
; %bb.58:
	buffer_load_dword v75, v63, s[0:3], 0 offen
	ds_read_b32 v76, v62
	s_waitcnt vmcnt(0) lgkmcnt(0)
	v_mul_f32_e32 v75, v75, v76
	s_cbranch_execz .LBB93_60
	s_branch .LBB93_61
.LBB93_59:
                                        ; implicit-def: $vgpr75
.LBB93_60:
	ds_read_b32 v75, v62
.LBB93_61:
	s_and_saveexec_b64 s[12:13], s[6:7]
	s_cbranch_execz .LBB93_65
; %bb.62:
	v_mov_b32_e32 v76, 0
	v_add_u32_e32 v76, 0x5c, v76
	v_subrev_u32_e32 v77, 23, v0
	s_movk_i32 s14, 0xdc
	s_mov_b64 s[6:7], 0
.LBB93_63:                              ; =>This Inner Loop Header: Depth=1
	buffer_load_dword v78, v76, s[0:3], 0 offen
	v_mov_b32_e32 v79, s14
	ds_read_b32 v79, v79
	v_add_u32_e32 v77, -1, v77
	s_add_i32 s14, s14, 4
	v_cmp_eq_u32_e32 vcc, 0, v77
	v_add_u32_e32 v76, 4, v76
	s_or_b64 s[6:7], vcc, s[6:7]
	s_waitcnt vmcnt(0) lgkmcnt(0)
	v_fmac_f32_e32 v75, v78, v79
	s_andn2_b64 exec, exec, s[6:7]
	s_cbranch_execnz .LBB93_63
; %bb.64:
	s_or_b64 exec, exec, s[6:7]
.LBB93_65:
	s_or_b64 exec, exec, s[12:13]
	v_mov_b32_e32 v76, 0
	ds_read_b32 v76, v76 offset:88
	s_waitcnt lgkmcnt(0)
	v_mul_f32_e32 v75, v75, v76
	buffer_store_dword v75, off, s[0:3], 0 offset:88
.LBB93_66:
	s_or_b64 exec, exec, s[10:11]
	buffer_load_dword v75, off, s[0:3], 0 offset:84
	v_cmp_lt_u32_e64 s[6:7], 21, v0
	s_waitcnt vmcnt(0)
	ds_write_b32 v62, v75
	s_waitcnt lgkmcnt(0)
	; wave barrier
	s_waitcnt lgkmcnt(0)
	s_and_saveexec_b64 s[10:11], s[6:7]
	s_cbranch_execz .LBB93_76
; %bb.67:
	s_andn2_b64 vcc, exec, s[8:9]
	s_cbranch_vccnz .LBB93_69
; %bb.68:
	buffer_load_dword v75, v63, s[0:3], 0 offen
	ds_read_b32 v76, v62
	s_waitcnt vmcnt(0) lgkmcnt(0)
	v_mul_f32_e32 v75, v75, v76
	s_cbranch_execz .LBB93_70
	s_branch .LBB93_71
.LBB93_69:
                                        ; implicit-def: $vgpr75
.LBB93_70:
	ds_read_b32 v75, v62
.LBB93_71:
	s_and_saveexec_b64 s[12:13], s[4:5]
	s_cbranch_execz .LBB93_75
; %bb.72:
	v_subrev_u32_e32 v76, 22, v0
	s_movk_i32 s14, 0xd8
	s_mov_b64 s[4:5], 0
.LBB93_73:                              ; =>This Inner Loop Header: Depth=1
	buffer_load_dword v77, v74, s[0:3], 0 offen
	v_mov_b32_e32 v78, s14
	ds_read_b32 v78, v78
	v_add_u32_e32 v76, -1, v76
	s_add_i32 s14, s14, 4
	v_cmp_eq_u32_e32 vcc, 0, v76
	v_add_u32_e32 v74, 4, v74
	s_or_b64 s[4:5], vcc, s[4:5]
	s_waitcnt vmcnt(0) lgkmcnt(0)
	v_fmac_f32_e32 v75, v77, v78
	s_andn2_b64 exec, exec, s[4:5]
	s_cbranch_execnz .LBB93_73
; %bb.74:
	s_or_b64 exec, exec, s[4:5]
.LBB93_75:
	s_or_b64 exec, exec, s[12:13]
	v_mov_b32_e32 v74, 0
	ds_read_b32 v74, v74 offset:84
	s_waitcnt lgkmcnt(0)
	v_mul_f32_e32 v74, v75, v74
	buffer_store_dword v74, off, s[0:3], 0 offset:84
.LBB93_76:
	s_or_b64 exec, exec, s[10:11]
	buffer_load_dword v74, off, s[0:3], 0 offset:80
	v_cmp_lt_u32_e64 s[4:5], 20, v0
	s_waitcnt vmcnt(0)
	ds_write_b32 v62, v74
	s_waitcnt lgkmcnt(0)
	; wave barrier
	s_waitcnt lgkmcnt(0)
	s_and_saveexec_b64 s[10:11], s[4:5]
	s_cbranch_execz .LBB93_86
; %bb.77:
	s_andn2_b64 vcc, exec, s[8:9]
	s_cbranch_vccnz .LBB93_79
; %bb.78:
	buffer_load_dword v74, v63, s[0:3], 0 offen
	ds_read_b32 v75, v62
	s_waitcnt vmcnt(0) lgkmcnt(0)
	v_mul_f32_e32 v74, v74, v75
	s_cbranch_execz .LBB93_80
	s_branch .LBB93_81
.LBB93_79:
                                        ; implicit-def: $vgpr74
.LBB93_80:
	ds_read_b32 v74, v62
.LBB93_81:
	s_and_saveexec_b64 s[12:13], s[6:7]
	s_cbranch_execz .LBB93_85
; %bb.82:
	v_mov_b32_e32 v75, 0
	v_add_u32_e32 v75, 0x54, v75
	v_subrev_u32_e32 v76, 21, v0
	s_movk_i32 s14, 0xd4
	s_mov_b64 s[6:7], 0
.LBB93_83:                              ; =>This Inner Loop Header: Depth=1
	buffer_load_dword v77, v75, s[0:3], 0 offen
	v_mov_b32_e32 v78, s14
	ds_read_b32 v78, v78
	v_add_u32_e32 v76, -1, v76
	s_add_i32 s14, s14, 4
	v_cmp_eq_u32_e32 vcc, 0, v76
	v_add_u32_e32 v75, 4, v75
	s_or_b64 s[6:7], vcc, s[6:7]
	s_waitcnt vmcnt(0) lgkmcnt(0)
	v_fmac_f32_e32 v74, v77, v78
	s_andn2_b64 exec, exec, s[6:7]
	s_cbranch_execnz .LBB93_83
; %bb.84:
	s_or_b64 exec, exec, s[6:7]
.LBB93_85:
	s_or_b64 exec, exec, s[12:13]
	v_mov_b32_e32 v75, 0
	ds_read_b32 v75, v75 offset:80
	s_waitcnt lgkmcnt(0)
	v_mul_f32_e32 v74, v74, v75
	buffer_store_dword v74, off, s[0:3], 0 offset:80
.LBB93_86:
	s_or_b64 exec, exec, s[10:11]
	buffer_load_dword v74, off, s[0:3], 0 offset:76
	v_cmp_lt_u32_e64 s[6:7], 19, v0
	s_waitcnt vmcnt(0)
	ds_write_b32 v62, v74
	s_waitcnt lgkmcnt(0)
	; wave barrier
	s_waitcnt lgkmcnt(0)
	s_and_saveexec_b64 s[10:11], s[6:7]
	s_cbranch_execz .LBB93_96
; %bb.87:
	s_andn2_b64 vcc, exec, s[8:9]
	s_cbranch_vccnz .LBB93_89
; %bb.88:
	buffer_load_dword v74, v63, s[0:3], 0 offen
	ds_read_b32 v75, v62
	s_waitcnt vmcnt(0) lgkmcnt(0)
	v_mul_f32_e32 v74, v74, v75
	s_cbranch_execz .LBB93_90
	s_branch .LBB93_91
.LBB93_89:
                                        ; implicit-def: $vgpr74
.LBB93_90:
	ds_read_b32 v74, v62
.LBB93_91:
	s_and_saveexec_b64 s[12:13], s[4:5]
	s_cbranch_execz .LBB93_95
; %bb.92:
	v_subrev_u32_e32 v75, 20, v0
	s_movk_i32 s14, 0xd0
	s_mov_b64 s[4:5], 0
.LBB93_93:                              ; =>This Inner Loop Header: Depth=1
	buffer_load_dword v76, v73, s[0:3], 0 offen
	v_mov_b32_e32 v77, s14
	ds_read_b32 v77, v77
	v_add_u32_e32 v75, -1, v75
	s_add_i32 s14, s14, 4
	v_cmp_eq_u32_e32 vcc, 0, v75
	v_add_u32_e32 v73, 4, v73
	s_or_b64 s[4:5], vcc, s[4:5]
	s_waitcnt vmcnt(0) lgkmcnt(0)
	v_fmac_f32_e32 v74, v76, v77
	s_andn2_b64 exec, exec, s[4:5]
	s_cbranch_execnz .LBB93_93
; %bb.94:
	s_or_b64 exec, exec, s[4:5]
.LBB93_95:
	s_or_b64 exec, exec, s[12:13]
	v_mov_b32_e32 v73, 0
	ds_read_b32 v73, v73 offset:76
	s_waitcnt lgkmcnt(0)
	v_mul_f32_e32 v73, v74, v73
	buffer_store_dword v73, off, s[0:3], 0 offset:76
.LBB93_96:
	s_or_b64 exec, exec, s[10:11]
	buffer_load_dword v73, off, s[0:3], 0 offset:72
	v_cmp_lt_u32_e64 s[4:5], 18, v0
	s_waitcnt vmcnt(0)
	ds_write_b32 v62, v73
	s_waitcnt lgkmcnt(0)
	; wave barrier
	s_waitcnt lgkmcnt(0)
	s_and_saveexec_b64 s[10:11], s[4:5]
	s_cbranch_execz .LBB93_106
; %bb.97:
	s_andn2_b64 vcc, exec, s[8:9]
	s_cbranch_vccnz .LBB93_99
; %bb.98:
	buffer_load_dword v73, v63, s[0:3], 0 offen
	ds_read_b32 v74, v62
	s_waitcnt vmcnt(0) lgkmcnt(0)
	v_mul_f32_e32 v73, v73, v74
	s_cbranch_execz .LBB93_100
	s_branch .LBB93_101
.LBB93_99:
                                        ; implicit-def: $vgpr73
.LBB93_100:
	ds_read_b32 v73, v62
.LBB93_101:
	s_and_saveexec_b64 s[12:13], s[6:7]
	s_cbranch_execz .LBB93_105
; %bb.102:
	v_mov_b32_e32 v74, 0
	v_add_u32_e32 v74, 0x4c, v74
	v_subrev_u32_e32 v75, 19, v0
	s_movk_i32 s14, 0xcc
	s_mov_b64 s[6:7], 0
.LBB93_103:                             ; =>This Inner Loop Header: Depth=1
	buffer_load_dword v76, v74, s[0:3], 0 offen
	v_mov_b32_e32 v77, s14
	ds_read_b32 v77, v77
	v_add_u32_e32 v75, -1, v75
	s_add_i32 s14, s14, 4
	v_cmp_eq_u32_e32 vcc, 0, v75
	v_add_u32_e32 v74, 4, v74
	s_or_b64 s[6:7], vcc, s[6:7]
	s_waitcnt vmcnt(0) lgkmcnt(0)
	v_fmac_f32_e32 v73, v76, v77
	s_andn2_b64 exec, exec, s[6:7]
	s_cbranch_execnz .LBB93_103
; %bb.104:
	s_or_b64 exec, exec, s[6:7]
.LBB93_105:
	s_or_b64 exec, exec, s[12:13]
	v_mov_b32_e32 v74, 0
	ds_read_b32 v74, v74 offset:72
	s_waitcnt lgkmcnt(0)
	v_mul_f32_e32 v73, v73, v74
	buffer_store_dword v73, off, s[0:3], 0 offset:72
.LBB93_106:
	s_or_b64 exec, exec, s[10:11]
	buffer_load_dword v73, off, s[0:3], 0 offset:68
	v_cmp_lt_u32_e64 s[6:7], 17, v0
	s_waitcnt vmcnt(0)
	ds_write_b32 v62, v73
	s_waitcnt lgkmcnt(0)
	; wave barrier
	s_waitcnt lgkmcnt(0)
	s_and_saveexec_b64 s[10:11], s[6:7]
	s_cbranch_execz .LBB93_116
; %bb.107:
	s_andn2_b64 vcc, exec, s[8:9]
	s_cbranch_vccnz .LBB93_109
; %bb.108:
	buffer_load_dword v73, v63, s[0:3], 0 offen
	ds_read_b32 v74, v62
	s_waitcnt vmcnt(0) lgkmcnt(0)
	v_mul_f32_e32 v73, v73, v74
	s_cbranch_execz .LBB93_110
	s_branch .LBB93_111
.LBB93_109:
                                        ; implicit-def: $vgpr73
.LBB93_110:
	ds_read_b32 v73, v62
.LBB93_111:
	s_and_saveexec_b64 s[12:13], s[4:5]
	s_cbranch_execz .LBB93_115
; %bb.112:
	v_subrev_u32_e32 v74, 18, v0
	s_movk_i32 s14, 0xc8
	s_mov_b64 s[4:5], 0
.LBB93_113:                             ; =>This Inner Loop Header: Depth=1
	buffer_load_dword v75, v72, s[0:3], 0 offen
	v_mov_b32_e32 v76, s14
	ds_read_b32 v76, v76
	v_add_u32_e32 v74, -1, v74
	s_add_i32 s14, s14, 4
	v_cmp_eq_u32_e32 vcc, 0, v74
	v_add_u32_e32 v72, 4, v72
	s_or_b64 s[4:5], vcc, s[4:5]
	s_waitcnt vmcnt(0) lgkmcnt(0)
	v_fmac_f32_e32 v73, v75, v76
	s_andn2_b64 exec, exec, s[4:5]
	s_cbranch_execnz .LBB93_113
; %bb.114:
	s_or_b64 exec, exec, s[4:5]
.LBB93_115:
	s_or_b64 exec, exec, s[12:13]
	v_mov_b32_e32 v72, 0
	ds_read_b32 v72, v72 offset:68
	s_waitcnt lgkmcnt(0)
	v_mul_f32_e32 v72, v73, v72
	buffer_store_dword v72, off, s[0:3], 0 offset:68
.LBB93_116:
	s_or_b64 exec, exec, s[10:11]
	buffer_load_dword v72, off, s[0:3], 0 offset:64
	v_cmp_lt_u32_e64 s[4:5], 16, v0
	s_waitcnt vmcnt(0)
	ds_write_b32 v62, v72
	s_waitcnt lgkmcnt(0)
	; wave barrier
	s_waitcnt lgkmcnt(0)
	s_and_saveexec_b64 s[10:11], s[4:5]
	s_cbranch_execz .LBB93_126
; %bb.117:
	s_andn2_b64 vcc, exec, s[8:9]
	s_cbranch_vccnz .LBB93_119
; %bb.118:
	buffer_load_dword v72, v63, s[0:3], 0 offen
	ds_read_b32 v73, v62
	s_waitcnt vmcnt(0) lgkmcnt(0)
	v_mul_f32_e32 v72, v72, v73
	s_cbranch_execz .LBB93_120
	s_branch .LBB93_121
.LBB93_119:
                                        ; implicit-def: $vgpr72
.LBB93_120:
	ds_read_b32 v72, v62
.LBB93_121:
	s_and_saveexec_b64 s[12:13], s[6:7]
	s_cbranch_execz .LBB93_125
; %bb.122:
	v_mov_b32_e32 v73, 0
	v_add_u32_e32 v73, 0x44, v73
	v_subrev_u32_e32 v74, 17, v0
	s_movk_i32 s14, 0xc4
	s_mov_b64 s[6:7], 0
.LBB93_123:                             ; =>This Inner Loop Header: Depth=1
	buffer_load_dword v75, v73, s[0:3], 0 offen
	v_mov_b32_e32 v76, s14
	ds_read_b32 v76, v76
	v_add_u32_e32 v74, -1, v74
	s_add_i32 s14, s14, 4
	v_cmp_eq_u32_e32 vcc, 0, v74
	v_add_u32_e32 v73, 4, v73
	s_or_b64 s[6:7], vcc, s[6:7]
	s_waitcnt vmcnt(0) lgkmcnt(0)
	v_fmac_f32_e32 v72, v75, v76
	s_andn2_b64 exec, exec, s[6:7]
	s_cbranch_execnz .LBB93_123
; %bb.124:
	s_or_b64 exec, exec, s[6:7]
.LBB93_125:
	s_or_b64 exec, exec, s[12:13]
	v_mov_b32_e32 v73, 0
	ds_read_b32 v73, v73 offset:64
	s_waitcnt lgkmcnt(0)
	v_mul_f32_e32 v72, v72, v73
	buffer_store_dword v72, off, s[0:3], 0 offset:64
.LBB93_126:
	s_or_b64 exec, exec, s[10:11]
	buffer_load_dword v72, off, s[0:3], 0 offset:60
	v_cmp_lt_u32_e64 s[6:7], 15, v0
	s_waitcnt vmcnt(0)
	ds_write_b32 v62, v72
	s_waitcnt lgkmcnt(0)
	; wave barrier
	s_waitcnt lgkmcnt(0)
	s_and_saveexec_b64 s[10:11], s[6:7]
	s_cbranch_execz .LBB93_136
; %bb.127:
	s_andn2_b64 vcc, exec, s[8:9]
	s_cbranch_vccnz .LBB93_129
; %bb.128:
	buffer_load_dword v72, v63, s[0:3], 0 offen
	ds_read_b32 v73, v62
	s_waitcnt vmcnt(0) lgkmcnt(0)
	v_mul_f32_e32 v72, v72, v73
	s_cbranch_execz .LBB93_130
	s_branch .LBB93_131
.LBB93_129:
                                        ; implicit-def: $vgpr72
.LBB93_130:
	ds_read_b32 v72, v62
.LBB93_131:
	s_and_saveexec_b64 s[12:13], s[4:5]
	s_cbranch_execz .LBB93_135
; %bb.132:
	v_add_u32_e32 v73, -16, v0
	s_movk_i32 s14, 0xc0
	s_mov_b64 s[4:5], 0
.LBB93_133:                             ; =>This Inner Loop Header: Depth=1
	buffer_load_dword v74, v71, s[0:3], 0 offen
	v_mov_b32_e32 v75, s14
	ds_read_b32 v75, v75
	v_add_u32_e32 v73, -1, v73
	s_add_i32 s14, s14, 4
	v_cmp_eq_u32_e32 vcc, 0, v73
	v_add_u32_e32 v71, 4, v71
	s_or_b64 s[4:5], vcc, s[4:5]
	s_waitcnt vmcnt(0) lgkmcnt(0)
	v_fmac_f32_e32 v72, v74, v75
	s_andn2_b64 exec, exec, s[4:5]
	s_cbranch_execnz .LBB93_133
; %bb.134:
	s_or_b64 exec, exec, s[4:5]
.LBB93_135:
	s_or_b64 exec, exec, s[12:13]
	v_mov_b32_e32 v71, 0
	ds_read_b32 v71, v71 offset:60
	s_waitcnt lgkmcnt(0)
	v_mul_f32_e32 v71, v72, v71
	buffer_store_dword v71, off, s[0:3], 0 offset:60
.LBB93_136:
	s_or_b64 exec, exec, s[10:11]
	buffer_load_dword v71, off, s[0:3], 0 offset:56
	v_cmp_lt_u32_e64 s[4:5], 14, v0
	s_waitcnt vmcnt(0)
	ds_write_b32 v62, v71
	s_waitcnt lgkmcnt(0)
	; wave barrier
	s_waitcnt lgkmcnt(0)
	s_and_saveexec_b64 s[10:11], s[4:5]
	s_cbranch_execz .LBB93_146
; %bb.137:
	s_andn2_b64 vcc, exec, s[8:9]
	s_cbranch_vccnz .LBB93_139
; %bb.138:
	buffer_load_dword v71, v63, s[0:3], 0 offen
	ds_read_b32 v72, v62
	s_waitcnt vmcnt(0) lgkmcnt(0)
	v_mul_f32_e32 v71, v71, v72
	s_cbranch_execz .LBB93_140
	s_branch .LBB93_141
.LBB93_139:
                                        ; implicit-def: $vgpr71
.LBB93_140:
	ds_read_b32 v71, v62
.LBB93_141:
	s_and_saveexec_b64 s[12:13], s[6:7]
	s_cbranch_execz .LBB93_145
; %bb.142:
	v_mov_b32_e32 v72, 0
	v_add_u32_e32 v72, 60, v72
	v_add_u32_e32 v73, -15, v0
	s_movk_i32 s14, 0xbc
	s_mov_b64 s[6:7], 0
.LBB93_143:                             ; =>This Inner Loop Header: Depth=1
	buffer_load_dword v74, v72, s[0:3], 0 offen
	v_mov_b32_e32 v75, s14
	ds_read_b32 v75, v75
	v_add_u32_e32 v73, -1, v73
	s_add_i32 s14, s14, 4
	v_cmp_eq_u32_e32 vcc, 0, v73
	v_add_u32_e32 v72, 4, v72
	s_or_b64 s[6:7], vcc, s[6:7]
	s_waitcnt vmcnt(0) lgkmcnt(0)
	v_fmac_f32_e32 v71, v74, v75
	s_andn2_b64 exec, exec, s[6:7]
	s_cbranch_execnz .LBB93_143
; %bb.144:
	s_or_b64 exec, exec, s[6:7]
.LBB93_145:
	s_or_b64 exec, exec, s[12:13]
	v_mov_b32_e32 v72, 0
	ds_read_b32 v72, v72 offset:56
	s_waitcnt lgkmcnt(0)
	v_mul_f32_e32 v71, v71, v72
	buffer_store_dword v71, off, s[0:3], 0 offset:56
.LBB93_146:
	s_or_b64 exec, exec, s[10:11]
	buffer_load_dword v71, off, s[0:3], 0 offset:52
	v_cmp_lt_u32_e64 s[6:7], 13, v0
	s_waitcnt vmcnt(0)
	ds_write_b32 v62, v71
	s_waitcnt lgkmcnt(0)
	; wave barrier
	s_waitcnt lgkmcnt(0)
	s_and_saveexec_b64 s[10:11], s[6:7]
	s_cbranch_execz .LBB93_156
; %bb.147:
	s_andn2_b64 vcc, exec, s[8:9]
	s_cbranch_vccnz .LBB93_149
; %bb.148:
	buffer_load_dword v71, v63, s[0:3], 0 offen
	ds_read_b32 v72, v62
	s_waitcnt vmcnt(0) lgkmcnt(0)
	v_mul_f32_e32 v71, v71, v72
	s_cbranch_execz .LBB93_150
	s_branch .LBB93_151
.LBB93_149:
                                        ; implicit-def: $vgpr71
.LBB93_150:
	ds_read_b32 v71, v62
.LBB93_151:
	s_and_saveexec_b64 s[12:13], s[4:5]
	s_cbranch_execz .LBB93_155
; %bb.152:
	v_add_u32_e32 v72, -14, v0
	s_movk_i32 s14, 0xb8
	s_mov_b64 s[4:5], 0
.LBB93_153:                             ; =>This Inner Loop Header: Depth=1
	buffer_load_dword v73, v70, s[0:3], 0 offen
	v_mov_b32_e32 v74, s14
	ds_read_b32 v74, v74
	v_add_u32_e32 v72, -1, v72
	s_add_i32 s14, s14, 4
	v_cmp_eq_u32_e32 vcc, 0, v72
	v_add_u32_e32 v70, 4, v70
	s_or_b64 s[4:5], vcc, s[4:5]
	s_waitcnt vmcnt(0) lgkmcnt(0)
	v_fmac_f32_e32 v71, v73, v74
	s_andn2_b64 exec, exec, s[4:5]
	s_cbranch_execnz .LBB93_153
; %bb.154:
	s_or_b64 exec, exec, s[4:5]
.LBB93_155:
	s_or_b64 exec, exec, s[12:13]
	v_mov_b32_e32 v70, 0
	ds_read_b32 v70, v70 offset:52
	s_waitcnt lgkmcnt(0)
	v_mul_f32_e32 v70, v71, v70
	buffer_store_dword v70, off, s[0:3], 0 offset:52
.LBB93_156:
	s_or_b64 exec, exec, s[10:11]
	buffer_load_dword v70, off, s[0:3], 0 offset:48
	v_cmp_lt_u32_e64 s[4:5], 12, v0
	s_waitcnt vmcnt(0)
	ds_write_b32 v62, v70
	s_waitcnt lgkmcnt(0)
	; wave barrier
	s_waitcnt lgkmcnt(0)
	s_and_saveexec_b64 s[10:11], s[4:5]
	s_cbranch_execz .LBB93_166
; %bb.157:
	s_andn2_b64 vcc, exec, s[8:9]
	s_cbranch_vccnz .LBB93_159
; %bb.158:
	buffer_load_dword v70, v63, s[0:3], 0 offen
	ds_read_b32 v71, v62
	s_waitcnt vmcnt(0) lgkmcnt(0)
	v_mul_f32_e32 v70, v70, v71
	s_cbranch_execz .LBB93_160
	s_branch .LBB93_161
.LBB93_159:
                                        ; implicit-def: $vgpr70
.LBB93_160:
	ds_read_b32 v70, v62
.LBB93_161:
	s_and_saveexec_b64 s[12:13], s[6:7]
	s_cbranch_execz .LBB93_165
; %bb.162:
	v_mov_b32_e32 v71, 0
	v_add_u32_e32 v71, 52, v71
	v_add_u32_e32 v72, -13, v0
	s_movk_i32 s14, 0xb4
	s_mov_b64 s[6:7], 0
.LBB93_163:                             ; =>This Inner Loop Header: Depth=1
	buffer_load_dword v73, v71, s[0:3], 0 offen
	v_mov_b32_e32 v74, s14
	ds_read_b32 v74, v74
	v_add_u32_e32 v72, -1, v72
	s_add_i32 s14, s14, 4
	v_cmp_eq_u32_e32 vcc, 0, v72
	v_add_u32_e32 v71, 4, v71
	s_or_b64 s[6:7], vcc, s[6:7]
	s_waitcnt vmcnt(0) lgkmcnt(0)
	v_fmac_f32_e32 v70, v73, v74
	s_andn2_b64 exec, exec, s[6:7]
	s_cbranch_execnz .LBB93_163
; %bb.164:
	s_or_b64 exec, exec, s[6:7]
.LBB93_165:
	s_or_b64 exec, exec, s[12:13]
	v_mov_b32_e32 v71, 0
	ds_read_b32 v71, v71 offset:48
	s_waitcnt lgkmcnt(0)
	v_mul_f32_e32 v70, v70, v71
	buffer_store_dword v70, off, s[0:3], 0 offset:48
.LBB93_166:
	s_or_b64 exec, exec, s[10:11]
	buffer_load_dword v70, off, s[0:3], 0 offset:44
	v_cmp_lt_u32_e64 s[6:7], 11, v0
	s_waitcnt vmcnt(0)
	ds_write_b32 v62, v70
	s_waitcnt lgkmcnt(0)
	; wave barrier
	s_waitcnt lgkmcnt(0)
	s_and_saveexec_b64 s[10:11], s[6:7]
	s_cbranch_execz .LBB93_176
; %bb.167:
	s_andn2_b64 vcc, exec, s[8:9]
	s_cbranch_vccnz .LBB93_169
; %bb.168:
	buffer_load_dword v70, v63, s[0:3], 0 offen
	ds_read_b32 v71, v62
	s_waitcnt vmcnt(0) lgkmcnt(0)
	v_mul_f32_e32 v70, v70, v71
	s_cbranch_execz .LBB93_170
	s_branch .LBB93_171
.LBB93_169:
                                        ; implicit-def: $vgpr70
.LBB93_170:
	ds_read_b32 v70, v62
.LBB93_171:
	s_and_saveexec_b64 s[12:13], s[4:5]
	s_cbranch_execz .LBB93_175
; %bb.172:
	v_add_u32_e32 v71, -12, v0
	s_movk_i32 s14, 0xb0
	s_mov_b64 s[4:5], 0
.LBB93_173:                             ; =>This Inner Loop Header: Depth=1
	buffer_load_dword v72, v69, s[0:3], 0 offen
	v_mov_b32_e32 v73, s14
	ds_read_b32 v73, v73
	v_add_u32_e32 v71, -1, v71
	s_add_i32 s14, s14, 4
	v_cmp_eq_u32_e32 vcc, 0, v71
	v_add_u32_e32 v69, 4, v69
	s_or_b64 s[4:5], vcc, s[4:5]
	s_waitcnt vmcnt(0) lgkmcnt(0)
	v_fmac_f32_e32 v70, v72, v73
	s_andn2_b64 exec, exec, s[4:5]
	s_cbranch_execnz .LBB93_173
; %bb.174:
	s_or_b64 exec, exec, s[4:5]
.LBB93_175:
	s_or_b64 exec, exec, s[12:13]
	v_mov_b32_e32 v69, 0
	ds_read_b32 v69, v69 offset:44
	s_waitcnt lgkmcnt(0)
	v_mul_f32_e32 v69, v70, v69
	buffer_store_dword v69, off, s[0:3], 0 offset:44
.LBB93_176:
	s_or_b64 exec, exec, s[10:11]
	buffer_load_dword v69, off, s[0:3], 0 offset:40
	v_cmp_lt_u32_e64 s[4:5], 10, v0
	s_waitcnt vmcnt(0)
	ds_write_b32 v62, v69
	s_waitcnt lgkmcnt(0)
	; wave barrier
	s_waitcnt lgkmcnt(0)
	s_and_saveexec_b64 s[10:11], s[4:5]
	s_cbranch_execz .LBB93_186
; %bb.177:
	s_andn2_b64 vcc, exec, s[8:9]
	s_cbranch_vccnz .LBB93_179
; %bb.178:
	buffer_load_dword v69, v63, s[0:3], 0 offen
	ds_read_b32 v70, v62
	s_waitcnt vmcnt(0) lgkmcnt(0)
	v_mul_f32_e32 v69, v69, v70
	s_cbranch_execz .LBB93_180
	s_branch .LBB93_181
.LBB93_179:
                                        ; implicit-def: $vgpr69
.LBB93_180:
	ds_read_b32 v69, v62
.LBB93_181:
	s_and_saveexec_b64 s[12:13], s[6:7]
	s_cbranch_execz .LBB93_185
; %bb.182:
	v_mov_b32_e32 v70, 0
	v_add_u32_e32 v70, 44, v70
	v_add_u32_e32 v71, -11, v0
	s_movk_i32 s14, 0xac
	s_mov_b64 s[6:7], 0
.LBB93_183:                             ; =>This Inner Loop Header: Depth=1
	buffer_load_dword v72, v70, s[0:3], 0 offen
	v_mov_b32_e32 v73, s14
	ds_read_b32 v73, v73
	v_add_u32_e32 v71, -1, v71
	s_add_i32 s14, s14, 4
	v_cmp_eq_u32_e32 vcc, 0, v71
	v_add_u32_e32 v70, 4, v70
	s_or_b64 s[6:7], vcc, s[6:7]
	s_waitcnt vmcnt(0) lgkmcnt(0)
	v_fmac_f32_e32 v69, v72, v73
	s_andn2_b64 exec, exec, s[6:7]
	s_cbranch_execnz .LBB93_183
; %bb.184:
	s_or_b64 exec, exec, s[6:7]
.LBB93_185:
	s_or_b64 exec, exec, s[12:13]
	v_mov_b32_e32 v70, 0
	ds_read_b32 v70, v70 offset:40
	s_waitcnt lgkmcnt(0)
	v_mul_f32_e32 v69, v69, v70
	buffer_store_dword v69, off, s[0:3], 0 offset:40
.LBB93_186:
	s_or_b64 exec, exec, s[10:11]
	buffer_load_dword v69, off, s[0:3], 0 offset:36
	v_cmp_lt_u32_e64 s[6:7], 9, v0
	s_waitcnt vmcnt(0)
	ds_write_b32 v62, v69
	s_waitcnt lgkmcnt(0)
	; wave barrier
	s_waitcnt lgkmcnt(0)
	s_and_saveexec_b64 s[10:11], s[6:7]
	s_cbranch_execz .LBB93_196
; %bb.187:
	s_andn2_b64 vcc, exec, s[8:9]
	s_cbranch_vccnz .LBB93_189
; %bb.188:
	buffer_load_dword v69, v63, s[0:3], 0 offen
	ds_read_b32 v70, v62
	s_waitcnt vmcnt(0) lgkmcnt(0)
	v_mul_f32_e32 v69, v69, v70
	s_cbranch_execz .LBB93_190
	s_branch .LBB93_191
.LBB93_189:
                                        ; implicit-def: $vgpr69
.LBB93_190:
	ds_read_b32 v69, v62
.LBB93_191:
	s_and_saveexec_b64 s[12:13], s[4:5]
	s_cbranch_execz .LBB93_195
; %bb.192:
	v_add_u32_e32 v70, -10, v0
	s_movk_i32 s14, 0xa8
	s_mov_b64 s[4:5], 0
.LBB93_193:                             ; =>This Inner Loop Header: Depth=1
	buffer_load_dword v71, v68, s[0:3], 0 offen
	v_mov_b32_e32 v72, s14
	ds_read_b32 v72, v72
	v_add_u32_e32 v70, -1, v70
	s_add_i32 s14, s14, 4
	v_cmp_eq_u32_e32 vcc, 0, v70
	v_add_u32_e32 v68, 4, v68
	s_or_b64 s[4:5], vcc, s[4:5]
	s_waitcnt vmcnt(0) lgkmcnt(0)
	v_fmac_f32_e32 v69, v71, v72
	s_andn2_b64 exec, exec, s[4:5]
	s_cbranch_execnz .LBB93_193
; %bb.194:
	s_or_b64 exec, exec, s[4:5]
.LBB93_195:
	s_or_b64 exec, exec, s[12:13]
	v_mov_b32_e32 v68, 0
	ds_read_b32 v68, v68 offset:36
	s_waitcnt lgkmcnt(0)
	v_mul_f32_e32 v68, v69, v68
	buffer_store_dword v68, off, s[0:3], 0 offset:36
.LBB93_196:
	s_or_b64 exec, exec, s[10:11]
	buffer_load_dword v68, off, s[0:3], 0 offset:32
	v_cmp_lt_u32_e64 s[4:5], 8, v0
	s_waitcnt vmcnt(0)
	ds_write_b32 v62, v68
	s_waitcnt lgkmcnt(0)
	; wave barrier
	s_waitcnt lgkmcnt(0)
	s_and_saveexec_b64 s[10:11], s[4:5]
	s_cbranch_execz .LBB93_206
; %bb.197:
	s_andn2_b64 vcc, exec, s[8:9]
	s_cbranch_vccnz .LBB93_199
; %bb.198:
	buffer_load_dword v68, v63, s[0:3], 0 offen
	ds_read_b32 v69, v62
	s_waitcnt vmcnt(0) lgkmcnt(0)
	v_mul_f32_e32 v68, v68, v69
	s_cbranch_execz .LBB93_200
	s_branch .LBB93_201
.LBB93_199:
                                        ; implicit-def: $vgpr68
.LBB93_200:
	ds_read_b32 v68, v62
.LBB93_201:
	s_and_saveexec_b64 s[12:13], s[6:7]
	s_cbranch_execz .LBB93_205
; %bb.202:
	v_mov_b32_e32 v69, 0
	v_add_u32_e32 v69, 36, v69
	v_add_u32_e32 v70, -9, v0
	s_movk_i32 s14, 0xa4
	s_mov_b64 s[6:7], 0
.LBB93_203:                             ; =>This Inner Loop Header: Depth=1
	buffer_load_dword v71, v69, s[0:3], 0 offen
	v_mov_b32_e32 v72, s14
	ds_read_b32 v72, v72
	v_add_u32_e32 v70, -1, v70
	s_add_i32 s14, s14, 4
	v_cmp_eq_u32_e32 vcc, 0, v70
	v_add_u32_e32 v69, 4, v69
	s_or_b64 s[6:7], vcc, s[6:7]
	s_waitcnt vmcnt(0) lgkmcnt(0)
	v_fmac_f32_e32 v68, v71, v72
	s_andn2_b64 exec, exec, s[6:7]
	s_cbranch_execnz .LBB93_203
; %bb.204:
	s_or_b64 exec, exec, s[6:7]
.LBB93_205:
	s_or_b64 exec, exec, s[12:13]
	v_mov_b32_e32 v69, 0
	ds_read_b32 v69, v69 offset:32
	s_waitcnt lgkmcnt(0)
	v_mul_f32_e32 v68, v68, v69
	buffer_store_dword v68, off, s[0:3], 0 offset:32
.LBB93_206:
	s_or_b64 exec, exec, s[10:11]
	buffer_load_dword v68, off, s[0:3], 0 offset:28
	v_cmp_lt_u32_e64 s[6:7], 7, v0
	s_waitcnt vmcnt(0)
	ds_write_b32 v62, v68
	s_waitcnt lgkmcnt(0)
	; wave barrier
	s_waitcnt lgkmcnt(0)
	s_and_saveexec_b64 s[10:11], s[6:7]
	s_cbranch_execz .LBB93_216
; %bb.207:
	s_andn2_b64 vcc, exec, s[8:9]
	s_cbranch_vccnz .LBB93_209
; %bb.208:
	buffer_load_dword v68, v63, s[0:3], 0 offen
	ds_read_b32 v69, v62
	s_waitcnt vmcnt(0) lgkmcnt(0)
	v_mul_f32_e32 v68, v68, v69
	s_cbranch_execz .LBB93_210
	s_branch .LBB93_211
.LBB93_209:
                                        ; implicit-def: $vgpr68
.LBB93_210:
	ds_read_b32 v68, v62
.LBB93_211:
	s_and_saveexec_b64 s[12:13], s[4:5]
	s_cbranch_execz .LBB93_215
; %bb.212:
	v_add_u32_e32 v69, -8, v0
	s_movk_i32 s14, 0xa0
	s_mov_b64 s[4:5], 0
.LBB93_213:                             ; =>This Inner Loop Header: Depth=1
	buffer_load_dword v70, v67, s[0:3], 0 offen
	v_mov_b32_e32 v71, s14
	ds_read_b32 v71, v71
	v_add_u32_e32 v69, -1, v69
	s_add_i32 s14, s14, 4
	v_cmp_eq_u32_e32 vcc, 0, v69
	v_add_u32_e32 v67, 4, v67
	s_or_b64 s[4:5], vcc, s[4:5]
	s_waitcnt vmcnt(0) lgkmcnt(0)
	v_fmac_f32_e32 v68, v70, v71
	s_andn2_b64 exec, exec, s[4:5]
	s_cbranch_execnz .LBB93_213
; %bb.214:
	s_or_b64 exec, exec, s[4:5]
.LBB93_215:
	s_or_b64 exec, exec, s[12:13]
	v_mov_b32_e32 v67, 0
	ds_read_b32 v67, v67 offset:28
	s_waitcnt lgkmcnt(0)
	v_mul_f32_e32 v67, v68, v67
	buffer_store_dword v67, off, s[0:3], 0 offset:28
.LBB93_216:
	s_or_b64 exec, exec, s[10:11]
	buffer_load_dword v67, off, s[0:3], 0 offset:24
	v_cmp_lt_u32_e64 s[4:5], 6, v0
	s_waitcnt vmcnt(0)
	ds_write_b32 v62, v67
	s_waitcnt lgkmcnt(0)
	; wave barrier
	s_waitcnt lgkmcnt(0)
	s_and_saveexec_b64 s[10:11], s[4:5]
	s_cbranch_execz .LBB93_226
; %bb.217:
	s_andn2_b64 vcc, exec, s[8:9]
	s_cbranch_vccnz .LBB93_219
; %bb.218:
	buffer_load_dword v67, v63, s[0:3], 0 offen
	ds_read_b32 v68, v62
	s_waitcnt vmcnt(0) lgkmcnt(0)
	v_mul_f32_e32 v67, v67, v68
	s_cbranch_execz .LBB93_220
	s_branch .LBB93_221
.LBB93_219:
                                        ; implicit-def: $vgpr67
.LBB93_220:
	ds_read_b32 v67, v62
.LBB93_221:
	s_and_saveexec_b64 s[12:13], s[6:7]
	s_cbranch_execz .LBB93_225
; %bb.222:
	v_mov_b32_e32 v68, 0
	v_add_u32_e32 v68, 28, v68
	v_add_u32_e32 v69, -7, v0
	s_movk_i32 s14, 0x9c
	s_mov_b64 s[6:7], 0
.LBB93_223:                             ; =>This Inner Loop Header: Depth=1
	buffer_load_dword v70, v68, s[0:3], 0 offen
	v_mov_b32_e32 v71, s14
	ds_read_b32 v71, v71
	v_add_u32_e32 v69, -1, v69
	s_add_i32 s14, s14, 4
	v_cmp_eq_u32_e32 vcc, 0, v69
	v_add_u32_e32 v68, 4, v68
	s_or_b64 s[6:7], vcc, s[6:7]
	s_waitcnt vmcnt(0) lgkmcnt(0)
	v_fmac_f32_e32 v67, v70, v71
	s_andn2_b64 exec, exec, s[6:7]
	s_cbranch_execnz .LBB93_223
; %bb.224:
	s_or_b64 exec, exec, s[6:7]
.LBB93_225:
	s_or_b64 exec, exec, s[12:13]
	v_mov_b32_e32 v68, 0
	ds_read_b32 v68, v68 offset:24
	s_waitcnt lgkmcnt(0)
	v_mul_f32_e32 v67, v67, v68
	buffer_store_dword v67, off, s[0:3], 0 offset:24
.LBB93_226:
	s_or_b64 exec, exec, s[10:11]
	buffer_load_dword v67, off, s[0:3], 0 offset:20
	v_cmp_lt_u32_e64 s[6:7], 5, v0
	s_waitcnt vmcnt(0)
	ds_write_b32 v62, v67
	s_waitcnt lgkmcnt(0)
	; wave barrier
	s_waitcnt lgkmcnt(0)
	s_and_saveexec_b64 s[10:11], s[6:7]
	s_cbranch_execz .LBB93_236
; %bb.227:
	s_andn2_b64 vcc, exec, s[8:9]
	s_cbranch_vccnz .LBB93_229
; %bb.228:
	buffer_load_dword v67, v63, s[0:3], 0 offen
	ds_read_b32 v68, v62
	s_waitcnt vmcnt(0) lgkmcnt(0)
	v_mul_f32_e32 v67, v67, v68
	s_cbranch_execz .LBB93_230
	s_branch .LBB93_231
.LBB93_229:
                                        ; implicit-def: $vgpr67
.LBB93_230:
	ds_read_b32 v67, v62
.LBB93_231:
	s_and_saveexec_b64 s[12:13], s[4:5]
	s_cbranch_execz .LBB93_235
; %bb.232:
	v_add_u32_e32 v68, -6, v0
	s_movk_i32 s14, 0x98
	s_mov_b64 s[4:5], 0
.LBB93_233:                             ; =>This Inner Loop Header: Depth=1
	buffer_load_dword v69, v66, s[0:3], 0 offen
	v_mov_b32_e32 v70, s14
	ds_read_b32 v70, v70
	v_add_u32_e32 v68, -1, v68
	s_add_i32 s14, s14, 4
	v_cmp_eq_u32_e32 vcc, 0, v68
	v_add_u32_e32 v66, 4, v66
	s_or_b64 s[4:5], vcc, s[4:5]
	s_waitcnt vmcnt(0) lgkmcnt(0)
	v_fmac_f32_e32 v67, v69, v70
	s_andn2_b64 exec, exec, s[4:5]
	s_cbranch_execnz .LBB93_233
; %bb.234:
	s_or_b64 exec, exec, s[4:5]
.LBB93_235:
	s_or_b64 exec, exec, s[12:13]
	v_mov_b32_e32 v66, 0
	ds_read_b32 v66, v66 offset:20
	s_waitcnt lgkmcnt(0)
	v_mul_f32_e32 v66, v67, v66
	buffer_store_dword v66, off, s[0:3], 0 offset:20
.LBB93_236:
	s_or_b64 exec, exec, s[10:11]
	buffer_load_dword v66, off, s[0:3], 0 offset:16
	v_cmp_lt_u32_e64 s[4:5], 4, v0
	s_waitcnt vmcnt(0)
	ds_write_b32 v62, v66
	s_waitcnt lgkmcnt(0)
	; wave barrier
	s_waitcnt lgkmcnt(0)
	s_and_saveexec_b64 s[10:11], s[4:5]
	s_cbranch_execz .LBB93_246
; %bb.237:
	s_andn2_b64 vcc, exec, s[8:9]
	s_cbranch_vccnz .LBB93_239
; %bb.238:
	buffer_load_dword v66, v63, s[0:3], 0 offen
	ds_read_b32 v67, v62
	s_waitcnt vmcnt(0) lgkmcnt(0)
	v_mul_f32_e32 v66, v66, v67
	s_cbranch_execz .LBB93_240
	s_branch .LBB93_241
.LBB93_239:
                                        ; implicit-def: $vgpr66
.LBB93_240:
	ds_read_b32 v66, v62
.LBB93_241:
	s_and_saveexec_b64 s[12:13], s[6:7]
	s_cbranch_execz .LBB93_245
; %bb.242:
	v_mov_b32_e32 v67, 0
	v_add_u32_e32 v67, 20, v67
	v_add_u32_e32 v68, -5, v0
	s_movk_i32 s14, 0x94
	s_mov_b64 s[6:7], 0
.LBB93_243:                             ; =>This Inner Loop Header: Depth=1
	buffer_load_dword v69, v67, s[0:3], 0 offen
	v_mov_b32_e32 v70, s14
	ds_read_b32 v70, v70
	v_add_u32_e32 v68, -1, v68
	s_add_i32 s14, s14, 4
	v_cmp_eq_u32_e32 vcc, 0, v68
	v_add_u32_e32 v67, 4, v67
	s_or_b64 s[6:7], vcc, s[6:7]
	s_waitcnt vmcnt(0) lgkmcnt(0)
	v_fmac_f32_e32 v66, v69, v70
	s_andn2_b64 exec, exec, s[6:7]
	s_cbranch_execnz .LBB93_243
; %bb.244:
	s_or_b64 exec, exec, s[6:7]
.LBB93_245:
	s_or_b64 exec, exec, s[12:13]
	v_mov_b32_e32 v67, 0
	ds_read_b32 v67, v67 offset:16
	s_waitcnt lgkmcnt(0)
	v_mul_f32_e32 v66, v66, v67
	buffer_store_dword v66, off, s[0:3], 0 offset:16
.LBB93_246:
	s_or_b64 exec, exec, s[10:11]
	buffer_load_dword v66, off, s[0:3], 0 offset:12
	v_cmp_lt_u32_e64 s[6:7], 3, v0
	s_waitcnt vmcnt(0)
	ds_write_b32 v62, v66
	s_waitcnt lgkmcnt(0)
	; wave barrier
	s_waitcnt lgkmcnt(0)
	s_and_saveexec_b64 s[10:11], s[6:7]
	s_cbranch_execz .LBB93_256
; %bb.247:
	s_andn2_b64 vcc, exec, s[8:9]
	s_cbranch_vccnz .LBB93_249
; %bb.248:
	buffer_load_dword v66, v63, s[0:3], 0 offen
	ds_read_b32 v67, v62
	s_waitcnt vmcnt(0) lgkmcnt(0)
	v_mul_f32_e32 v66, v66, v67
	s_cbranch_execz .LBB93_250
	s_branch .LBB93_251
.LBB93_249:
                                        ; implicit-def: $vgpr66
.LBB93_250:
	ds_read_b32 v66, v62
.LBB93_251:
	s_and_saveexec_b64 s[12:13], s[4:5]
	s_cbranch_execz .LBB93_255
; %bb.252:
	v_add_u32_e32 v67, -4, v0
	s_movk_i32 s14, 0x90
	s_mov_b64 s[4:5], 0
.LBB93_253:                             ; =>This Inner Loop Header: Depth=1
	buffer_load_dword v68, v65, s[0:3], 0 offen
	v_mov_b32_e32 v69, s14
	ds_read_b32 v69, v69
	v_add_u32_e32 v67, -1, v67
	s_add_i32 s14, s14, 4
	v_cmp_eq_u32_e32 vcc, 0, v67
	v_add_u32_e32 v65, 4, v65
	s_or_b64 s[4:5], vcc, s[4:5]
	s_waitcnt vmcnt(0) lgkmcnt(0)
	v_fmac_f32_e32 v66, v68, v69
	s_andn2_b64 exec, exec, s[4:5]
	s_cbranch_execnz .LBB93_253
; %bb.254:
	s_or_b64 exec, exec, s[4:5]
.LBB93_255:
	s_or_b64 exec, exec, s[12:13]
	v_mov_b32_e32 v65, 0
	ds_read_b32 v65, v65 offset:12
	s_waitcnt lgkmcnt(0)
	v_mul_f32_e32 v65, v66, v65
	buffer_store_dword v65, off, s[0:3], 0 offset:12
.LBB93_256:
	s_or_b64 exec, exec, s[10:11]
	buffer_load_dword v65, off, s[0:3], 0 offset:8
	v_cmp_lt_u32_e64 s[4:5], 2, v0
	s_waitcnt vmcnt(0)
	ds_write_b32 v62, v65
	s_waitcnt lgkmcnt(0)
	; wave barrier
	s_waitcnt lgkmcnt(0)
	s_and_saveexec_b64 s[10:11], s[4:5]
	s_cbranch_execz .LBB93_266
; %bb.257:
	s_andn2_b64 vcc, exec, s[8:9]
	s_cbranch_vccnz .LBB93_259
; %bb.258:
	buffer_load_dword v65, v63, s[0:3], 0 offen
	ds_read_b32 v66, v62
	s_waitcnt vmcnt(0) lgkmcnt(0)
	v_mul_f32_e32 v65, v65, v66
	s_cbranch_execz .LBB93_260
	s_branch .LBB93_261
.LBB93_259:
                                        ; implicit-def: $vgpr65
.LBB93_260:
	ds_read_b32 v65, v62
.LBB93_261:
	s_and_saveexec_b64 s[12:13], s[6:7]
	s_cbranch_execz .LBB93_265
; %bb.262:
	v_mov_b32_e32 v66, 0
	v_or_b32_e32 v66, 12, v66
	v_add_u32_e32 v67, -3, v0
	s_movk_i32 s14, 0x8c
	s_mov_b64 s[6:7], 0
.LBB93_263:                             ; =>This Inner Loop Header: Depth=1
	buffer_load_dword v68, v66, s[0:3], 0 offen
	v_mov_b32_e32 v69, s14
	ds_read_b32 v69, v69
	v_add_u32_e32 v67, -1, v67
	s_add_i32 s14, s14, 4
	v_cmp_eq_u32_e32 vcc, 0, v67
	v_add_u32_e32 v66, 4, v66
	s_or_b64 s[6:7], vcc, s[6:7]
	s_waitcnt vmcnt(0) lgkmcnt(0)
	v_fmac_f32_e32 v65, v68, v69
	s_andn2_b64 exec, exec, s[6:7]
	s_cbranch_execnz .LBB93_263
; %bb.264:
	s_or_b64 exec, exec, s[6:7]
.LBB93_265:
	s_or_b64 exec, exec, s[12:13]
	v_mov_b32_e32 v66, 0
	ds_read_b32 v66, v66 offset:8
	s_waitcnt lgkmcnt(0)
	v_mul_f32_e32 v65, v65, v66
	buffer_store_dword v65, off, s[0:3], 0 offset:8
.LBB93_266:
	s_or_b64 exec, exec, s[10:11]
	buffer_load_dword v65, off, s[0:3], 0 offset:4
	v_cmp_lt_u32_e64 s[6:7], 1, v0
	s_waitcnt vmcnt(0)
	ds_write_b32 v62, v65
	s_waitcnt lgkmcnt(0)
	; wave barrier
	s_waitcnt lgkmcnt(0)
	s_and_saveexec_b64 s[10:11], s[6:7]
	s_cbranch_execz .LBB93_276
; %bb.267:
	s_andn2_b64 vcc, exec, s[8:9]
	s_cbranch_vccnz .LBB93_269
; %bb.268:
	buffer_load_dword v65, v63, s[0:3], 0 offen
	ds_read_b32 v66, v62
	s_waitcnt vmcnt(0) lgkmcnt(0)
	v_mul_f32_e32 v65, v65, v66
	s_cbranch_execz .LBB93_270
	s_branch .LBB93_271
.LBB93_269:
                                        ; implicit-def: $vgpr65
.LBB93_270:
	ds_read_b32 v65, v62
.LBB93_271:
	s_and_saveexec_b64 s[12:13], s[4:5]
	s_cbranch_execz .LBB93_275
; %bb.272:
	v_add_u32_e32 v66, -2, v0
	s_movk_i32 s14, 0x88
	s_mov_b64 s[4:5], 0
.LBB93_273:                             ; =>This Inner Loop Header: Depth=1
	buffer_load_dword v67, v64, s[0:3], 0 offen
	v_mov_b32_e32 v68, s14
	ds_read_b32 v68, v68
	v_add_u32_e32 v66, -1, v66
	s_add_i32 s14, s14, 4
	v_cmp_eq_u32_e32 vcc, 0, v66
	v_add_u32_e32 v64, 4, v64
	s_or_b64 s[4:5], vcc, s[4:5]
	s_waitcnt vmcnt(0) lgkmcnt(0)
	v_fmac_f32_e32 v65, v67, v68
	s_andn2_b64 exec, exec, s[4:5]
	s_cbranch_execnz .LBB93_273
; %bb.274:
	s_or_b64 exec, exec, s[4:5]
.LBB93_275:
	s_or_b64 exec, exec, s[12:13]
	v_mov_b32_e32 v64, 0
	ds_read_b32 v64, v64 offset:4
	s_waitcnt lgkmcnt(0)
	v_mul_f32_e32 v64, v65, v64
	buffer_store_dword v64, off, s[0:3], 0 offset:4
.LBB93_276:
	s_or_b64 exec, exec, s[10:11]
	buffer_load_dword v64, off, s[0:3], 0
	v_cmp_ne_u32_e32 vcc, 0, v0
	s_waitcnt vmcnt(0)
	ds_write_b32 v62, v64
	s_waitcnt lgkmcnt(0)
	; wave barrier
	s_waitcnt lgkmcnt(0)
	s_and_saveexec_b64 s[4:5], vcc
	s_cbranch_execz .LBB93_286
; %bb.277:
	s_andn2_b64 vcc, exec, s[8:9]
	s_cbranch_vccnz .LBB93_279
; %bb.278:
	buffer_load_dword v64, v63, s[0:3], 0 offen
	ds_read_b32 v65, v62
	s_waitcnt vmcnt(0) lgkmcnt(0)
	v_mul_f32_e32 v64, v64, v65
	s_cbranch_execz .LBB93_280
	s_branch .LBB93_281
.LBB93_279:
                                        ; implicit-def: $vgpr64
.LBB93_280:
	ds_read_b32 v64, v62
.LBB93_281:
	s_and_saveexec_b64 s[10:11], s[6:7]
	s_cbranch_execz .LBB93_285
; %bb.282:
	v_mov_b32_e32 v65, 0
	v_or_b32_e32 v65, 4, v65
	v_add_u32_e32 v66, -1, v0
	s_movk_i32 s12, 0x84
	s_mov_b64 s[6:7], 0
.LBB93_283:                             ; =>This Inner Loop Header: Depth=1
	buffer_load_dword v67, v65, s[0:3], 0 offen
	v_mov_b32_e32 v68, s12
	ds_read_b32 v68, v68
	v_add_u32_e32 v66, -1, v66
	s_add_i32 s12, s12, 4
	v_cmp_eq_u32_e32 vcc, 0, v66
	v_add_u32_e32 v65, 4, v65
	s_or_b64 s[6:7], vcc, s[6:7]
	s_waitcnt vmcnt(0) lgkmcnt(0)
	v_fmac_f32_e32 v64, v67, v68
	s_andn2_b64 exec, exec, s[6:7]
	s_cbranch_execnz .LBB93_283
; %bb.284:
	s_or_b64 exec, exec, s[6:7]
.LBB93_285:
	s_or_b64 exec, exec, s[10:11]
	v_mov_b32_e32 v65, 0
	ds_read_b32 v65, v65
	s_waitcnt lgkmcnt(0)
	v_mul_f32_e32 v64, v64, v65
	buffer_store_dword v64, off, s[0:3], 0
.LBB93_286:
	s_or_b64 exec, exec, s[4:5]
	s_mov_b64 s[4:5], 0
.LBB93_287:
	s_and_b64 vcc, exec, s[4:5]
	s_cbranch_vccz .LBB93_571
; %bb.288:
	buffer_load_dword v64, off, s[0:3], 0 offset:4
	v_cmp_eq_u32_e64 s[6:7], 0, v0
	s_waitcnt vmcnt(0)
	ds_write_b32 v62, v64
	s_waitcnt lgkmcnt(0)
	; wave barrier
	s_waitcnt lgkmcnt(0)
	s_and_saveexec_b64 s[4:5], s[6:7]
	s_cbranch_execz .LBB93_294
; %bb.289:
	s_and_b64 vcc, exec, s[8:9]
	s_cbranch_vccz .LBB93_291
; %bb.290:
	buffer_load_dword v64, v63, s[0:3], 0 offen
	ds_read_b32 v65, v62
	s_waitcnt vmcnt(0) lgkmcnt(0)
	v_mul_f32_e32 v64, v64, v65
	s_cbranch_execz .LBB93_292
	s_branch .LBB93_293
.LBB93_291:
                                        ; implicit-def: $vgpr64
.LBB93_292:
	ds_read_b32 v64, v62
.LBB93_293:
	v_mov_b32_e32 v65, 0
	ds_read_b32 v65, v65 offset:4
	s_waitcnt lgkmcnt(0)
	v_mul_f32_e32 v64, v64, v65
	buffer_store_dword v64, off, s[0:3], 0 offset:4
.LBB93_294:
	s_or_b64 exec, exec, s[4:5]
	buffer_load_dword v64, off, s[0:3], 0 offset:8
	v_cndmask_b32_e64 v65, 0, 1, s[8:9]
	v_cmp_gt_u32_e32 vcc, 2, v0
	v_cmp_ne_u32_e64 s[4:5], 1, v65
	s_waitcnt vmcnt(0)
	ds_write_b32 v62, v64
	s_waitcnt lgkmcnt(0)
	; wave barrier
	s_waitcnt lgkmcnt(0)
	s_and_saveexec_b64 s[8:9], vcc
	s_cbranch_execz .LBB93_302
; %bb.295:
	s_and_b64 vcc, exec, s[4:5]
	s_cbranch_vccnz .LBB93_297
; %bb.296:
	buffer_load_dword v64, v63, s[0:3], 0 offen
	ds_read_b32 v65, v62
	s_waitcnt vmcnt(0) lgkmcnt(0)
	v_mul_f32_e32 v64, v64, v65
	s_cbranch_execz .LBB93_298
	s_branch .LBB93_299
.LBB93_297:
                                        ; implicit-def: $vgpr64
.LBB93_298:
	ds_read_b32 v64, v62
.LBB93_299:
	s_and_saveexec_b64 s[10:11], s[6:7]
	s_cbranch_execz .LBB93_301
; %bb.300:
	buffer_load_dword v65, v63, s[0:3], 0 offen offset:4
	ds_read_b32 v66, v62 offset:4
	s_waitcnt vmcnt(0) lgkmcnt(0)
	v_fmac_f32_e32 v64, v65, v66
.LBB93_301:
	s_or_b64 exec, exec, s[10:11]
	v_mov_b32_e32 v65, 0
	ds_read_b32 v65, v65 offset:8
	s_waitcnt lgkmcnt(0)
	v_mul_f32_e32 v64, v64, v65
	buffer_store_dword v64, off, s[0:3], 0 offset:8
.LBB93_302:
	s_or_b64 exec, exec, s[8:9]
	buffer_load_dword v64, off, s[0:3], 0 offset:12
	v_cmp_gt_u32_e32 vcc, 3, v0
	s_waitcnt vmcnt(0)
	ds_write_b32 v62, v64
	s_waitcnt lgkmcnt(0)
	; wave barrier
	s_waitcnt lgkmcnt(0)
	s_and_saveexec_b64 s[8:9], vcc
	s_cbranch_execz .LBB93_310
; %bb.303:
	s_and_b64 vcc, exec, s[4:5]
	s_cbranch_vccnz .LBB93_305
; %bb.304:
	buffer_load_dword v64, v63, s[0:3], 0 offen
	ds_read_b32 v65, v62
	s_waitcnt vmcnt(0) lgkmcnt(0)
	v_mul_f32_e32 v64, v64, v65
	s_cbranch_execz .LBB93_306
	s_branch .LBB93_307
.LBB93_305:
                                        ; implicit-def: $vgpr64
.LBB93_306:
	ds_read_b32 v64, v62
.LBB93_307:
	v_cmp_ne_u32_e32 vcc, 2, v0
	s_and_saveexec_b64 s[10:11], vcc
	s_cbranch_execz .LBB93_309
; %bb.308:
	buffer_load_dword v65, v63, s[0:3], 0 offen offset:4
	buffer_load_dword v66, off, s[0:3], 0 offset:8
	v_mov_b32_e32 v67, 0
	ds_read_b32 v68, v62 offset:4
	ds_read_b32 v67, v67 offset:136
	s_waitcnt vmcnt(1) lgkmcnt(1)
	v_fmac_f32_e32 v64, v65, v68
	s_waitcnt vmcnt(0) lgkmcnt(0)
	v_fma_f32 v65, v66, v67, v64
	v_cndmask_b32_e64 v64, v64, v65, s[6:7]
.LBB93_309:
	s_or_b64 exec, exec, s[10:11]
	v_mov_b32_e32 v65, 0
	ds_read_b32 v65, v65 offset:12
	s_waitcnt lgkmcnt(0)
	v_mul_f32_e32 v64, v64, v65
	buffer_store_dword v64, off, s[0:3], 0 offset:12
.LBB93_310:
	s_or_b64 exec, exec, s[8:9]
	buffer_load_dword v64, off, s[0:3], 0 offset:16
	v_cmp_gt_u32_e32 vcc, 4, v0
	s_waitcnt vmcnt(0)
	ds_write_b32 v62, v64
	s_waitcnt lgkmcnt(0)
	; wave barrier
	s_waitcnt lgkmcnt(0)
	s_and_saveexec_b64 s[6:7], vcc
	s_cbranch_execz .LBB93_320
; %bb.311:
	s_and_b64 vcc, exec, s[4:5]
	s_cbranch_vccnz .LBB93_313
; %bb.312:
	buffer_load_dword v64, v63, s[0:3], 0 offen
	ds_read_b32 v65, v62
	s_waitcnt vmcnt(0) lgkmcnt(0)
	v_mul_f32_e32 v64, v64, v65
	s_cbranch_execz .LBB93_314
	s_branch .LBB93_315
.LBB93_313:
                                        ; implicit-def: $vgpr64
.LBB93_314:
	ds_read_b32 v64, v62
.LBB93_315:
	v_cmp_ne_u32_e32 vcc, 3, v0
	s_and_saveexec_b64 s[8:9], vcc
	s_cbranch_execz .LBB93_319
; %bb.316:
	v_mov_b32_e32 v66, 0
	v_add_u32_e32 v65, 0x84, v1
	v_add3_u32 v66, v1, v66, 4
	s_mov_b64 s[10:11], 0
	v_mov_b32_e32 v67, v0
.LBB93_317:                             ; =>This Inner Loop Header: Depth=1
	buffer_load_dword v68, v66, s[0:3], 0 offen
	ds_read_b32 v69, v65
	v_add_u32_e32 v67, 1, v67
	v_cmp_lt_u32_e32 vcc, 2, v67
	v_add_u32_e32 v65, 4, v65
	v_add_u32_e32 v66, 4, v66
	s_or_b64 s[10:11], vcc, s[10:11]
	s_waitcnt vmcnt(0) lgkmcnt(0)
	v_fmac_f32_e32 v64, v68, v69
	s_andn2_b64 exec, exec, s[10:11]
	s_cbranch_execnz .LBB93_317
; %bb.318:
	s_or_b64 exec, exec, s[10:11]
.LBB93_319:
	s_or_b64 exec, exec, s[8:9]
	v_mov_b32_e32 v65, 0
	ds_read_b32 v65, v65 offset:16
	s_waitcnt lgkmcnt(0)
	v_mul_f32_e32 v64, v64, v65
	buffer_store_dword v64, off, s[0:3], 0 offset:16
.LBB93_320:
	s_or_b64 exec, exec, s[6:7]
	buffer_load_dword v64, off, s[0:3], 0 offset:20
	v_cmp_gt_u32_e32 vcc, 5, v0
	s_waitcnt vmcnt(0)
	ds_write_b32 v62, v64
	s_waitcnt lgkmcnt(0)
	; wave barrier
	s_waitcnt lgkmcnt(0)
	s_and_saveexec_b64 s[6:7], vcc
	s_cbranch_execz .LBB93_330
; %bb.321:
	s_and_b64 vcc, exec, s[4:5]
	s_cbranch_vccnz .LBB93_323
; %bb.322:
	buffer_load_dword v64, v63, s[0:3], 0 offen
	ds_read_b32 v65, v62
	s_waitcnt vmcnt(0) lgkmcnt(0)
	v_mul_f32_e32 v64, v64, v65
	s_cbranch_execz .LBB93_324
	s_branch .LBB93_325
.LBB93_323:
                                        ; implicit-def: $vgpr64
.LBB93_324:
	ds_read_b32 v64, v62
.LBB93_325:
	v_cmp_ne_u32_e32 vcc, 4, v0
	s_and_saveexec_b64 s[8:9], vcc
	s_cbranch_execz .LBB93_329
; %bb.326:
	v_mov_b32_e32 v66, 0
	v_add_u32_e32 v65, 0x84, v1
	v_add3_u32 v66, v1, v66, 4
	s_mov_b64 s[10:11], 0
	v_mov_b32_e32 v67, v0
.LBB93_327:                             ; =>This Inner Loop Header: Depth=1
	buffer_load_dword v68, v66, s[0:3], 0 offen
	ds_read_b32 v69, v65
	v_add_u32_e32 v67, 1, v67
	v_cmp_lt_u32_e32 vcc, 3, v67
	v_add_u32_e32 v65, 4, v65
	v_add_u32_e32 v66, 4, v66
	s_or_b64 s[10:11], vcc, s[10:11]
	s_waitcnt vmcnt(0) lgkmcnt(0)
	v_fmac_f32_e32 v64, v68, v69
	s_andn2_b64 exec, exec, s[10:11]
	s_cbranch_execnz .LBB93_327
; %bb.328:
	s_or_b64 exec, exec, s[10:11]
.LBB93_329:
	s_or_b64 exec, exec, s[8:9]
	v_mov_b32_e32 v65, 0
	ds_read_b32 v65, v65 offset:20
	s_waitcnt lgkmcnt(0)
	v_mul_f32_e32 v64, v64, v65
	buffer_store_dword v64, off, s[0:3], 0 offset:20
.LBB93_330:
	s_or_b64 exec, exec, s[6:7]
	buffer_load_dword v64, off, s[0:3], 0 offset:24
	v_cmp_gt_u32_e32 vcc, 6, v0
	s_waitcnt vmcnt(0)
	ds_write_b32 v62, v64
	s_waitcnt lgkmcnt(0)
	; wave barrier
	s_waitcnt lgkmcnt(0)
	s_and_saveexec_b64 s[6:7], vcc
	s_cbranch_execz .LBB93_340
; %bb.331:
	s_and_b64 vcc, exec, s[4:5]
	s_cbranch_vccnz .LBB93_333
; %bb.332:
	buffer_load_dword v64, v63, s[0:3], 0 offen
	ds_read_b32 v65, v62
	s_waitcnt vmcnt(0) lgkmcnt(0)
	v_mul_f32_e32 v64, v64, v65
	s_cbranch_execz .LBB93_334
	s_branch .LBB93_335
.LBB93_333:
                                        ; implicit-def: $vgpr64
.LBB93_334:
	ds_read_b32 v64, v62
.LBB93_335:
	v_cmp_ne_u32_e32 vcc, 5, v0
	s_and_saveexec_b64 s[8:9], vcc
	s_cbranch_execz .LBB93_339
; %bb.336:
	v_mov_b32_e32 v66, 0
	v_add_u32_e32 v65, 0x84, v1
	v_add3_u32 v66, v1, v66, 4
	s_mov_b64 s[10:11], 0
	v_mov_b32_e32 v67, v0
.LBB93_337:                             ; =>This Inner Loop Header: Depth=1
	buffer_load_dword v68, v66, s[0:3], 0 offen
	ds_read_b32 v69, v65
	v_add_u32_e32 v67, 1, v67
	v_cmp_lt_u32_e32 vcc, 4, v67
	v_add_u32_e32 v65, 4, v65
	v_add_u32_e32 v66, 4, v66
	s_or_b64 s[10:11], vcc, s[10:11]
	s_waitcnt vmcnt(0) lgkmcnt(0)
	v_fmac_f32_e32 v64, v68, v69
	s_andn2_b64 exec, exec, s[10:11]
	s_cbranch_execnz .LBB93_337
; %bb.338:
	s_or_b64 exec, exec, s[10:11]
.LBB93_339:
	s_or_b64 exec, exec, s[8:9]
	v_mov_b32_e32 v65, 0
	ds_read_b32 v65, v65 offset:24
	s_waitcnt lgkmcnt(0)
	v_mul_f32_e32 v64, v64, v65
	buffer_store_dword v64, off, s[0:3], 0 offset:24
.LBB93_340:
	s_or_b64 exec, exec, s[6:7]
	buffer_load_dword v64, off, s[0:3], 0 offset:28
	v_cmp_gt_u32_e32 vcc, 7, v0
	s_waitcnt vmcnt(0)
	ds_write_b32 v62, v64
	s_waitcnt lgkmcnt(0)
	; wave barrier
	s_waitcnt lgkmcnt(0)
	s_and_saveexec_b64 s[6:7], vcc
	s_cbranch_execz .LBB93_350
; %bb.341:
	s_and_b64 vcc, exec, s[4:5]
	s_cbranch_vccnz .LBB93_343
; %bb.342:
	buffer_load_dword v64, v63, s[0:3], 0 offen
	ds_read_b32 v65, v62
	s_waitcnt vmcnt(0) lgkmcnt(0)
	v_mul_f32_e32 v64, v64, v65
	s_cbranch_execz .LBB93_344
	s_branch .LBB93_345
.LBB93_343:
                                        ; implicit-def: $vgpr64
.LBB93_344:
	ds_read_b32 v64, v62
.LBB93_345:
	v_cmp_ne_u32_e32 vcc, 6, v0
	s_and_saveexec_b64 s[8:9], vcc
	s_cbranch_execz .LBB93_349
; %bb.346:
	v_mov_b32_e32 v66, 0
	v_add_u32_e32 v65, 0x84, v1
	v_add3_u32 v66, v1, v66, 4
	s_mov_b64 s[10:11], 0
	v_mov_b32_e32 v67, v0
.LBB93_347:                             ; =>This Inner Loop Header: Depth=1
	buffer_load_dword v68, v66, s[0:3], 0 offen
	ds_read_b32 v69, v65
	v_add_u32_e32 v67, 1, v67
	v_cmp_lt_u32_e32 vcc, 5, v67
	v_add_u32_e32 v65, 4, v65
	v_add_u32_e32 v66, 4, v66
	s_or_b64 s[10:11], vcc, s[10:11]
	s_waitcnt vmcnt(0) lgkmcnt(0)
	v_fmac_f32_e32 v64, v68, v69
	s_andn2_b64 exec, exec, s[10:11]
	s_cbranch_execnz .LBB93_347
; %bb.348:
	s_or_b64 exec, exec, s[10:11]
.LBB93_349:
	s_or_b64 exec, exec, s[8:9]
	v_mov_b32_e32 v65, 0
	ds_read_b32 v65, v65 offset:28
	s_waitcnt lgkmcnt(0)
	v_mul_f32_e32 v64, v64, v65
	buffer_store_dword v64, off, s[0:3], 0 offset:28
.LBB93_350:
	s_or_b64 exec, exec, s[6:7]
	buffer_load_dword v64, off, s[0:3], 0 offset:32
	v_cmp_gt_u32_e32 vcc, 8, v0
	s_waitcnt vmcnt(0)
	ds_write_b32 v62, v64
	s_waitcnt lgkmcnt(0)
	; wave barrier
	s_waitcnt lgkmcnt(0)
	s_and_saveexec_b64 s[6:7], vcc
	s_cbranch_execz .LBB93_360
; %bb.351:
	s_and_b64 vcc, exec, s[4:5]
	s_cbranch_vccnz .LBB93_353
; %bb.352:
	buffer_load_dword v64, v63, s[0:3], 0 offen
	ds_read_b32 v65, v62
	s_waitcnt vmcnt(0) lgkmcnt(0)
	v_mul_f32_e32 v64, v64, v65
	s_cbranch_execz .LBB93_354
	s_branch .LBB93_355
.LBB93_353:
                                        ; implicit-def: $vgpr64
.LBB93_354:
	ds_read_b32 v64, v62
.LBB93_355:
	v_cmp_ne_u32_e32 vcc, 7, v0
	s_and_saveexec_b64 s[8:9], vcc
	s_cbranch_execz .LBB93_359
; %bb.356:
	v_mov_b32_e32 v66, 0
	v_add_u32_e32 v65, 0x84, v1
	v_add3_u32 v66, v1, v66, 4
	s_mov_b64 s[10:11], 0
	v_mov_b32_e32 v67, v0
.LBB93_357:                             ; =>This Inner Loop Header: Depth=1
	buffer_load_dword v68, v66, s[0:3], 0 offen
	ds_read_b32 v69, v65
	v_add_u32_e32 v67, 1, v67
	v_cmp_lt_u32_e32 vcc, 6, v67
	v_add_u32_e32 v65, 4, v65
	v_add_u32_e32 v66, 4, v66
	s_or_b64 s[10:11], vcc, s[10:11]
	s_waitcnt vmcnt(0) lgkmcnt(0)
	v_fmac_f32_e32 v64, v68, v69
	s_andn2_b64 exec, exec, s[10:11]
	s_cbranch_execnz .LBB93_357
; %bb.358:
	s_or_b64 exec, exec, s[10:11]
.LBB93_359:
	s_or_b64 exec, exec, s[8:9]
	v_mov_b32_e32 v65, 0
	ds_read_b32 v65, v65 offset:32
	s_waitcnt lgkmcnt(0)
	v_mul_f32_e32 v64, v64, v65
	buffer_store_dword v64, off, s[0:3], 0 offset:32
.LBB93_360:
	s_or_b64 exec, exec, s[6:7]
	buffer_load_dword v64, off, s[0:3], 0 offset:36
	v_cmp_gt_u32_e32 vcc, 9, v0
	s_waitcnt vmcnt(0)
	ds_write_b32 v62, v64
	s_waitcnt lgkmcnt(0)
	; wave barrier
	s_waitcnt lgkmcnt(0)
	s_and_saveexec_b64 s[6:7], vcc
	s_cbranch_execz .LBB93_370
; %bb.361:
	s_and_b64 vcc, exec, s[4:5]
	s_cbranch_vccnz .LBB93_363
; %bb.362:
	buffer_load_dword v64, v63, s[0:3], 0 offen
	ds_read_b32 v65, v62
	s_waitcnt vmcnt(0) lgkmcnt(0)
	v_mul_f32_e32 v64, v64, v65
	s_cbranch_execz .LBB93_364
	s_branch .LBB93_365
.LBB93_363:
                                        ; implicit-def: $vgpr64
.LBB93_364:
	ds_read_b32 v64, v62
.LBB93_365:
	v_cmp_ne_u32_e32 vcc, 8, v0
	s_and_saveexec_b64 s[8:9], vcc
	s_cbranch_execz .LBB93_369
; %bb.366:
	v_mov_b32_e32 v66, 0
	v_add_u32_e32 v65, 0x84, v1
	v_add3_u32 v66, v1, v66, 4
	s_mov_b64 s[10:11], 0
	v_mov_b32_e32 v67, v0
.LBB93_367:                             ; =>This Inner Loop Header: Depth=1
	buffer_load_dword v68, v66, s[0:3], 0 offen
	ds_read_b32 v69, v65
	v_add_u32_e32 v67, 1, v67
	v_cmp_lt_u32_e32 vcc, 7, v67
	v_add_u32_e32 v65, 4, v65
	v_add_u32_e32 v66, 4, v66
	s_or_b64 s[10:11], vcc, s[10:11]
	s_waitcnt vmcnt(0) lgkmcnt(0)
	v_fmac_f32_e32 v64, v68, v69
	s_andn2_b64 exec, exec, s[10:11]
	s_cbranch_execnz .LBB93_367
; %bb.368:
	s_or_b64 exec, exec, s[10:11]
.LBB93_369:
	s_or_b64 exec, exec, s[8:9]
	v_mov_b32_e32 v65, 0
	ds_read_b32 v65, v65 offset:36
	s_waitcnt lgkmcnt(0)
	v_mul_f32_e32 v64, v64, v65
	buffer_store_dword v64, off, s[0:3], 0 offset:36
.LBB93_370:
	s_or_b64 exec, exec, s[6:7]
	buffer_load_dword v64, off, s[0:3], 0 offset:40
	v_cmp_gt_u32_e32 vcc, 10, v0
	s_waitcnt vmcnt(0)
	ds_write_b32 v62, v64
	s_waitcnt lgkmcnt(0)
	; wave barrier
	s_waitcnt lgkmcnt(0)
	s_and_saveexec_b64 s[6:7], vcc
	s_cbranch_execz .LBB93_380
; %bb.371:
	s_and_b64 vcc, exec, s[4:5]
	s_cbranch_vccnz .LBB93_373
; %bb.372:
	buffer_load_dword v64, v63, s[0:3], 0 offen
	ds_read_b32 v65, v62
	s_waitcnt vmcnt(0) lgkmcnt(0)
	v_mul_f32_e32 v64, v64, v65
	s_cbranch_execz .LBB93_374
	s_branch .LBB93_375
.LBB93_373:
                                        ; implicit-def: $vgpr64
.LBB93_374:
	ds_read_b32 v64, v62
.LBB93_375:
	v_cmp_ne_u32_e32 vcc, 9, v0
	s_and_saveexec_b64 s[8:9], vcc
	s_cbranch_execz .LBB93_379
; %bb.376:
	v_mov_b32_e32 v66, 0
	v_add_u32_e32 v65, 0x84, v1
	v_add3_u32 v66, v1, v66, 4
	s_mov_b64 s[10:11], 0
	v_mov_b32_e32 v67, v0
.LBB93_377:                             ; =>This Inner Loop Header: Depth=1
	buffer_load_dword v68, v66, s[0:3], 0 offen
	ds_read_b32 v69, v65
	v_add_u32_e32 v67, 1, v67
	v_cmp_lt_u32_e32 vcc, 8, v67
	v_add_u32_e32 v65, 4, v65
	v_add_u32_e32 v66, 4, v66
	s_or_b64 s[10:11], vcc, s[10:11]
	s_waitcnt vmcnt(0) lgkmcnt(0)
	v_fmac_f32_e32 v64, v68, v69
	s_andn2_b64 exec, exec, s[10:11]
	s_cbranch_execnz .LBB93_377
; %bb.378:
	s_or_b64 exec, exec, s[10:11]
.LBB93_379:
	s_or_b64 exec, exec, s[8:9]
	v_mov_b32_e32 v65, 0
	ds_read_b32 v65, v65 offset:40
	s_waitcnt lgkmcnt(0)
	v_mul_f32_e32 v64, v64, v65
	buffer_store_dword v64, off, s[0:3], 0 offset:40
.LBB93_380:
	s_or_b64 exec, exec, s[6:7]
	buffer_load_dword v64, off, s[0:3], 0 offset:44
	v_cmp_gt_u32_e32 vcc, 11, v0
	s_waitcnt vmcnt(0)
	ds_write_b32 v62, v64
	s_waitcnt lgkmcnt(0)
	; wave barrier
	s_waitcnt lgkmcnt(0)
	s_and_saveexec_b64 s[6:7], vcc
	s_cbranch_execz .LBB93_390
; %bb.381:
	s_and_b64 vcc, exec, s[4:5]
	s_cbranch_vccnz .LBB93_383
; %bb.382:
	buffer_load_dword v64, v63, s[0:3], 0 offen
	ds_read_b32 v65, v62
	s_waitcnt vmcnt(0) lgkmcnt(0)
	v_mul_f32_e32 v64, v64, v65
	s_cbranch_execz .LBB93_384
	s_branch .LBB93_385
.LBB93_383:
                                        ; implicit-def: $vgpr64
.LBB93_384:
	ds_read_b32 v64, v62
.LBB93_385:
	v_cmp_ne_u32_e32 vcc, 10, v0
	s_and_saveexec_b64 s[8:9], vcc
	s_cbranch_execz .LBB93_389
; %bb.386:
	v_mov_b32_e32 v66, 0
	v_add_u32_e32 v65, 0x84, v1
	v_add3_u32 v66, v1, v66, 4
	s_mov_b64 s[10:11], 0
	v_mov_b32_e32 v67, v0
.LBB93_387:                             ; =>This Inner Loop Header: Depth=1
	buffer_load_dword v68, v66, s[0:3], 0 offen
	ds_read_b32 v69, v65
	v_add_u32_e32 v67, 1, v67
	v_cmp_lt_u32_e32 vcc, 9, v67
	v_add_u32_e32 v65, 4, v65
	v_add_u32_e32 v66, 4, v66
	s_or_b64 s[10:11], vcc, s[10:11]
	s_waitcnt vmcnt(0) lgkmcnt(0)
	v_fmac_f32_e32 v64, v68, v69
	s_andn2_b64 exec, exec, s[10:11]
	s_cbranch_execnz .LBB93_387
; %bb.388:
	s_or_b64 exec, exec, s[10:11]
.LBB93_389:
	s_or_b64 exec, exec, s[8:9]
	v_mov_b32_e32 v65, 0
	ds_read_b32 v65, v65 offset:44
	s_waitcnt lgkmcnt(0)
	v_mul_f32_e32 v64, v64, v65
	buffer_store_dword v64, off, s[0:3], 0 offset:44
.LBB93_390:
	s_or_b64 exec, exec, s[6:7]
	buffer_load_dword v64, off, s[0:3], 0 offset:48
	v_cmp_gt_u32_e32 vcc, 12, v0
	s_waitcnt vmcnt(0)
	ds_write_b32 v62, v64
	s_waitcnt lgkmcnt(0)
	; wave barrier
	s_waitcnt lgkmcnt(0)
	s_and_saveexec_b64 s[6:7], vcc
	s_cbranch_execz .LBB93_400
; %bb.391:
	s_and_b64 vcc, exec, s[4:5]
	s_cbranch_vccnz .LBB93_393
; %bb.392:
	buffer_load_dword v64, v63, s[0:3], 0 offen
	ds_read_b32 v65, v62
	s_waitcnt vmcnt(0) lgkmcnt(0)
	v_mul_f32_e32 v64, v64, v65
	s_cbranch_execz .LBB93_394
	s_branch .LBB93_395
.LBB93_393:
                                        ; implicit-def: $vgpr64
.LBB93_394:
	ds_read_b32 v64, v62
.LBB93_395:
	v_cmp_ne_u32_e32 vcc, 11, v0
	s_and_saveexec_b64 s[8:9], vcc
	s_cbranch_execz .LBB93_399
; %bb.396:
	v_mov_b32_e32 v66, 0
	v_add_u32_e32 v65, 0x84, v1
	v_add3_u32 v66, v1, v66, 4
	s_mov_b64 s[10:11], 0
	v_mov_b32_e32 v67, v0
.LBB93_397:                             ; =>This Inner Loop Header: Depth=1
	buffer_load_dword v68, v66, s[0:3], 0 offen
	ds_read_b32 v69, v65
	v_add_u32_e32 v67, 1, v67
	v_cmp_lt_u32_e32 vcc, 10, v67
	v_add_u32_e32 v65, 4, v65
	v_add_u32_e32 v66, 4, v66
	s_or_b64 s[10:11], vcc, s[10:11]
	s_waitcnt vmcnt(0) lgkmcnt(0)
	v_fmac_f32_e32 v64, v68, v69
	s_andn2_b64 exec, exec, s[10:11]
	s_cbranch_execnz .LBB93_397
; %bb.398:
	s_or_b64 exec, exec, s[10:11]
.LBB93_399:
	s_or_b64 exec, exec, s[8:9]
	v_mov_b32_e32 v65, 0
	ds_read_b32 v65, v65 offset:48
	s_waitcnt lgkmcnt(0)
	v_mul_f32_e32 v64, v64, v65
	buffer_store_dword v64, off, s[0:3], 0 offset:48
.LBB93_400:
	s_or_b64 exec, exec, s[6:7]
	buffer_load_dword v64, off, s[0:3], 0 offset:52
	v_cmp_gt_u32_e32 vcc, 13, v0
	s_waitcnt vmcnt(0)
	ds_write_b32 v62, v64
	s_waitcnt lgkmcnt(0)
	; wave barrier
	s_waitcnt lgkmcnt(0)
	s_and_saveexec_b64 s[6:7], vcc
	s_cbranch_execz .LBB93_410
; %bb.401:
	s_and_b64 vcc, exec, s[4:5]
	s_cbranch_vccnz .LBB93_403
; %bb.402:
	buffer_load_dword v64, v63, s[0:3], 0 offen
	ds_read_b32 v65, v62
	s_waitcnt vmcnt(0) lgkmcnt(0)
	v_mul_f32_e32 v64, v64, v65
	s_cbranch_execz .LBB93_404
	s_branch .LBB93_405
.LBB93_403:
                                        ; implicit-def: $vgpr64
.LBB93_404:
	ds_read_b32 v64, v62
.LBB93_405:
	v_cmp_ne_u32_e32 vcc, 12, v0
	s_and_saveexec_b64 s[8:9], vcc
	s_cbranch_execz .LBB93_409
; %bb.406:
	v_mov_b32_e32 v66, 0
	v_add_u32_e32 v65, 0x84, v1
	v_add3_u32 v66, v1, v66, 4
	s_mov_b64 s[10:11], 0
	v_mov_b32_e32 v67, v0
.LBB93_407:                             ; =>This Inner Loop Header: Depth=1
	buffer_load_dword v68, v66, s[0:3], 0 offen
	ds_read_b32 v69, v65
	v_add_u32_e32 v67, 1, v67
	v_cmp_lt_u32_e32 vcc, 11, v67
	v_add_u32_e32 v65, 4, v65
	v_add_u32_e32 v66, 4, v66
	s_or_b64 s[10:11], vcc, s[10:11]
	s_waitcnt vmcnt(0) lgkmcnt(0)
	v_fmac_f32_e32 v64, v68, v69
	s_andn2_b64 exec, exec, s[10:11]
	s_cbranch_execnz .LBB93_407
; %bb.408:
	s_or_b64 exec, exec, s[10:11]
.LBB93_409:
	s_or_b64 exec, exec, s[8:9]
	v_mov_b32_e32 v65, 0
	ds_read_b32 v65, v65 offset:52
	s_waitcnt lgkmcnt(0)
	v_mul_f32_e32 v64, v64, v65
	buffer_store_dword v64, off, s[0:3], 0 offset:52
.LBB93_410:
	s_or_b64 exec, exec, s[6:7]
	buffer_load_dword v64, off, s[0:3], 0 offset:56
	v_cmp_gt_u32_e32 vcc, 14, v0
	s_waitcnt vmcnt(0)
	ds_write_b32 v62, v64
	s_waitcnt lgkmcnt(0)
	; wave barrier
	s_waitcnt lgkmcnt(0)
	s_and_saveexec_b64 s[6:7], vcc
	s_cbranch_execz .LBB93_420
; %bb.411:
	s_and_b64 vcc, exec, s[4:5]
	s_cbranch_vccnz .LBB93_413
; %bb.412:
	buffer_load_dword v64, v63, s[0:3], 0 offen
	ds_read_b32 v65, v62
	s_waitcnt vmcnt(0) lgkmcnt(0)
	v_mul_f32_e32 v64, v64, v65
	s_cbranch_execz .LBB93_414
	s_branch .LBB93_415
.LBB93_413:
                                        ; implicit-def: $vgpr64
.LBB93_414:
	ds_read_b32 v64, v62
.LBB93_415:
	v_cmp_ne_u32_e32 vcc, 13, v0
	s_and_saveexec_b64 s[8:9], vcc
	s_cbranch_execz .LBB93_419
; %bb.416:
	v_mov_b32_e32 v66, 0
	v_add_u32_e32 v65, 0x84, v1
	v_add3_u32 v66, v1, v66, 4
	s_mov_b64 s[10:11], 0
	v_mov_b32_e32 v67, v0
.LBB93_417:                             ; =>This Inner Loop Header: Depth=1
	buffer_load_dword v68, v66, s[0:3], 0 offen
	ds_read_b32 v69, v65
	v_add_u32_e32 v67, 1, v67
	v_cmp_lt_u32_e32 vcc, 12, v67
	v_add_u32_e32 v65, 4, v65
	v_add_u32_e32 v66, 4, v66
	s_or_b64 s[10:11], vcc, s[10:11]
	s_waitcnt vmcnt(0) lgkmcnt(0)
	v_fmac_f32_e32 v64, v68, v69
	s_andn2_b64 exec, exec, s[10:11]
	s_cbranch_execnz .LBB93_417
; %bb.418:
	s_or_b64 exec, exec, s[10:11]
.LBB93_419:
	s_or_b64 exec, exec, s[8:9]
	v_mov_b32_e32 v65, 0
	ds_read_b32 v65, v65 offset:56
	s_waitcnt lgkmcnt(0)
	v_mul_f32_e32 v64, v64, v65
	buffer_store_dword v64, off, s[0:3], 0 offset:56
.LBB93_420:
	s_or_b64 exec, exec, s[6:7]
	buffer_load_dword v64, off, s[0:3], 0 offset:60
	v_cmp_gt_u32_e32 vcc, 15, v0
	s_waitcnt vmcnt(0)
	ds_write_b32 v62, v64
	s_waitcnt lgkmcnt(0)
	; wave barrier
	s_waitcnt lgkmcnt(0)
	s_and_saveexec_b64 s[6:7], vcc
	s_cbranch_execz .LBB93_430
; %bb.421:
	s_and_b64 vcc, exec, s[4:5]
	s_cbranch_vccnz .LBB93_423
; %bb.422:
	buffer_load_dword v64, v63, s[0:3], 0 offen
	ds_read_b32 v65, v62
	s_waitcnt vmcnt(0) lgkmcnt(0)
	v_mul_f32_e32 v64, v64, v65
	s_cbranch_execz .LBB93_424
	s_branch .LBB93_425
.LBB93_423:
                                        ; implicit-def: $vgpr64
.LBB93_424:
	ds_read_b32 v64, v62
.LBB93_425:
	v_cmp_ne_u32_e32 vcc, 14, v0
	s_and_saveexec_b64 s[8:9], vcc
	s_cbranch_execz .LBB93_429
; %bb.426:
	v_mov_b32_e32 v66, 0
	v_add_u32_e32 v65, 0x84, v1
	v_add3_u32 v66, v1, v66, 4
	s_mov_b64 s[10:11], 0
	v_mov_b32_e32 v67, v0
.LBB93_427:                             ; =>This Inner Loop Header: Depth=1
	buffer_load_dword v68, v66, s[0:3], 0 offen
	ds_read_b32 v69, v65
	v_add_u32_e32 v67, 1, v67
	v_cmp_lt_u32_e32 vcc, 13, v67
	v_add_u32_e32 v65, 4, v65
	v_add_u32_e32 v66, 4, v66
	s_or_b64 s[10:11], vcc, s[10:11]
	s_waitcnt vmcnt(0) lgkmcnt(0)
	v_fmac_f32_e32 v64, v68, v69
	s_andn2_b64 exec, exec, s[10:11]
	s_cbranch_execnz .LBB93_427
; %bb.428:
	s_or_b64 exec, exec, s[10:11]
.LBB93_429:
	s_or_b64 exec, exec, s[8:9]
	v_mov_b32_e32 v65, 0
	ds_read_b32 v65, v65 offset:60
	s_waitcnt lgkmcnt(0)
	v_mul_f32_e32 v64, v64, v65
	buffer_store_dword v64, off, s[0:3], 0 offset:60
.LBB93_430:
	s_or_b64 exec, exec, s[6:7]
	buffer_load_dword v64, off, s[0:3], 0 offset:64
	v_cmp_gt_u32_e32 vcc, 16, v0
	s_waitcnt vmcnt(0)
	ds_write_b32 v62, v64
	s_waitcnt lgkmcnt(0)
	; wave barrier
	s_waitcnt lgkmcnt(0)
	s_and_saveexec_b64 s[6:7], vcc
	s_cbranch_execz .LBB93_440
; %bb.431:
	s_and_b64 vcc, exec, s[4:5]
	s_cbranch_vccnz .LBB93_433
; %bb.432:
	buffer_load_dword v64, v63, s[0:3], 0 offen
	ds_read_b32 v65, v62
	s_waitcnt vmcnt(0) lgkmcnt(0)
	v_mul_f32_e32 v64, v64, v65
	s_cbranch_execz .LBB93_434
	s_branch .LBB93_435
.LBB93_433:
                                        ; implicit-def: $vgpr64
.LBB93_434:
	ds_read_b32 v64, v62
.LBB93_435:
	v_cmp_ne_u32_e32 vcc, 15, v0
	s_and_saveexec_b64 s[8:9], vcc
	s_cbranch_execz .LBB93_439
; %bb.436:
	v_mov_b32_e32 v66, 0
	v_add_u32_e32 v65, 0x84, v1
	v_add3_u32 v66, v1, v66, 4
	s_mov_b64 s[10:11], 0
	v_mov_b32_e32 v67, v0
.LBB93_437:                             ; =>This Inner Loop Header: Depth=1
	buffer_load_dword v68, v66, s[0:3], 0 offen
	ds_read_b32 v69, v65
	v_add_u32_e32 v67, 1, v67
	v_cmp_lt_u32_e32 vcc, 14, v67
	v_add_u32_e32 v65, 4, v65
	v_add_u32_e32 v66, 4, v66
	s_or_b64 s[10:11], vcc, s[10:11]
	s_waitcnt vmcnt(0) lgkmcnt(0)
	v_fmac_f32_e32 v64, v68, v69
	s_andn2_b64 exec, exec, s[10:11]
	s_cbranch_execnz .LBB93_437
; %bb.438:
	s_or_b64 exec, exec, s[10:11]
.LBB93_439:
	s_or_b64 exec, exec, s[8:9]
	v_mov_b32_e32 v65, 0
	ds_read_b32 v65, v65 offset:64
	s_waitcnt lgkmcnt(0)
	v_mul_f32_e32 v64, v64, v65
	buffer_store_dword v64, off, s[0:3], 0 offset:64
.LBB93_440:
	s_or_b64 exec, exec, s[6:7]
	buffer_load_dword v64, off, s[0:3], 0 offset:68
	v_cmp_gt_u32_e32 vcc, 17, v0
	s_waitcnt vmcnt(0)
	ds_write_b32 v62, v64
	s_waitcnt lgkmcnt(0)
	; wave barrier
	s_waitcnt lgkmcnt(0)
	s_and_saveexec_b64 s[6:7], vcc
	s_cbranch_execz .LBB93_450
; %bb.441:
	s_and_b64 vcc, exec, s[4:5]
	s_cbranch_vccnz .LBB93_443
; %bb.442:
	buffer_load_dword v64, v63, s[0:3], 0 offen
	ds_read_b32 v65, v62
	s_waitcnt vmcnt(0) lgkmcnt(0)
	v_mul_f32_e32 v64, v64, v65
	s_cbranch_execz .LBB93_444
	s_branch .LBB93_445
.LBB93_443:
                                        ; implicit-def: $vgpr64
.LBB93_444:
	ds_read_b32 v64, v62
.LBB93_445:
	v_cmp_ne_u32_e32 vcc, 16, v0
	s_and_saveexec_b64 s[8:9], vcc
	s_cbranch_execz .LBB93_449
; %bb.446:
	v_mov_b32_e32 v66, 0
	v_add_u32_e32 v65, 0x84, v1
	v_add3_u32 v66, v1, v66, 4
	s_mov_b64 s[10:11], 0
	v_mov_b32_e32 v67, v0
.LBB93_447:                             ; =>This Inner Loop Header: Depth=1
	buffer_load_dword v68, v66, s[0:3], 0 offen
	ds_read_b32 v69, v65
	v_add_u32_e32 v67, 1, v67
	v_cmp_lt_u32_e32 vcc, 15, v67
	v_add_u32_e32 v65, 4, v65
	v_add_u32_e32 v66, 4, v66
	s_or_b64 s[10:11], vcc, s[10:11]
	s_waitcnt vmcnt(0) lgkmcnt(0)
	v_fmac_f32_e32 v64, v68, v69
	s_andn2_b64 exec, exec, s[10:11]
	s_cbranch_execnz .LBB93_447
; %bb.448:
	s_or_b64 exec, exec, s[10:11]
.LBB93_449:
	s_or_b64 exec, exec, s[8:9]
	v_mov_b32_e32 v65, 0
	ds_read_b32 v65, v65 offset:68
	s_waitcnt lgkmcnt(0)
	v_mul_f32_e32 v64, v64, v65
	buffer_store_dword v64, off, s[0:3], 0 offset:68
.LBB93_450:
	s_or_b64 exec, exec, s[6:7]
	buffer_load_dword v64, off, s[0:3], 0 offset:72
	v_cmp_gt_u32_e32 vcc, 18, v0
	s_waitcnt vmcnt(0)
	ds_write_b32 v62, v64
	s_waitcnt lgkmcnt(0)
	; wave barrier
	s_waitcnt lgkmcnt(0)
	s_and_saveexec_b64 s[6:7], vcc
	s_cbranch_execz .LBB93_460
; %bb.451:
	s_and_b64 vcc, exec, s[4:5]
	s_cbranch_vccnz .LBB93_453
; %bb.452:
	buffer_load_dword v64, v63, s[0:3], 0 offen
	ds_read_b32 v65, v62
	s_waitcnt vmcnt(0) lgkmcnt(0)
	v_mul_f32_e32 v64, v64, v65
	s_cbranch_execz .LBB93_454
	s_branch .LBB93_455
.LBB93_453:
                                        ; implicit-def: $vgpr64
.LBB93_454:
	ds_read_b32 v64, v62
.LBB93_455:
	v_cmp_ne_u32_e32 vcc, 17, v0
	s_and_saveexec_b64 s[8:9], vcc
	s_cbranch_execz .LBB93_459
; %bb.456:
	v_mov_b32_e32 v66, 0
	v_add_u32_e32 v65, 0x84, v1
	v_add3_u32 v66, v1, v66, 4
	s_mov_b64 s[10:11], 0
	v_mov_b32_e32 v67, v0
.LBB93_457:                             ; =>This Inner Loop Header: Depth=1
	buffer_load_dword v68, v66, s[0:3], 0 offen
	ds_read_b32 v69, v65
	v_add_u32_e32 v67, 1, v67
	v_cmp_lt_u32_e32 vcc, 16, v67
	v_add_u32_e32 v65, 4, v65
	v_add_u32_e32 v66, 4, v66
	s_or_b64 s[10:11], vcc, s[10:11]
	s_waitcnt vmcnt(0) lgkmcnt(0)
	v_fmac_f32_e32 v64, v68, v69
	s_andn2_b64 exec, exec, s[10:11]
	s_cbranch_execnz .LBB93_457
; %bb.458:
	s_or_b64 exec, exec, s[10:11]
.LBB93_459:
	s_or_b64 exec, exec, s[8:9]
	v_mov_b32_e32 v65, 0
	ds_read_b32 v65, v65 offset:72
	s_waitcnt lgkmcnt(0)
	v_mul_f32_e32 v64, v64, v65
	buffer_store_dword v64, off, s[0:3], 0 offset:72
.LBB93_460:
	s_or_b64 exec, exec, s[6:7]
	buffer_load_dword v64, off, s[0:3], 0 offset:76
	v_cmp_gt_u32_e32 vcc, 19, v0
	s_waitcnt vmcnt(0)
	ds_write_b32 v62, v64
	s_waitcnt lgkmcnt(0)
	; wave barrier
	s_waitcnt lgkmcnt(0)
	s_and_saveexec_b64 s[6:7], vcc
	s_cbranch_execz .LBB93_470
; %bb.461:
	s_and_b64 vcc, exec, s[4:5]
	s_cbranch_vccnz .LBB93_463
; %bb.462:
	buffer_load_dword v64, v63, s[0:3], 0 offen
	ds_read_b32 v65, v62
	s_waitcnt vmcnt(0) lgkmcnt(0)
	v_mul_f32_e32 v64, v64, v65
	s_cbranch_execz .LBB93_464
	s_branch .LBB93_465
.LBB93_463:
                                        ; implicit-def: $vgpr64
.LBB93_464:
	ds_read_b32 v64, v62
.LBB93_465:
	v_cmp_ne_u32_e32 vcc, 18, v0
	s_and_saveexec_b64 s[8:9], vcc
	s_cbranch_execz .LBB93_469
; %bb.466:
	v_mov_b32_e32 v66, 0
	v_add_u32_e32 v65, 0x84, v1
	v_add3_u32 v66, v1, v66, 4
	s_mov_b64 s[10:11], 0
	v_mov_b32_e32 v67, v0
.LBB93_467:                             ; =>This Inner Loop Header: Depth=1
	buffer_load_dword v68, v66, s[0:3], 0 offen
	ds_read_b32 v69, v65
	v_add_u32_e32 v67, 1, v67
	v_cmp_lt_u32_e32 vcc, 17, v67
	v_add_u32_e32 v65, 4, v65
	v_add_u32_e32 v66, 4, v66
	s_or_b64 s[10:11], vcc, s[10:11]
	s_waitcnt vmcnt(0) lgkmcnt(0)
	v_fmac_f32_e32 v64, v68, v69
	s_andn2_b64 exec, exec, s[10:11]
	s_cbranch_execnz .LBB93_467
; %bb.468:
	s_or_b64 exec, exec, s[10:11]
.LBB93_469:
	s_or_b64 exec, exec, s[8:9]
	v_mov_b32_e32 v65, 0
	ds_read_b32 v65, v65 offset:76
	s_waitcnt lgkmcnt(0)
	v_mul_f32_e32 v64, v64, v65
	buffer_store_dword v64, off, s[0:3], 0 offset:76
.LBB93_470:
	s_or_b64 exec, exec, s[6:7]
	buffer_load_dword v64, off, s[0:3], 0 offset:80
	v_cmp_gt_u32_e32 vcc, 20, v0
	s_waitcnt vmcnt(0)
	ds_write_b32 v62, v64
	s_waitcnt lgkmcnt(0)
	; wave barrier
	s_waitcnt lgkmcnt(0)
	s_and_saveexec_b64 s[6:7], vcc
	s_cbranch_execz .LBB93_480
; %bb.471:
	s_and_b64 vcc, exec, s[4:5]
	s_cbranch_vccnz .LBB93_473
; %bb.472:
	buffer_load_dword v64, v63, s[0:3], 0 offen
	ds_read_b32 v65, v62
	s_waitcnt vmcnt(0) lgkmcnt(0)
	v_mul_f32_e32 v64, v64, v65
	s_cbranch_execz .LBB93_474
	s_branch .LBB93_475
.LBB93_473:
                                        ; implicit-def: $vgpr64
.LBB93_474:
	ds_read_b32 v64, v62
.LBB93_475:
	v_cmp_ne_u32_e32 vcc, 19, v0
	s_and_saveexec_b64 s[8:9], vcc
	s_cbranch_execz .LBB93_479
; %bb.476:
	v_mov_b32_e32 v66, 0
	v_add_u32_e32 v65, 0x84, v1
	v_add3_u32 v66, v1, v66, 4
	s_mov_b64 s[10:11], 0
	v_mov_b32_e32 v67, v0
.LBB93_477:                             ; =>This Inner Loop Header: Depth=1
	buffer_load_dword v68, v66, s[0:3], 0 offen
	ds_read_b32 v69, v65
	v_add_u32_e32 v67, 1, v67
	v_cmp_lt_u32_e32 vcc, 18, v67
	v_add_u32_e32 v65, 4, v65
	v_add_u32_e32 v66, 4, v66
	s_or_b64 s[10:11], vcc, s[10:11]
	s_waitcnt vmcnt(0) lgkmcnt(0)
	v_fmac_f32_e32 v64, v68, v69
	s_andn2_b64 exec, exec, s[10:11]
	s_cbranch_execnz .LBB93_477
; %bb.478:
	s_or_b64 exec, exec, s[10:11]
.LBB93_479:
	s_or_b64 exec, exec, s[8:9]
	v_mov_b32_e32 v65, 0
	ds_read_b32 v65, v65 offset:80
	s_waitcnt lgkmcnt(0)
	v_mul_f32_e32 v64, v64, v65
	buffer_store_dword v64, off, s[0:3], 0 offset:80
.LBB93_480:
	s_or_b64 exec, exec, s[6:7]
	buffer_load_dword v64, off, s[0:3], 0 offset:84
	v_cmp_gt_u32_e32 vcc, 21, v0
	s_waitcnt vmcnt(0)
	ds_write_b32 v62, v64
	s_waitcnt lgkmcnt(0)
	; wave barrier
	s_waitcnt lgkmcnt(0)
	s_and_saveexec_b64 s[6:7], vcc
	s_cbranch_execz .LBB93_490
; %bb.481:
	s_and_b64 vcc, exec, s[4:5]
	s_cbranch_vccnz .LBB93_483
; %bb.482:
	buffer_load_dword v64, v63, s[0:3], 0 offen
	ds_read_b32 v65, v62
	s_waitcnt vmcnt(0) lgkmcnt(0)
	v_mul_f32_e32 v64, v64, v65
	s_cbranch_execz .LBB93_484
	s_branch .LBB93_485
.LBB93_483:
                                        ; implicit-def: $vgpr64
.LBB93_484:
	ds_read_b32 v64, v62
.LBB93_485:
	v_cmp_ne_u32_e32 vcc, 20, v0
	s_and_saveexec_b64 s[8:9], vcc
	s_cbranch_execz .LBB93_489
; %bb.486:
	v_mov_b32_e32 v66, 0
	v_add_u32_e32 v65, 0x84, v1
	v_add3_u32 v66, v1, v66, 4
	s_mov_b64 s[10:11], 0
	v_mov_b32_e32 v67, v0
.LBB93_487:                             ; =>This Inner Loop Header: Depth=1
	buffer_load_dword v68, v66, s[0:3], 0 offen
	ds_read_b32 v69, v65
	v_add_u32_e32 v67, 1, v67
	v_cmp_lt_u32_e32 vcc, 19, v67
	v_add_u32_e32 v65, 4, v65
	v_add_u32_e32 v66, 4, v66
	s_or_b64 s[10:11], vcc, s[10:11]
	s_waitcnt vmcnt(0) lgkmcnt(0)
	v_fmac_f32_e32 v64, v68, v69
	s_andn2_b64 exec, exec, s[10:11]
	s_cbranch_execnz .LBB93_487
; %bb.488:
	s_or_b64 exec, exec, s[10:11]
.LBB93_489:
	s_or_b64 exec, exec, s[8:9]
	v_mov_b32_e32 v65, 0
	ds_read_b32 v65, v65 offset:84
	s_waitcnt lgkmcnt(0)
	v_mul_f32_e32 v64, v64, v65
	buffer_store_dword v64, off, s[0:3], 0 offset:84
.LBB93_490:
	s_or_b64 exec, exec, s[6:7]
	buffer_load_dword v64, off, s[0:3], 0 offset:88
	v_cmp_gt_u32_e32 vcc, 22, v0
	s_waitcnt vmcnt(0)
	ds_write_b32 v62, v64
	s_waitcnt lgkmcnt(0)
	; wave barrier
	s_waitcnt lgkmcnt(0)
	s_and_saveexec_b64 s[6:7], vcc
	s_cbranch_execz .LBB93_500
; %bb.491:
	s_and_b64 vcc, exec, s[4:5]
	s_cbranch_vccnz .LBB93_493
; %bb.492:
	buffer_load_dword v64, v63, s[0:3], 0 offen
	ds_read_b32 v65, v62
	s_waitcnt vmcnt(0) lgkmcnt(0)
	v_mul_f32_e32 v64, v64, v65
	s_cbranch_execz .LBB93_494
	s_branch .LBB93_495
.LBB93_493:
                                        ; implicit-def: $vgpr64
.LBB93_494:
	ds_read_b32 v64, v62
.LBB93_495:
	v_cmp_ne_u32_e32 vcc, 21, v0
	s_and_saveexec_b64 s[8:9], vcc
	s_cbranch_execz .LBB93_499
; %bb.496:
	v_mov_b32_e32 v66, 0
	v_add_u32_e32 v65, 0x84, v1
	v_add3_u32 v66, v1, v66, 4
	s_mov_b64 s[10:11], 0
	v_mov_b32_e32 v67, v0
.LBB93_497:                             ; =>This Inner Loop Header: Depth=1
	buffer_load_dword v68, v66, s[0:3], 0 offen
	ds_read_b32 v69, v65
	v_add_u32_e32 v67, 1, v67
	v_cmp_lt_u32_e32 vcc, 20, v67
	v_add_u32_e32 v65, 4, v65
	v_add_u32_e32 v66, 4, v66
	s_or_b64 s[10:11], vcc, s[10:11]
	s_waitcnt vmcnt(0) lgkmcnt(0)
	v_fmac_f32_e32 v64, v68, v69
	s_andn2_b64 exec, exec, s[10:11]
	s_cbranch_execnz .LBB93_497
; %bb.498:
	s_or_b64 exec, exec, s[10:11]
.LBB93_499:
	s_or_b64 exec, exec, s[8:9]
	v_mov_b32_e32 v65, 0
	ds_read_b32 v65, v65 offset:88
	s_waitcnt lgkmcnt(0)
	v_mul_f32_e32 v64, v64, v65
	buffer_store_dword v64, off, s[0:3], 0 offset:88
.LBB93_500:
	s_or_b64 exec, exec, s[6:7]
	buffer_load_dword v64, off, s[0:3], 0 offset:92
	v_cmp_gt_u32_e32 vcc, 23, v0
	s_waitcnt vmcnt(0)
	ds_write_b32 v62, v64
	s_waitcnt lgkmcnt(0)
	; wave barrier
	s_waitcnt lgkmcnt(0)
	s_and_saveexec_b64 s[6:7], vcc
	s_cbranch_execz .LBB93_510
; %bb.501:
	s_and_b64 vcc, exec, s[4:5]
	s_cbranch_vccnz .LBB93_503
; %bb.502:
	buffer_load_dword v64, v63, s[0:3], 0 offen
	ds_read_b32 v65, v62
	s_waitcnt vmcnt(0) lgkmcnt(0)
	v_mul_f32_e32 v64, v64, v65
	s_cbranch_execz .LBB93_504
	s_branch .LBB93_505
.LBB93_503:
                                        ; implicit-def: $vgpr64
.LBB93_504:
	ds_read_b32 v64, v62
.LBB93_505:
	v_cmp_ne_u32_e32 vcc, 22, v0
	s_and_saveexec_b64 s[8:9], vcc
	s_cbranch_execz .LBB93_509
; %bb.506:
	v_mov_b32_e32 v66, 0
	v_add_u32_e32 v65, 0x84, v1
	v_add3_u32 v66, v1, v66, 4
	s_mov_b64 s[10:11], 0
	v_mov_b32_e32 v67, v0
.LBB93_507:                             ; =>This Inner Loop Header: Depth=1
	buffer_load_dword v68, v66, s[0:3], 0 offen
	ds_read_b32 v69, v65
	v_add_u32_e32 v67, 1, v67
	v_cmp_lt_u32_e32 vcc, 21, v67
	v_add_u32_e32 v65, 4, v65
	v_add_u32_e32 v66, 4, v66
	s_or_b64 s[10:11], vcc, s[10:11]
	s_waitcnt vmcnt(0) lgkmcnt(0)
	v_fmac_f32_e32 v64, v68, v69
	s_andn2_b64 exec, exec, s[10:11]
	s_cbranch_execnz .LBB93_507
; %bb.508:
	s_or_b64 exec, exec, s[10:11]
.LBB93_509:
	s_or_b64 exec, exec, s[8:9]
	v_mov_b32_e32 v65, 0
	ds_read_b32 v65, v65 offset:92
	s_waitcnt lgkmcnt(0)
	v_mul_f32_e32 v64, v64, v65
	buffer_store_dword v64, off, s[0:3], 0 offset:92
.LBB93_510:
	s_or_b64 exec, exec, s[6:7]
	buffer_load_dword v64, off, s[0:3], 0 offset:96
	v_cmp_gt_u32_e32 vcc, 24, v0
	s_waitcnt vmcnt(0)
	ds_write_b32 v62, v64
	s_waitcnt lgkmcnt(0)
	; wave barrier
	s_waitcnt lgkmcnt(0)
	s_and_saveexec_b64 s[6:7], vcc
	s_cbranch_execz .LBB93_520
; %bb.511:
	s_and_b64 vcc, exec, s[4:5]
	s_cbranch_vccnz .LBB93_513
; %bb.512:
	buffer_load_dword v64, v63, s[0:3], 0 offen
	ds_read_b32 v65, v62
	s_waitcnt vmcnt(0) lgkmcnt(0)
	v_mul_f32_e32 v64, v64, v65
	s_cbranch_execz .LBB93_514
	s_branch .LBB93_515
.LBB93_513:
                                        ; implicit-def: $vgpr64
.LBB93_514:
	ds_read_b32 v64, v62
.LBB93_515:
	v_cmp_ne_u32_e32 vcc, 23, v0
	s_and_saveexec_b64 s[8:9], vcc
	s_cbranch_execz .LBB93_519
; %bb.516:
	v_mov_b32_e32 v66, 0
	v_add_u32_e32 v65, 0x84, v1
	v_add3_u32 v66, v1, v66, 4
	s_mov_b64 s[10:11], 0
	v_mov_b32_e32 v67, v0
.LBB93_517:                             ; =>This Inner Loop Header: Depth=1
	buffer_load_dword v68, v66, s[0:3], 0 offen
	ds_read_b32 v69, v65
	v_add_u32_e32 v67, 1, v67
	v_cmp_lt_u32_e32 vcc, 22, v67
	v_add_u32_e32 v65, 4, v65
	v_add_u32_e32 v66, 4, v66
	s_or_b64 s[10:11], vcc, s[10:11]
	s_waitcnt vmcnt(0) lgkmcnt(0)
	v_fmac_f32_e32 v64, v68, v69
	s_andn2_b64 exec, exec, s[10:11]
	s_cbranch_execnz .LBB93_517
; %bb.518:
	s_or_b64 exec, exec, s[10:11]
.LBB93_519:
	s_or_b64 exec, exec, s[8:9]
	v_mov_b32_e32 v65, 0
	ds_read_b32 v65, v65 offset:96
	s_waitcnt lgkmcnt(0)
	v_mul_f32_e32 v64, v64, v65
	buffer_store_dword v64, off, s[0:3], 0 offset:96
.LBB93_520:
	s_or_b64 exec, exec, s[6:7]
	buffer_load_dword v64, off, s[0:3], 0 offset:100
	v_cmp_gt_u32_e32 vcc, 25, v0
	s_waitcnt vmcnt(0)
	ds_write_b32 v62, v64
	s_waitcnt lgkmcnt(0)
	; wave barrier
	s_waitcnt lgkmcnt(0)
	s_and_saveexec_b64 s[6:7], vcc
	s_cbranch_execz .LBB93_530
; %bb.521:
	s_and_b64 vcc, exec, s[4:5]
	s_cbranch_vccnz .LBB93_523
; %bb.522:
	buffer_load_dword v64, v63, s[0:3], 0 offen
	ds_read_b32 v65, v62
	s_waitcnt vmcnt(0) lgkmcnt(0)
	v_mul_f32_e32 v64, v64, v65
	s_cbranch_execz .LBB93_524
	s_branch .LBB93_525
.LBB93_523:
                                        ; implicit-def: $vgpr64
.LBB93_524:
	ds_read_b32 v64, v62
.LBB93_525:
	v_cmp_ne_u32_e32 vcc, 24, v0
	s_and_saveexec_b64 s[8:9], vcc
	s_cbranch_execz .LBB93_529
; %bb.526:
	v_mov_b32_e32 v66, 0
	v_add_u32_e32 v65, 0x84, v1
	v_add3_u32 v66, v1, v66, 4
	s_mov_b64 s[10:11], 0
	v_mov_b32_e32 v67, v0
.LBB93_527:                             ; =>This Inner Loop Header: Depth=1
	buffer_load_dword v68, v66, s[0:3], 0 offen
	ds_read_b32 v69, v65
	v_add_u32_e32 v67, 1, v67
	v_cmp_lt_u32_e32 vcc, 23, v67
	v_add_u32_e32 v65, 4, v65
	v_add_u32_e32 v66, 4, v66
	s_or_b64 s[10:11], vcc, s[10:11]
	s_waitcnt vmcnt(0) lgkmcnt(0)
	v_fmac_f32_e32 v64, v68, v69
	s_andn2_b64 exec, exec, s[10:11]
	s_cbranch_execnz .LBB93_527
; %bb.528:
	s_or_b64 exec, exec, s[10:11]
.LBB93_529:
	s_or_b64 exec, exec, s[8:9]
	v_mov_b32_e32 v65, 0
	ds_read_b32 v65, v65 offset:100
	s_waitcnt lgkmcnt(0)
	v_mul_f32_e32 v64, v64, v65
	buffer_store_dword v64, off, s[0:3], 0 offset:100
.LBB93_530:
	s_or_b64 exec, exec, s[6:7]
	buffer_load_dword v64, off, s[0:3], 0 offset:104
	v_cmp_gt_u32_e32 vcc, 26, v0
	s_waitcnt vmcnt(0)
	ds_write_b32 v62, v64
	s_waitcnt lgkmcnt(0)
	; wave barrier
	s_waitcnt lgkmcnt(0)
	s_and_saveexec_b64 s[6:7], vcc
	s_cbranch_execz .LBB93_540
; %bb.531:
	s_and_b64 vcc, exec, s[4:5]
	s_cbranch_vccnz .LBB93_533
; %bb.532:
	buffer_load_dword v64, v63, s[0:3], 0 offen
	ds_read_b32 v65, v62
	s_waitcnt vmcnt(0) lgkmcnt(0)
	v_mul_f32_e32 v64, v64, v65
	s_cbranch_execz .LBB93_534
	s_branch .LBB93_535
.LBB93_533:
                                        ; implicit-def: $vgpr64
.LBB93_534:
	ds_read_b32 v64, v62
.LBB93_535:
	v_cmp_ne_u32_e32 vcc, 25, v0
	s_and_saveexec_b64 s[8:9], vcc
	s_cbranch_execz .LBB93_539
; %bb.536:
	v_mov_b32_e32 v66, 0
	v_add_u32_e32 v65, 0x84, v1
	v_add3_u32 v66, v1, v66, 4
	s_mov_b64 s[10:11], 0
	v_mov_b32_e32 v67, v0
.LBB93_537:                             ; =>This Inner Loop Header: Depth=1
	buffer_load_dword v68, v66, s[0:3], 0 offen
	ds_read_b32 v69, v65
	v_add_u32_e32 v67, 1, v67
	v_cmp_lt_u32_e32 vcc, 24, v67
	v_add_u32_e32 v65, 4, v65
	v_add_u32_e32 v66, 4, v66
	s_or_b64 s[10:11], vcc, s[10:11]
	s_waitcnt vmcnt(0) lgkmcnt(0)
	v_fmac_f32_e32 v64, v68, v69
	s_andn2_b64 exec, exec, s[10:11]
	s_cbranch_execnz .LBB93_537
; %bb.538:
	s_or_b64 exec, exec, s[10:11]
.LBB93_539:
	s_or_b64 exec, exec, s[8:9]
	v_mov_b32_e32 v65, 0
	ds_read_b32 v65, v65 offset:104
	s_waitcnt lgkmcnt(0)
	v_mul_f32_e32 v64, v64, v65
	buffer_store_dword v64, off, s[0:3], 0 offset:104
.LBB93_540:
	s_or_b64 exec, exec, s[6:7]
	buffer_load_dword v64, off, s[0:3], 0 offset:108
	v_cmp_gt_u32_e32 vcc, 27, v0
	s_waitcnt vmcnt(0)
	ds_write_b32 v62, v64
	s_waitcnt lgkmcnt(0)
	; wave barrier
	s_waitcnt lgkmcnt(0)
	s_and_saveexec_b64 s[6:7], vcc
	s_cbranch_execz .LBB93_550
; %bb.541:
	s_and_b64 vcc, exec, s[4:5]
	s_cbranch_vccnz .LBB93_543
; %bb.542:
	buffer_load_dword v64, v63, s[0:3], 0 offen
	ds_read_b32 v65, v62
	s_waitcnt vmcnt(0) lgkmcnt(0)
	v_mul_f32_e32 v64, v64, v65
	s_cbranch_execz .LBB93_544
	s_branch .LBB93_545
.LBB93_543:
                                        ; implicit-def: $vgpr64
.LBB93_544:
	ds_read_b32 v64, v62
.LBB93_545:
	v_cmp_ne_u32_e32 vcc, 26, v0
	s_and_saveexec_b64 s[8:9], vcc
	s_cbranch_execz .LBB93_549
; %bb.546:
	v_mov_b32_e32 v66, 0
	v_add_u32_e32 v65, 0x84, v1
	v_add3_u32 v66, v1, v66, 4
	s_mov_b64 s[10:11], 0
	v_mov_b32_e32 v67, v0
.LBB93_547:                             ; =>This Inner Loop Header: Depth=1
	buffer_load_dword v68, v66, s[0:3], 0 offen
	ds_read_b32 v69, v65
	v_add_u32_e32 v67, 1, v67
	v_cmp_lt_u32_e32 vcc, 25, v67
	v_add_u32_e32 v65, 4, v65
	v_add_u32_e32 v66, 4, v66
	s_or_b64 s[10:11], vcc, s[10:11]
	s_waitcnt vmcnt(0) lgkmcnt(0)
	v_fmac_f32_e32 v64, v68, v69
	s_andn2_b64 exec, exec, s[10:11]
	s_cbranch_execnz .LBB93_547
; %bb.548:
	s_or_b64 exec, exec, s[10:11]
.LBB93_549:
	s_or_b64 exec, exec, s[8:9]
	v_mov_b32_e32 v65, 0
	ds_read_b32 v65, v65 offset:108
	s_waitcnt lgkmcnt(0)
	v_mul_f32_e32 v64, v64, v65
	buffer_store_dword v64, off, s[0:3], 0 offset:108
.LBB93_550:
	s_or_b64 exec, exec, s[6:7]
	buffer_load_dword v64, off, s[0:3], 0 offset:112
	v_cmp_gt_u32_e64 s[6:7], 28, v0
	s_waitcnt vmcnt(0)
	ds_write_b32 v62, v64
	s_waitcnt lgkmcnt(0)
	; wave barrier
	s_waitcnt lgkmcnt(0)
	s_and_saveexec_b64 s[8:9], s[6:7]
	s_cbranch_execz .LBB93_560
; %bb.551:
	s_and_b64 vcc, exec, s[4:5]
	s_cbranch_vccnz .LBB93_553
; %bb.552:
	buffer_load_dword v64, v63, s[0:3], 0 offen
	ds_read_b32 v65, v62
	s_waitcnt vmcnt(0) lgkmcnt(0)
	v_mul_f32_e32 v64, v64, v65
	s_cbranch_execz .LBB93_554
	s_branch .LBB93_555
.LBB93_553:
                                        ; implicit-def: $vgpr64
.LBB93_554:
	ds_read_b32 v64, v62
.LBB93_555:
	v_cmp_ne_u32_e32 vcc, 27, v0
	s_and_saveexec_b64 s[10:11], vcc
	s_cbranch_execz .LBB93_559
; %bb.556:
	v_mov_b32_e32 v66, 0
	v_add_u32_e32 v65, 0x84, v1
	v_add3_u32 v66, v1, v66, 4
	s_mov_b64 s[12:13], 0
	v_mov_b32_e32 v67, v0
.LBB93_557:                             ; =>This Inner Loop Header: Depth=1
	buffer_load_dword v68, v66, s[0:3], 0 offen
	ds_read_b32 v69, v65
	v_add_u32_e32 v67, 1, v67
	v_cmp_lt_u32_e32 vcc, 26, v67
	v_add_u32_e32 v65, 4, v65
	v_add_u32_e32 v66, 4, v66
	s_or_b64 s[12:13], vcc, s[12:13]
	s_waitcnt vmcnt(0) lgkmcnt(0)
	v_fmac_f32_e32 v64, v68, v69
	s_andn2_b64 exec, exec, s[12:13]
	s_cbranch_execnz .LBB93_557
; %bb.558:
	s_or_b64 exec, exec, s[12:13]
.LBB93_559:
	s_or_b64 exec, exec, s[10:11]
	v_mov_b32_e32 v65, 0
	ds_read_b32 v65, v65 offset:112
	s_waitcnt lgkmcnt(0)
	v_mul_f32_e32 v64, v64, v65
	buffer_store_dword v64, off, s[0:3], 0 offset:112
.LBB93_560:
	s_or_b64 exec, exec, s[8:9]
	buffer_load_dword v64, off, s[0:3], 0 offset:116
	v_cmp_ne_u32_e32 vcc, 29, v0
	s_waitcnt vmcnt(0)
	ds_write_b32 v62, v64
	s_waitcnt lgkmcnt(0)
	; wave barrier
	s_waitcnt lgkmcnt(0)
	s_and_saveexec_b64 s[8:9], vcc
	s_cbranch_execz .LBB93_570
; %bb.561:
	s_and_b64 vcc, exec, s[4:5]
	s_cbranch_vccnz .LBB93_563
; %bb.562:
	buffer_load_dword v63, v63, s[0:3], 0 offen
	ds_read_b32 v64, v62
	s_waitcnt vmcnt(0) lgkmcnt(0)
	v_mul_f32_e32 v63, v63, v64
	s_cbranch_execz .LBB93_564
	s_branch .LBB93_565
.LBB93_563:
                                        ; implicit-def: $vgpr63
.LBB93_564:
	ds_read_b32 v63, v62
.LBB93_565:
	s_and_saveexec_b64 s[4:5], s[6:7]
	s_cbranch_execz .LBB93_569
; %bb.566:
	v_mov_b32_e32 v64, 0
	v_add_u32_e32 v62, 0x84, v1
	v_add3_u32 v1, v1, v64, 4
	s_mov_b64 s[6:7], 0
.LBB93_567:                             ; =>This Inner Loop Header: Depth=1
	buffer_load_dword v64, v1, s[0:3], 0 offen
	ds_read_b32 v65, v62
	v_add_u32_e32 v0, 1, v0
	v_cmp_lt_u32_e32 vcc, 27, v0
	v_add_u32_e32 v62, 4, v62
	v_add_u32_e32 v1, 4, v1
	s_or_b64 s[6:7], vcc, s[6:7]
	s_waitcnt vmcnt(0) lgkmcnt(0)
	v_fmac_f32_e32 v63, v64, v65
	s_andn2_b64 exec, exec, s[6:7]
	s_cbranch_execnz .LBB93_567
; %bb.568:
	s_or_b64 exec, exec, s[6:7]
.LBB93_569:
	s_or_b64 exec, exec, s[4:5]
	v_mov_b32_e32 v0, 0
	ds_read_b32 v0, v0 offset:116
	s_waitcnt lgkmcnt(0)
	v_mul_f32_e32 v0, v63, v0
	buffer_store_dword v0, off, s[0:3], 0 offset:116
.LBB93_570:
	s_or_b64 exec, exec, s[8:9]
.LBB93_571:
	buffer_load_dword v0, off, s[0:3], 0
	buffer_load_dword v1, off, s[0:3], 0 offset:4
	buffer_load_dword v62, off, s[0:3], 0 offset:8
	;; [unrolled: 1-line block ×29, first 2 shown]
	s_waitcnt vmcnt(29)
	global_store_dword v[56:57], v0, off
	s_waitcnt vmcnt(29)
	global_store_dword v[58:59], v1, off
	;; [unrolled: 2-line block ×30, first 2 shown]
.LBB93_572:
	s_endpgm
	.section	.rodata,"a",@progbits
	.p2align	6, 0x0
	.amdhsa_kernel _ZN9rocsolver6v33100L18trti2_kernel_smallILi30EfPKPfEEv13rocblas_fill_17rocblas_diagonal_T1_iil
		.amdhsa_group_segment_fixed_size 248
		.amdhsa_private_segment_fixed_size 128
		.amdhsa_kernarg_size 32
		.amdhsa_user_sgpr_count 8
		.amdhsa_user_sgpr_private_segment_buffer 1
		.amdhsa_user_sgpr_dispatch_ptr 0
		.amdhsa_user_sgpr_queue_ptr 0
		.amdhsa_user_sgpr_kernarg_segment_ptr 1
		.amdhsa_user_sgpr_dispatch_id 0
		.amdhsa_user_sgpr_flat_scratch_init 1
		.amdhsa_user_sgpr_kernarg_preload_length 0
		.amdhsa_user_sgpr_kernarg_preload_offset 0
		.amdhsa_user_sgpr_private_segment_size 0
		.amdhsa_uses_dynamic_stack 0
		.amdhsa_system_sgpr_private_segment_wavefront_offset 1
		.amdhsa_system_sgpr_workgroup_id_x 1
		.amdhsa_system_sgpr_workgroup_id_y 0
		.amdhsa_system_sgpr_workgroup_id_z 0
		.amdhsa_system_sgpr_workgroup_info 0
		.amdhsa_system_vgpr_workitem_id 0
		.amdhsa_next_free_vgpr 92
		.amdhsa_next_free_sgpr 16
		.amdhsa_accum_offset 92
		.amdhsa_reserve_vcc 1
		.amdhsa_reserve_flat_scratch 0
		.amdhsa_float_round_mode_32 0
		.amdhsa_float_round_mode_16_64 0
		.amdhsa_float_denorm_mode_32 3
		.amdhsa_float_denorm_mode_16_64 3
		.amdhsa_dx10_clamp 1
		.amdhsa_ieee_mode 1
		.amdhsa_fp16_overflow 0
		.amdhsa_tg_split 0
		.amdhsa_exception_fp_ieee_invalid_op 0
		.amdhsa_exception_fp_denorm_src 0
		.amdhsa_exception_fp_ieee_div_zero 0
		.amdhsa_exception_fp_ieee_overflow 0
		.amdhsa_exception_fp_ieee_underflow 0
		.amdhsa_exception_fp_ieee_inexact 0
		.amdhsa_exception_int_div_zero 0
	.end_amdhsa_kernel
	.section	.text._ZN9rocsolver6v33100L18trti2_kernel_smallILi30EfPKPfEEv13rocblas_fill_17rocblas_diagonal_T1_iil,"axG",@progbits,_ZN9rocsolver6v33100L18trti2_kernel_smallILi30EfPKPfEEv13rocblas_fill_17rocblas_diagonal_T1_iil,comdat
.Lfunc_end93:
	.size	_ZN9rocsolver6v33100L18trti2_kernel_smallILi30EfPKPfEEv13rocblas_fill_17rocblas_diagonal_T1_iil, .Lfunc_end93-_ZN9rocsolver6v33100L18trti2_kernel_smallILi30EfPKPfEEv13rocblas_fill_17rocblas_diagonal_T1_iil
                                        ; -- End function
	.section	.AMDGPU.csdata,"",@progbits
; Kernel info:
; codeLenInByte = 14460
; NumSgprs: 20
; NumVgprs: 92
; NumAgprs: 0
; TotalNumVgprs: 92
; ScratchSize: 128
; MemoryBound: 0
; FloatMode: 240
; IeeeMode: 1
; LDSByteSize: 248 bytes/workgroup (compile time only)
; SGPRBlocks: 2
; VGPRBlocks: 11
; NumSGPRsForWavesPerEU: 20
; NumVGPRsForWavesPerEU: 92
; AccumOffset: 92
; Occupancy: 5
; WaveLimiterHint : 1
; COMPUTE_PGM_RSRC2:SCRATCH_EN: 1
; COMPUTE_PGM_RSRC2:USER_SGPR: 8
; COMPUTE_PGM_RSRC2:TRAP_HANDLER: 0
; COMPUTE_PGM_RSRC2:TGID_X_EN: 1
; COMPUTE_PGM_RSRC2:TGID_Y_EN: 0
; COMPUTE_PGM_RSRC2:TGID_Z_EN: 0
; COMPUTE_PGM_RSRC2:TIDIG_COMP_CNT: 0
; COMPUTE_PGM_RSRC3_GFX90A:ACCUM_OFFSET: 22
; COMPUTE_PGM_RSRC3_GFX90A:TG_SPLIT: 0
	.section	.text._ZN9rocsolver6v33100L18trti2_kernel_smallILi31EfPKPfEEv13rocblas_fill_17rocblas_diagonal_T1_iil,"axG",@progbits,_ZN9rocsolver6v33100L18trti2_kernel_smallILi31EfPKPfEEv13rocblas_fill_17rocblas_diagonal_T1_iil,comdat
	.globl	_ZN9rocsolver6v33100L18trti2_kernel_smallILi31EfPKPfEEv13rocblas_fill_17rocblas_diagonal_T1_iil ; -- Begin function _ZN9rocsolver6v33100L18trti2_kernel_smallILi31EfPKPfEEv13rocblas_fill_17rocblas_diagonal_T1_iil
	.p2align	8
	.type	_ZN9rocsolver6v33100L18trti2_kernel_smallILi31EfPKPfEEv13rocblas_fill_17rocblas_diagonal_T1_iil,@function
_ZN9rocsolver6v33100L18trti2_kernel_smallILi31EfPKPfEEv13rocblas_fill_17rocblas_diagonal_T1_iil: ; @_ZN9rocsolver6v33100L18trti2_kernel_smallILi31EfPKPfEEv13rocblas_fill_17rocblas_diagonal_T1_iil
; %bb.0:
	s_add_u32 s0, s0, s9
	s_addc_u32 s1, s1, 0
	v_cmp_gt_u32_e32 vcc, 31, v0
	s_and_saveexec_b64 s[6:7], vcc
	s_cbranch_execz .LBB94_592
; %bb.1:
	s_load_dwordx2 s[6:7], s[4:5], 0x10
	s_load_dwordx4 s[12:15], s[4:5], 0x0
	s_ashr_i32 s9, s8, 31
	s_lshl_b64 s[4:5], s[8:9], 3
	s_waitcnt lgkmcnt(0)
	s_ashr_i32 s9, s6, 31
	s_add_u32 s4, s14, s4
	s_addc_u32 s5, s15, s5
	s_load_dwordx2 s[4:5], s[4:5], 0x0
	s_mov_b32 s8, s6
	s_lshl_b64 s[8:9], s[8:9], 2
	s_waitcnt lgkmcnt(0)
	s_add_u32 s4, s4, s8
	s_addc_u32 s5, s5, s9
	s_add_i32 s6, s7, s7
	v_add_u32_e32 v4, s6, v0
	v_ashrrev_i32_e32 v5, 31, v4
	v_lshlrev_b64 v[2:3], 2, v[4:5]
	v_add_u32_e32 v6, s7, v4
	v_mov_b32_e32 v1, s5
	v_add_co_u32_e32 v2, vcc, s4, v2
	v_ashrrev_i32_e32 v7, 31, v6
	v_addc_co_u32_e32 v3, vcc, v1, v3, vcc
	v_lshlrev_b64 v[4:5], 2, v[6:7]
	v_add_u32_e32 v8, s7, v6
	v_add_co_u32_e32 v4, vcc, s4, v4
	v_ashrrev_i32_e32 v9, 31, v8
	v_addc_co_u32_e32 v5, vcc, v1, v5, vcc
	v_lshlrev_b64 v[6:7], 2, v[8:9]
	v_add_u32_e32 v10, s7, v8
	;; [unrolled: 5-line block ×20, first 2 shown]
	v_add_co_u32_e32 v42, vcc, s4, v42
	v_ashrrev_i32_e32 v47, 31, v46
	v_addc_co_u32_e32 v43, vcc, v1, v43, vcc
	v_lshlrev_b64 v[44:45], 2, v[46:47]
	v_add_co_u32_e32 v44, vcc, s4, v44
	v_addc_co_u32_e32 v45, vcc, v1, v45, vcc
	v_lshlrev_b32_e32 v1, 2, v0
	v_add_u32_e32 v48, s7, v46
	v_mov_b32_e32 v46, s5
	v_add_co_u32_e32 v54, vcc, s4, v1
	s_ashr_i32 s9, s7, 31
	s_mov_b32 s8, s7
	v_addc_co_u32_e32 v55, vcc, 0, v46, vcc
	s_lshl_b64 s[8:9], s[8:9], 2
	v_mov_b32_e32 v46, s9
	v_add_co_u32_e32 v52, vcc, s8, v54
	global_load_dword v64, v1, s[4:5]
	v_addc_co_u32_e32 v53, vcc, v55, v46, vcc
	global_load_dword v65, v[52:53], off
	global_load_dword v66, v[2:3], off
	v_ashrrev_i32_e32 v49, 31, v48
	v_lshlrev_b64 v[46:47], 2, v[48:49]
	v_add_u32_e32 v50, s7, v48
	v_mov_b32_e32 v49, s5
	v_add_co_u32_e32 v46, vcc, s4, v46
	v_ashrrev_i32_e32 v51, 31, v50
	v_addc_co_u32_e32 v47, vcc, v49, v47, vcc
	v_lshlrev_b64 v[48:49], 2, v[50:51]
	v_add_u32_e32 v56, s7, v50
	v_mov_b32_e32 v51, s5
	v_add_co_u32_e32 v48, vcc, s4, v48
	v_ashrrev_i32_e32 v57, 31, v56
	v_addc_co_u32_e32 v49, vcc, v51, v49, vcc
	;; [unrolled: 6-line block ×5, first 2 shown]
	v_lshlrev_b64 v[60:61], 2, v[62:63]
	v_mov_b32_e32 v63, s5
	v_add_co_u32_e32 v60, vcc, s4, v60
	v_add_u32_e32 v62, s7, v62
	v_addc_co_u32_e32 v61, vcc, v63, v61, vcc
	v_ashrrev_i32_e32 v63, 31, v62
	v_lshlrev_b64 v[62:63], 2, v[62:63]
	v_mov_b32_e32 v67, s5
	v_add_co_u32_e32 v62, vcc, s4, v62
	v_addc_co_u32_e32 v63, vcc, v67, v63, vcc
	global_load_dword v67, v[4:5], off
	global_load_dword v68, v[6:7], off
	;; [unrolled: 1-line block ×15, first 2 shown]
	s_cmpk_lg_i32 s13, 0x84
	s_cselect_b64 s[10:11], -1, 0
	s_cmpk_eq_i32 s13, 0x84
	s_waitcnt vmcnt(17)
	buffer_store_dword v64, off, s[0:3], 0
	global_load_dword v64, v[32:33], off
	s_nop 0
	global_load_dword v82, v[34:35], off
	global_load_dword v83, v[36:37], off
	;; [unrolled: 1-line block ×7, first 2 shown]
	s_waitcnt vmcnt(25)
	buffer_store_dword v65, off, s[0:3], 0 offset:4
	s_waitcnt vmcnt(25)
	buffer_store_dword v66, off, s[0:3], 0 offset:8
	global_load_dword v65, v[48:49], off
	s_nop 0
	global_load_dword v66, v[58:59], off
	global_load_dword v89, v[56:57], off
	;; [unrolled: 1-line block ×4, first 2 shown]
	s_waitcnt vmcnt(30)
	buffer_store_dword v67, off, s[0:3], 0 offset:12
	s_waitcnt vmcnt(30)
	buffer_store_dword v68, off, s[0:3], 0 offset:16
	;; [unrolled: 2-line block ×9, first 2 shown]
	buffer_store_dword v74, off, s[0:3], 0 offset:48
	buffer_store_dword v75, off, s[0:3], 0 offset:52
	;; [unrolled: 1-line block ×5, first 2 shown]
	s_waitcnt vmcnt(28)
	buffer_store_dword v64, off, s[0:3], 0 offset:68
	s_waitcnt vmcnt(28)
	buffer_store_dword v82, off, s[0:3], 0 offset:72
	s_waitcnt vmcnt(28)
	buffer_store_dword v83, off, s[0:3], 0 offset:76
	s_waitcnt vmcnt(25)
	buffer_store_dword v87, off, s[0:3], 0 offset:84
	s_waitcnt vmcnt(25)
	buffer_store_dword v88, off, s[0:3], 0 offset:80
	buffer_store_dword v85, off, s[0:3], 0 offset:92
	buffer_store_dword v86, off, s[0:3], 0 offset:88
	s_waitcnt vmcnt(25)
	buffer_store_dword v65, off, s[0:3], 0 offset:100
	buffer_store_dword v84, off, s[0:3], 0 offset:96
	s_waitcnt vmcnt(25)
	buffer_store_dword v89, off, s[0:3], 0 offset:108
	s_waitcnt vmcnt(25)
	;; [unrolled: 2-line block ×3, first 2 shown]
	buffer_store_dword v91, off, s[0:3], 0 offset:116
	buffer_store_dword v66, off, s[0:3], 0 offset:112
	;; [unrolled: 1-line block ×3, first 2 shown]
	v_mov_b32_e32 v79, 0
	v_mov_b32_e32 v64, -1.0
	s_cbranch_scc1 .LBB94_3
; %bb.2:
	v_lshl_add_u32 v64, v0, 2, v79
	buffer_load_dword v65, v64, s[0:3], 0 offen
	s_waitcnt vmcnt(0)
	v_div_scale_f32 v66, s[4:5], v65, v65, 1.0
	v_rcp_f32_e32 v67, v66
	v_div_scale_f32 v68, vcc, 1.0, v65, 1.0
	v_fma_f32 v69, -v66, v67, 1.0
	v_fmac_f32_e32 v67, v69, v67
	v_mul_f32_e32 v69, v68, v67
	v_fma_f32 v70, -v66, v69, v68
	v_fmac_f32_e32 v69, v70, v67
	v_fma_f32 v66, -v66, v69, v68
	v_div_fmas_f32 v66, v66, v67, v69
	v_div_fixup_f32 v65, v66, v65, 1.0
	buffer_store_dword v65, v64, s[0:3], 0 offen
	v_xor_b32_e32 v64, 0x80000000, v65
.LBB94_3:
	ds_write_b32 v1, v64
	s_cmpk_eq_i32 s12, 0x79
	v_add_u32_e32 v64, 0x80, v1
	v_add_u32_e32 v65, 0, v1
	s_mov_b64 s[4:5], -1
	s_cbranch_scc1 .LBB94_297
; %bb.4:
	buffer_load_dword v66, off, s[0:3], 0 offset:116
	v_cmp_eq_u32_e64 s[4:5], 30, v0
	s_waitcnt vmcnt(0)
	ds_write_b32 v64, v66
	s_waitcnt lgkmcnt(0)
	; wave barrier
	s_waitcnt lgkmcnt(0)
	s_and_saveexec_b64 s[6:7], s[4:5]
	s_cbranch_execz .LBB94_10
; %bb.5:
	s_and_b64 vcc, exec, s[10:11]
	s_cbranch_vccz .LBB94_7
; %bb.6:
	buffer_load_dword v66, v65, s[0:3], 0 offen
	ds_read_b32 v67, v64
	s_waitcnt vmcnt(0) lgkmcnt(0)
	v_mul_f32_e32 v66, v66, v67
	s_cbranch_execz .LBB94_8
	s_branch .LBB94_9
.LBB94_7:
                                        ; implicit-def: $vgpr66
.LBB94_8:
	ds_read_b32 v66, v64
.LBB94_9:
	v_mov_b32_e32 v67, 0
	ds_read_b32 v67, v67 offset:116
	s_waitcnt lgkmcnt(0)
	v_mul_f32_e32 v66, v66, v67
	buffer_store_dword v66, off, s[0:3], 0 offset:116
.LBB94_10:
	s_or_b64 exec, exec, s[6:7]
	buffer_load_dword v80, off, s[0:3], 0 offset:112
	v_or_b32_e32 v66, 8, v79
	v_add_u32_e32 v67, 16, v79
	v_add_u32_e32 v68, 24, v79
	v_add_u32_e32 v69, 32, v79
	v_add_u32_e32 v70, 40, v79
	v_add_u32_e32 v71, 48, v79
	v_add_u32_e32 v72, 56, v79
	v_add_u32_e32 v73, 64, v79
	v_add_u32_e32 v74, 0x48, v79
	v_add_u32_e32 v75, 0x50, v79
	v_add_u32_e32 v76, 0x58, v79
	v_add_u32_e32 v77, 0x60, v79
	v_add_u32_e32 v78, 0x68, v79
	v_add_u32_e32 v79, 0x70, v79
	v_cmp_lt_u32_e64 s[8:9], 28, v0
	s_waitcnt vmcnt(0)
	ds_write_b32 v64, v80
	s_waitcnt lgkmcnt(0)
	; wave barrier
	s_waitcnt lgkmcnt(0)
	s_and_saveexec_b64 s[6:7], s[8:9]
	s_cbranch_execz .LBB94_16
; %bb.11:
	s_andn2_b64 vcc, exec, s[10:11]
	s_cbranch_vccnz .LBB94_13
; %bb.12:
	buffer_load_dword v80, v65, s[0:3], 0 offen
	ds_read_b32 v81, v64
	s_waitcnt vmcnt(0) lgkmcnt(0)
	v_mul_f32_e32 v80, v80, v81
	s_cbranch_execz .LBB94_14
	s_branch .LBB94_15
.LBB94_13:
                                        ; implicit-def: $vgpr80
.LBB94_14:
	ds_read_b32 v80, v64
.LBB94_15:
	buffer_load_dword v81, off, s[0:3], 0 offset:116
	v_mov_b32_e32 v82, 0
	ds_read2_b32 v[82:83], v82 offset0:28 offset1:61
	s_waitcnt vmcnt(0) lgkmcnt(0)
	v_fma_f32 v81, v81, v83, v80
	v_cndmask_b32_e64 v80, v80, v81, s[4:5]
	v_mul_f32_e32 v80, v80, v82
	buffer_store_dword v80, off, s[0:3], 0 offset:112
.LBB94_16:
	s_or_b64 exec, exec, s[6:7]
	buffer_load_dword v80, off, s[0:3], 0 offset:108
	v_cmp_lt_u32_e64 s[6:7], 27, v0
	s_waitcnt vmcnt(0)
	ds_write_b32 v64, v80
	s_waitcnt lgkmcnt(0)
	; wave barrier
	s_waitcnt lgkmcnt(0)
	s_and_saveexec_b64 s[4:5], s[6:7]
	s_cbranch_execz .LBB94_26
; %bb.17:
	s_andn2_b64 vcc, exec, s[10:11]
	s_cbranch_vccnz .LBB94_19
; %bb.18:
	buffer_load_dword v80, v65, s[0:3], 0 offen
	ds_read_b32 v81, v64
	s_waitcnt vmcnt(0) lgkmcnt(0)
	v_mul_f32_e32 v80, v80, v81
	s_cbranch_execz .LBB94_20
	s_branch .LBB94_21
.LBB94_19:
                                        ; implicit-def: $vgpr80
.LBB94_20:
	ds_read_b32 v80, v64
.LBB94_21:
	s_and_saveexec_b64 s[12:13], s[8:9]
	s_cbranch_execz .LBB94_25
; %bb.22:
	v_subrev_u32_e32 v81, 28, v0
	s_movk_i32 s14, 0xf0
	s_mov_b64 s[8:9], 0
.LBB94_23:                              ; =>This Inner Loop Header: Depth=1
	buffer_load_dword v82, v79, s[0:3], 0 offen
	v_mov_b32_e32 v83, s14
	ds_read_b32 v83, v83
	v_add_u32_e32 v81, -1, v81
	s_add_i32 s14, s14, 4
	v_cmp_eq_u32_e32 vcc, 0, v81
	v_add_u32_e32 v79, 4, v79
	s_or_b64 s[8:9], vcc, s[8:9]
	s_waitcnt vmcnt(0) lgkmcnt(0)
	v_fmac_f32_e32 v80, v82, v83
	s_andn2_b64 exec, exec, s[8:9]
	s_cbranch_execnz .LBB94_23
; %bb.24:
	s_or_b64 exec, exec, s[8:9]
.LBB94_25:
	s_or_b64 exec, exec, s[12:13]
	v_mov_b32_e32 v79, 0
	ds_read_b32 v79, v79 offset:108
	s_waitcnt lgkmcnt(0)
	v_mul_f32_e32 v79, v80, v79
	buffer_store_dword v79, off, s[0:3], 0 offset:108
.LBB94_26:
	s_or_b64 exec, exec, s[4:5]
	buffer_load_dword v79, off, s[0:3], 0 offset:104
	v_cmp_lt_u32_e64 s[4:5], 26, v0
	s_waitcnt vmcnt(0)
	ds_write_b32 v64, v79
	s_waitcnt lgkmcnt(0)
	; wave barrier
	s_waitcnt lgkmcnt(0)
	s_and_saveexec_b64 s[8:9], s[4:5]
	s_cbranch_execz .LBB94_36
; %bb.27:
	s_andn2_b64 vcc, exec, s[10:11]
	s_cbranch_vccnz .LBB94_29
; %bb.28:
	buffer_load_dword v79, v65, s[0:3], 0 offen
	ds_read_b32 v80, v64
	s_waitcnt vmcnt(0) lgkmcnt(0)
	v_mul_f32_e32 v79, v79, v80
	s_cbranch_execz .LBB94_30
	s_branch .LBB94_31
.LBB94_29:
                                        ; implicit-def: $vgpr79
.LBB94_30:
	ds_read_b32 v79, v64
.LBB94_31:
	s_and_saveexec_b64 s[12:13], s[6:7]
	s_cbranch_execz .LBB94_35
; %bb.32:
	v_mov_b32_e32 v80, 0
	v_add_u32_e32 v80, 0x6c, v80
	v_subrev_u32_e32 v81, 27, v0
	s_movk_i32 s14, 0xec
	s_mov_b64 s[6:7], 0
.LBB94_33:                              ; =>This Inner Loop Header: Depth=1
	buffer_load_dword v82, v80, s[0:3], 0 offen
	v_mov_b32_e32 v83, s14
	ds_read_b32 v83, v83
	v_add_u32_e32 v81, -1, v81
	s_add_i32 s14, s14, 4
	v_cmp_eq_u32_e32 vcc, 0, v81
	v_add_u32_e32 v80, 4, v80
	s_or_b64 s[6:7], vcc, s[6:7]
	s_waitcnt vmcnt(0) lgkmcnt(0)
	v_fmac_f32_e32 v79, v82, v83
	s_andn2_b64 exec, exec, s[6:7]
	s_cbranch_execnz .LBB94_33
; %bb.34:
	s_or_b64 exec, exec, s[6:7]
.LBB94_35:
	s_or_b64 exec, exec, s[12:13]
	v_mov_b32_e32 v80, 0
	ds_read_b32 v80, v80 offset:104
	s_waitcnt lgkmcnt(0)
	v_mul_f32_e32 v79, v79, v80
	buffer_store_dword v79, off, s[0:3], 0 offset:104
.LBB94_36:
	s_or_b64 exec, exec, s[8:9]
	buffer_load_dword v79, off, s[0:3], 0 offset:100
	v_cmp_lt_u32_e64 s[6:7], 25, v0
	s_waitcnt vmcnt(0)
	ds_write_b32 v64, v79
	s_waitcnt lgkmcnt(0)
	; wave barrier
	s_waitcnt lgkmcnt(0)
	s_and_saveexec_b64 s[8:9], s[6:7]
	s_cbranch_execz .LBB94_46
; %bb.37:
	s_andn2_b64 vcc, exec, s[10:11]
	s_cbranch_vccnz .LBB94_39
; %bb.38:
	buffer_load_dword v79, v65, s[0:3], 0 offen
	ds_read_b32 v80, v64
	s_waitcnt vmcnt(0) lgkmcnt(0)
	v_mul_f32_e32 v79, v79, v80
	s_cbranch_execz .LBB94_40
	s_branch .LBB94_41
.LBB94_39:
                                        ; implicit-def: $vgpr79
.LBB94_40:
	ds_read_b32 v79, v64
.LBB94_41:
	s_and_saveexec_b64 s[12:13], s[4:5]
	s_cbranch_execz .LBB94_45
; %bb.42:
	v_subrev_u32_e32 v80, 26, v0
	s_movk_i32 s14, 0xe8
	s_mov_b64 s[4:5], 0
.LBB94_43:                              ; =>This Inner Loop Header: Depth=1
	buffer_load_dword v81, v78, s[0:3], 0 offen
	v_mov_b32_e32 v82, s14
	ds_read_b32 v82, v82
	v_add_u32_e32 v80, -1, v80
	s_add_i32 s14, s14, 4
	v_cmp_eq_u32_e32 vcc, 0, v80
	v_add_u32_e32 v78, 4, v78
	s_or_b64 s[4:5], vcc, s[4:5]
	s_waitcnt vmcnt(0) lgkmcnt(0)
	v_fmac_f32_e32 v79, v81, v82
	s_andn2_b64 exec, exec, s[4:5]
	s_cbranch_execnz .LBB94_43
; %bb.44:
	s_or_b64 exec, exec, s[4:5]
.LBB94_45:
	s_or_b64 exec, exec, s[12:13]
	v_mov_b32_e32 v78, 0
	ds_read_b32 v78, v78 offset:100
	s_waitcnt lgkmcnt(0)
	v_mul_f32_e32 v78, v79, v78
	buffer_store_dword v78, off, s[0:3], 0 offset:100
.LBB94_46:
	s_or_b64 exec, exec, s[8:9]
	buffer_load_dword v78, off, s[0:3], 0 offset:96
	v_cmp_lt_u32_e64 s[4:5], 24, v0
	s_waitcnt vmcnt(0)
	ds_write_b32 v64, v78
	s_waitcnt lgkmcnt(0)
	; wave barrier
	s_waitcnt lgkmcnt(0)
	s_and_saveexec_b64 s[8:9], s[4:5]
	s_cbranch_execz .LBB94_56
; %bb.47:
	s_andn2_b64 vcc, exec, s[10:11]
	s_cbranch_vccnz .LBB94_49
; %bb.48:
	buffer_load_dword v78, v65, s[0:3], 0 offen
	ds_read_b32 v79, v64
	s_waitcnt vmcnt(0) lgkmcnt(0)
	v_mul_f32_e32 v78, v78, v79
	s_cbranch_execz .LBB94_50
	s_branch .LBB94_51
.LBB94_49:
                                        ; implicit-def: $vgpr78
.LBB94_50:
	ds_read_b32 v78, v64
.LBB94_51:
	s_and_saveexec_b64 s[12:13], s[6:7]
	s_cbranch_execz .LBB94_55
; %bb.52:
	v_mov_b32_e32 v79, 0
	v_add_u32_e32 v79, 0x64, v79
	v_subrev_u32_e32 v80, 25, v0
	s_movk_i32 s14, 0xe4
	s_mov_b64 s[6:7], 0
.LBB94_53:                              ; =>This Inner Loop Header: Depth=1
	buffer_load_dword v81, v79, s[0:3], 0 offen
	v_mov_b32_e32 v82, s14
	ds_read_b32 v82, v82
	v_add_u32_e32 v80, -1, v80
	s_add_i32 s14, s14, 4
	v_cmp_eq_u32_e32 vcc, 0, v80
	v_add_u32_e32 v79, 4, v79
	s_or_b64 s[6:7], vcc, s[6:7]
	s_waitcnt vmcnt(0) lgkmcnt(0)
	v_fmac_f32_e32 v78, v81, v82
	s_andn2_b64 exec, exec, s[6:7]
	s_cbranch_execnz .LBB94_53
; %bb.54:
	s_or_b64 exec, exec, s[6:7]
.LBB94_55:
	s_or_b64 exec, exec, s[12:13]
	v_mov_b32_e32 v79, 0
	ds_read_b32 v79, v79 offset:96
	s_waitcnt lgkmcnt(0)
	v_mul_f32_e32 v78, v78, v79
	buffer_store_dword v78, off, s[0:3], 0 offset:96
.LBB94_56:
	s_or_b64 exec, exec, s[8:9]
	buffer_load_dword v78, off, s[0:3], 0 offset:92
	v_cmp_lt_u32_e64 s[6:7], 23, v0
	s_waitcnt vmcnt(0)
	ds_write_b32 v64, v78
	s_waitcnt lgkmcnt(0)
	; wave barrier
	s_waitcnt lgkmcnt(0)
	s_and_saveexec_b64 s[8:9], s[6:7]
	s_cbranch_execz .LBB94_66
; %bb.57:
	s_andn2_b64 vcc, exec, s[10:11]
	s_cbranch_vccnz .LBB94_59
; %bb.58:
	buffer_load_dword v78, v65, s[0:3], 0 offen
	ds_read_b32 v79, v64
	s_waitcnt vmcnt(0) lgkmcnt(0)
	v_mul_f32_e32 v78, v78, v79
	s_cbranch_execz .LBB94_60
	s_branch .LBB94_61
.LBB94_59:
                                        ; implicit-def: $vgpr78
.LBB94_60:
	ds_read_b32 v78, v64
.LBB94_61:
	s_and_saveexec_b64 s[12:13], s[4:5]
	s_cbranch_execz .LBB94_65
; %bb.62:
	v_subrev_u32_e32 v79, 24, v0
	s_movk_i32 s14, 0xe0
	s_mov_b64 s[4:5], 0
.LBB94_63:                              ; =>This Inner Loop Header: Depth=1
	buffer_load_dword v80, v77, s[0:3], 0 offen
	v_mov_b32_e32 v81, s14
	ds_read_b32 v81, v81
	v_add_u32_e32 v79, -1, v79
	s_add_i32 s14, s14, 4
	v_cmp_eq_u32_e32 vcc, 0, v79
	v_add_u32_e32 v77, 4, v77
	s_or_b64 s[4:5], vcc, s[4:5]
	s_waitcnt vmcnt(0) lgkmcnt(0)
	v_fmac_f32_e32 v78, v80, v81
	s_andn2_b64 exec, exec, s[4:5]
	s_cbranch_execnz .LBB94_63
; %bb.64:
	s_or_b64 exec, exec, s[4:5]
.LBB94_65:
	s_or_b64 exec, exec, s[12:13]
	v_mov_b32_e32 v77, 0
	ds_read_b32 v77, v77 offset:92
	s_waitcnt lgkmcnt(0)
	v_mul_f32_e32 v77, v78, v77
	buffer_store_dword v77, off, s[0:3], 0 offset:92
.LBB94_66:
	s_or_b64 exec, exec, s[8:9]
	buffer_load_dword v77, off, s[0:3], 0 offset:88
	v_cmp_lt_u32_e64 s[4:5], 22, v0
	s_waitcnt vmcnt(0)
	ds_write_b32 v64, v77
	s_waitcnt lgkmcnt(0)
	; wave barrier
	s_waitcnt lgkmcnt(0)
	s_and_saveexec_b64 s[8:9], s[4:5]
	s_cbranch_execz .LBB94_76
; %bb.67:
	s_andn2_b64 vcc, exec, s[10:11]
	s_cbranch_vccnz .LBB94_69
; %bb.68:
	buffer_load_dword v77, v65, s[0:3], 0 offen
	ds_read_b32 v78, v64
	s_waitcnt vmcnt(0) lgkmcnt(0)
	v_mul_f32_e32 v77, v77, v78
	s_cbranch_execz .LBB94_70
	s_branch .LBB94_71
.LBB94_69:
                                        ; implicit-def: $vgpr77
.LBB94_70:
	ds_read_b32 v77, v64
.LBB94_71:
	s_and_saveexec_b64 s[12:13], s[6:7]
	s_cbranch_execz .LBB94_75
; %bb.72:
	v_mov_b32_e32 v78, 0
	v_add_u32_e32 v78, 0x5c, v78
	v_subrev_u32_e32 v79, 23, v0
	s_movk_i32 s14, 0xdc
	s_mov_b64 s[6:7], 0
.LBB94_73:                              ; =>This Inner Loop Header: Depth=1
	buffer_load_dword v80, v78, s[0:3], 0 offen
	v_mov_b32_e32 v81, s14
	ds_read_b32 v81, v81
	v_add_u32_e32 v79, -1, v79
	s_add_i32 s14, s14, 4
	v_cmp_eq_u32_e32 vcc, 0, v79
	v_add_u32_e32 v78, 4, v78
	s_or_b64 s[6:7], vcc, s[6:7]
	s_waitcnt vmcnt(0) lgkmcnt(0)
	v_fmac_f32_e32 v77, v80, v81
	s_andn2_b64 exec, exec, s[6:7]
	s_cbranch_execnz .LBB94_73
; %bb.74:
	s_or_b64 exec, exec, s[6:7]
.LBB94_75:
	s_or_b64 exec, exec, s[12:13]
	v_mov_b32_e32 v78, 0
	ds_read_b32 v78, v78 offset:88
	s_waitcnt lgkmcnt(0)
	v_mul_f32_e32 v77, v77, v78
	buffer_store_dword v77, off, s[0:3], 0 offset:88
.LBB94_76:
	s_or_b64 exec, exec, s[8:9]
	buffer_load_dword v77, off, s[0:3], 0 offset:84
	v_cmp_lt_u32_e64 s[6:7], 21, v0
	s_waitcnt vmcnt(0)
	ds_write_b32 v64, v77
	s_waitcnt lgkmcnt(0)
	; wave barrier
	s_waitcnt lgkmcnt(0)
	s_and_saveexec_b64 s[8:9], s[6:7]
	s_cbranch_execz .LBB94_86
; %bb.77:
	s_andn2_b64 vcc, exec, s[10:11]
	s_cbranch_vccnz .LBB94_79
; %bb.78:
	buffer_load_dword v77, v65, s[0:3], 0 offen
	ds_read_b32 v78, v64
	s_waitcnt vmcnt(0) lgkmcnt(0)
	v_mul_f32_e32 v77, v77, v78
	s_cbranch_execz .LBB94_80
	s_branch .LBB94_81
.LBB94_79:
                                        ; implicit-def: $vgpr77
.LBB94_80:
	ds_read_b32 v77, v64
.LBB94_81:
	s_and_saveexec_b64 s[12:13], s[4:5]
	s_cbranch_execz .LBB94_85
; %bb.82:
	v_subrev_u32_e32 v78, 22, v0
	s_movk_i32 s14, 0xd8
	s_mov_b64 s[4:5], 0
.LBB94_83:                              ; =>This Inner Loop Header: Depth=1
	buffer_load_dword v79, v76, s[0:3], 0 offen
	v_mov_b32_e32 v80, s14
	ds_read_b32 v80, v80
	v_add_u32_e32 v78, -1, v78
	s_add_i32 s14, s14, 4
	v_cmp_eq_u32_e32 vcc, 0, v78
	v_add_u32_e32 v76, 4, v76
	s_or_b64 s[4:5], vcc, s[4:5]
	s_waitcnt vmcnt(0) lgkmcnt(0)
	v_fmac_f32_e32 v77, v79, v80
	s_andn2_b64 exec, exec, s[4:5]
	s_cbranch_execnz .LBB94_83
; %bb.84:
	s_or_b64 exec, exec, s[4:5]
.LBB94_85:
	s_or_b64 exec, exec, s[12:13]
	v_mov_b32_e32 v76, 0
	ds_read_b32 v76, v76 offset:84
	s_waitcnt lgkmcnt(0)
	v_mul_f32_e32 v76, v77, v76
	buffer_store_dword v76, off, s[0:3], 0 offset:84
.LBB94_86:
	s_or_b64 exec, exec, s[8:9]
	buffer_load_dword v76, off, s[0:3], 0 offset:80
	v_cmp_lt_u32_e64 s[4:5], 20, v0
	s_waitcnt vmcnt(0)
	ds_write_b32 v64, v76
	s_waitcnt lgkmcnt(0)
	; wave barrier
	s_waitcnt lgkmcnt(0)
	s_and_saveexec_b64 s[8:9], s[4:5]
	s_cbranch_execz .LBB94_96
; %bb.87:
	s_andn2_b64 vcc, exec, s[10:11]
	s_cbranch_vccnz .LBB94_89
; %bb.88:
	buffer_load_dword v76, v65, s[0:3], 0 offen
	ds_read_b32 v77, v64
	s_waitcnt vmcnt(0) lgkmcnt(0)
	v_mul_f32_e32 v76, v76, v77
	s_cbranch_execz .LBB94_90
	s_branch .LBB94_91
.LBB94_89:
                                        ; implicit-def: $vgpr76
.LBB94_90:
	ds_read_b32 v76, v64
.LBB94_91:
	s_and_saveexec_b64 s[12:13], s[6:7]
	s_cbranch_execz .LBB94_95
; %bb.92:
	v_mov_b32_e32 v77, 0
	v_add_u32_e32 v77, 0x54, v77
	v_subrev_u32_e32 v78, 21, v0
	s_movk_i32 s14, 0xd4
	s_mov_b64 s[6:7], 0
.LBB94_93:                              ; =>This Inner Loop Header: Depth=1
	buffer_load_dword v79, v77, s[0:3], 0 offen
	v_mov_b32_e32 v80, s14
	ds_read_b32 v80, v80
	v_add_u32_e32 v78, -1, v78
	s_add_i32 s14, s14, 4
	v_cmp_eq_u32_e32 vcc, 0, v78
	v_add_u32_e32 v77, 4, v77
	s_or_b64 s[6:7], vcc, s[6:7]
	s_waitcnt vmcnt(0) lgkmcnt(0)
	v_fmac_f32_e32 v76, v79, v80
	s_andn2_b64 exec, exec, s[6:7]
	s_cbranch_execnz .LBB94_93
; %bb.94:
	s_or_b64 exec, exec, s[6:7]
.LBB94_95:
	s_or_b64 exec, exec, s[12:13]
	v_mov_b32_e32 v77, 0
	ds_read_b32 v77, v77 offset:80
	s_waitcnt lgkmcnt(0)
	v_mul_f32_e32 v76, v76, v77
	buffer_store_dword v76, off, s[0:3], 0 offset:80
.LBB94_96:
	s_or_b64 exec, exec, s[8:9]
	buffer_load_dword v76, off, s[0:3], 0 offset:76
	v_cmp_lt_u32_e64 s[6:7], 19, v0
	s_waitcnt vmcnt(0)
	ds_write_b32 v64, v76
	s_waitcnt lgkmcnt(0)
	; wave barrier
	s_waitcnt lgkmcnt(0)
	s_and_saveexec_b64 s[8:9], s[6:7]
	s_cbranch_execz .LBB94_106
; %bb.97:
	s_andn2_b64 vcc, exec, s[10:11]
	s_cbranch_vccnz .LBB94_99
; %bb.98:
	buffer_load_dword v76, v65, s[0:3], 0 offen
	ds_read_b32 v77, v64
	s_waitcnt vmcnt(0) lgkmcnt(0)
	v_mul_f32_e32 v76, v76, v77
	s_cbranch_execz .LBB94_100
	s_branch .LBB94_101
.LBB94_99:
                                        ; implicit-def: $vgpr76
.LBB94_100:
	ds_read_b32 v76, v64
.LBB94_101:
	s_and_saveexec_b64 s[12:13], s[4:5]
	s_cbranch_execz .LBB94_105
; %bb.102:
	v_subrev_u32_e32 v77, 20, v0
	s_movk_i32 s14, 0xd0
	s_mov_b64 s[4:5], 0
.LBB94_103:                             ; =>This Inner Loop Header: Depth=1
	buffer_load_dword v78, v75, s[0:3], 0 offen
	v_mov_b32_e32 v79, s14
	ds_read_b32 v79, v79
	v_add_u32_e32 v77, -1, v77
	s_add_i32 s14, s14, 4
	v_cmp_eq_u32_e32 vcc, 0, v77
	v_add_u32_e32 v75, 4, v75
	s_or_b64 s[4:5], vcc, s[4:5]
	s_waitcnt vmcnt(0) lgkmcnt(0)
	v_fmac_f32_e32 v76, v78, v79
	s_andn2_b64 exec, exec, s[4:5]
	s_cbranch_execnz .LBB94_103
; %bb.104:
	s_or_b64 exec, exec, s[4:5]
.LBB94_105:
	s_or_b64 exec, exec, s[12:13]
	v_mov_b32_e32 v75, 0
	ds_read_b32 v75, v75 offset:76
	s_waitcnt lgkmcnt(0)
	v_mul_f32_e32 v75, v76, v75
	buffer_store_dword v75, off, s[0:3], 0 offset:76
.LBB94_106:
	s_or_b64 exec, exec, s[8:9]
	buffer_load_dword v75, off, s[0:3], 0 offset:72
	v_cmp_lt_u32_e64 s[4:5], 18, v0
	s_waitcnt vmcnt(0)
	ds_write_b32 v64, v75
	s_waitcnt lgkmcnt(0)
	; wave barrier
	s_waitcnt lgkmcnt(0)
	s_and_saveexec_b64 s[8:9], s[4:5]
	s_cbranch_execz .LBB94_116
; %bb.107:
	s_andn2_b64 vcc, exec, s[10:11]
	s_cbranch_vccnz .LBB94_109
; %bb.108:
	buffer_load_dword v75, v65, s[0:3], 0 offen
	ds_read_b32 v76, v64
	s_waitcnt vmcnt(0) lgkmcnt(0)
	v_mul_f32_e32 v75, v75, v76
	s_cbranch_execz .LBB94_110
	s_branch .LBB94_111
.LBB94_109:
                                        ; implicit-def: $vgpr75
.LBB94_110:
	ds_read_b32 v75, v64
.LBB94_111:
	s_and_saveexec_b64 s[12:13], s[6:7]
	s_cbranch_execz .LBB94_115
; %bb.112:
	v_mov_b32_e32 v76, 0
	v_add_u32_e32 v76, 0x4c, v76
	v_subrev_u32_e32 v77, 19, v0
	s_movk_i32 s14, 0xcc
	s_mov_b64 s[6:7], 0
.LBB94_113:                             ; =>This Inner Loop Header: Depth=1
	buffer_load_dword v78, v76, s[0:3], 0 offen
	v_mov_b32_e32 v79, s14
	ds_read_b32 v79, v79
	v_add_u32_e32 v77, -1, v77
	s_add_i32 s14, s14, 4
	v_cmp_eq_u32_e32 vcc, 0, v77
	v_add_u32_e32 v76, 4, v76
	s_or_b64 s[6:7], vcc, s[6:7]
	s_waitcnt vmcnt(0) lgkmcnt(0)
	v_fmac_f32_e32 v75, v78, v79
	s_andn2_b64 exec, exec, s[6:7]
	s_cbranch_execnz .LBB94_113
; %bb.114:
	s_or_b64 exec, exec, s[6:7]
.LBB94_115:
	s_or_b64 exec, exec, s[12:13]
	v_mov_b32_e32 v76, 0
	ds_read_b32 v76, v76 offset:72
	s_waitcnt lgkmcnt(0)
	v_mul_f32_e32 v75, v75, v76
	buffer_store_dword v75, off, s[0:3], 0 offset:72
.LBB94_116:
	s_or_b64 exec, exec, s[8:9]
	buffer_load_dword v75, off, s[0:3], 0 offset:68
	v_cmp_lt_u32_e64 s[6:7], 17, v0
	s_waitcnt vmcnt(0)
	ds_write_b32 v64, v75
	s_waitcnt lgkmcnt(0)
	; wave barrier
	s_waitcnt lgkmcnt(0)
	s_and_saveexec_b64 s[8:9], s[6:7]
	s_cbranch_execz .LBB94_126
; %bb.117:
	s_andn2_b64 vcc, exec, s[10:11]
	s_cbranch_vccnz .LBB94_119
; %bb.118:
	buffer_load_dword v75, v65, s[0:3], 0 offen
	ds_read_b32 v76, v64
	s_waitcnt vmcnt(0) lgkmcnt(0)
	v_mul_f32_e32 v75, v75, v76
	s_cbranch_execz .LBB94_120
	s_branch .LBB94_121
.LBB94_119:
                                        ; implicit-def: $vgpr75
.LBB94_120:
	ds_read_b32 v75, v64
.LBB94_121:
	s_and_saveexec_b64 s[12:13], s[4:5]
	s_cbranch_execz .LBB94_125
; %bb.122:
	v_subrev_u32_e32 v76, 18, v0
	s_movk_i32 s14, 0xc8
	s_mov_b64 s[4:5], 0
.LBB94_123:                             ; =>This Inner Loop Header: Depth=1
	buffer_load_dword v77, v74, s[0:3], 0 offen
	v_mov_b32_e32 v78, s14
	ds_read_b32 v78, v78
	v_add_u32_e32 v76, -1, v76
	s_add_i32 s14, s14, 4
	v_cmp_eq_u32_e32 vcc, 0, v76
	v_add_u32_e32 v74, 4, v74
	s_or_b64 s[4:5], vcc, s[4:5]
	s_waitcnt vmcnt(0) lgkmcnt(0)
	v_fmac_f32_e32 v75, v77, v78
	s_andn2_b64 exec, exec, s[4:5]
	s_cbranch_execnz .LBB94_123
; %bb.124:
	s_or_b64 exec, exec, s[4:5]
.LBB94_125:
	s_or_b64 exec, exec, s[12:13]
	v_mov_b32_e32 v74, 0
	ds_read_b32 v74, v74 offset:68
	s_waitcnt lgkmcnt(0)
	v_mul_f32_e32 v74, v75, v74
	buffer_store_dword v74, off, s[0:3], 0 offset:68
.LBB94_126:
	s_or_b64 exec, exec, s[8:9]
	buffer_load_dword v74, off, s[0:3], 0 offset:64
	v_cmp_lt_u32_e64 s[4:5], 16, v0
	s_waitcnt vmcnt(0)
	ds_write_b32 v64, v74
	s_waitcnt lgkmcnt(0)
	; wave barrier
	s_waitcnt lgkmcnt(0)
	s_and_saveexec_b64 s[8:9], s[4:5]
	s_cbranch_execz .LBB94_136
; %bb.127:
	s_andn2_b64 vcc, exec, s[10:11]
	s_cbranch_vccnz .LBB94_129
; %bb.128:
	buffer_load_dword v74, v65, s[0:3], 0 offen
	ds_read_b32 v75, v64
	s_waitcnt vmcnt(0) lgkmcnt(0)
	v_mul_f32_e32 v74, v74, v75
	s_cbranch_execz .LBB94_130
	s_branch .LBB94_131
.LBB94_129:
                                        ; implicit-def: $vgpr74
.LBB94_130:
	ds_read_b32 v74, v64
.LBB94_131:
	s_and_saveexec_b64 s[12:13], s[6:7]
	s_cbranch_execz .LBB94_135
; %bb.132:
	v_mov_b32_e32 v75, 0
	v_add_u32_e32 v75, 0x44, v75
	v_subrev_u32_e32 v76, 17, v0
	s_movk_i32 s14, 0xc4
	s_mov_b64 s[6:7], 0
.LBB94_133:                             ; =>This Inner Loop Header: Depth=1
	buffer_load_dword v77, v75, s[0:3], 0 offen
	v_mov_b32_e32 v78, s14
	ds_read_b32 v78, v78
	v_add_u32_e32 v76, -1, v76
	s_add_i32 s14, s14, 4
	v_cmp_eq_u32_e32 vcc, 0, v76
	v_add_u32_e32 v75, 4, v75
	s_or_b64 s[6:7], vcc, s[6:7]
	s_waitcnt vmcnt(0) lgkmcnt(0)
	v_fmac_f32_e32 v74, v77, v78
	s_andn2_b64 exec, exec, s[6:7]
	s_cbranch_execnz .LBB94_133
; %bb.134:
	s_or_b64 exec, exec, s[6:7]
.LBB94_135:
	s_or_b64 exec, exec, s[12:13]
	v_mov_b32_e32 v75, 0
	ds_read_b32 v75, v75 offset:64
	s_waitcnt lgkmcnt(0)
	v_mul_f32_e32 v74, v74, v75
	buffer_store_dword v74, off, s[0:3], 0 offset:64
.LBB94_136:
	s_or_b64 exec, exec, s[8:9]
	buffer_load_dword v74, off, s[0:3], 0 offset:60
	v_cmp_lt_u32_e64 s[6:7], 15, v0
	s_waitcnt vmcnt(0)
	ds_write_b32 v64, v74
	s_waitcnt lgkmcnt(0)
	; wave barrier
	s_waitcnt lgkmcnt(0)
	s_and_saveexec_b64 s[8:9], s[6:7]
	s_cbranch_execz .LBB94_146
; %bb.137:
	s_andn2_b64 vcc, exec, s[10:11]
	s_cbranch_vccnz .LBB94_139
; %bb.138:
	buffer_load_dword v74, v65, s[0:3], 0 offen
	ds_read_b32 v75, v64
	s_waitcnt vmcnt(0) lgkmcnt(0)
	v_mul_f32_e32 v74, v74, v75
	s_cbranch_execz .LBB94_140
	s_branch .LBB94_141
.LBB94_139:
                                        ; implicit-def: $vgpr74
.LBB94_140:
	ds_read_b32 v74, v64
.LBB94_141:
	s_and_saveexec_b64 s[12:13], s[4:5]
	s_cbranch_execz .LBB94_145
; %bb.142:
	v_add_u32_e32 v75, -16, v0
	s_movk_i32 s14, 0xc0
	s_mov_b64 s[4:5], 0
.LBB94_143:                             ; =>This Inner Loop Header: Depth=1
	buffer_load_dword v76, v73, s[0:3], 0 offen
	v_mov_b32_e32 v77, s14
	ds_read_b32 v77, v77
	v_add_u32_e32 v75, -1, v75
	s_add_i32 s14, s14, 4
	v_cmp_eq_u32_e32 vcc, 0, v75
	v_add_u32_e32 v73, 4, v73
	s_or_b64 s[4:5], vcc, s[4:5]
	s_waitcnt vmcnt(0) lgkmcnt(0)
	v_fmac_f32_e32 v74, v76, v77
	s_andn2_b64 exec, exec, s[4:5]
	s_cbranch_execnz .LBB94_143
; %bb.144:
	s_or_b64 exec, exec, s[4:5]
.LBB94_145:
	s_or_b64 exec, exec, s[12:13]
	v_mov_b32_e32 v73, 0
	ds_read_b32 v73, v73 offset:60
	s_waitcnt lgkmcnt(0)
	v_mul_f32_e32 v73, v74, v73
	buffer_store_dword v73, off, s[0:3], 0 offset:60
.LBB94_146:
	s_or_b64 exec, exec, s[8:9]
	buffer_load_dword v73, off, s[0:3], 0 offset:56
	v_cmp_lt_u32_e64 s[4:5], 14, v0
	s_waitcnt vmcnt(0)
	ds_write_b32 v64, v73
	s_waitcnt lgkmcnt(0)
	; wave barrier
	s_waitcnt lgkmcnt(0)
	s_and_saveexec_b64 s[8:9], s[4:5]
	s_cbranch_execz .LBB94_156
; %bb.147:
	s_andn2_b64 vcc, exec, s[10:11]
	s_cbranch_vccnz .LBB94_149
; %bb.148:
	buffer_load_dword v73, v65, s[0:3], 0 offen
	ds_read_b32 v74, v64
	s_waitcnt vmcnt(0) lgkmcnt(0)
	v_mul_f32_e32 v73, v73, v74
	s_cbranch_execz .LBB94_150
	s_branch .LBB94_151
.LBB94_149:
                                        ; implicit-def: $vgpr73
.LBB94_150:
	ds_read_b32 v73, v64
.LBB94_151:
	s_and_saveexec_b64 s[12:13], s[6:7]
	s_cbranch_execz .LBB94_155
; %bb.152:
	v_mov_b32_e32 v74, 0
	v_add_u32_e32 v74, 60, v74
	v_add_u32_e32 v75, -15, v0
	s_movk_i32 s14, 0xbc
	s_mov_b64 s[6:7], 0
.LBB94_153:                             ; =>This Inner Loop Header: Depth=1
	buffer_load_dword v76, v74, s[0:3], 0 offen
	v_mov_b32_e32 v77, s14
	ds_read_b32 v77, v77
	v_add_u32_e32 v75, -1, v75
	s_add_i32 s14, s14, 4
	v_cmp_eq_u32_e32 vcc, 0, v75
	v_add_u32_e32 v74, 4, v74
	s_or_b64 s[6:7], vcc, s[6:7]
	s_waitcnt vmcnt(0) lgkmcnt(0)
	v_fmac_f32_e32 v73, v76, v77
	s_andn2_b64 exec, exec, s[6:7]
	s_cbranch_execnz .LBB94_153
; %bb.154:
	s_or_b64 exec, exec, s[6:7]
.LBB94_155:
	s_or_b64 exec, exec, s[12:13]
	v_mov_b32_e32 v74, 0
	ds_read_b32 v74, v74 offset:56
	s_waitcnt lgkmcnt(0)
	v_mul_f32_e32 v73, v73, v74
	buffer_store_dword v73, off, s[0:3], 0 offset:56
.LBB94_156:
	s_or_b64 exec, exec, s[8:9]
	buffer_load_dword v73, off, s[0:3], 0 offset:52
	v_cmp_lt_u32_e64 s[6:7], 13, v0
	s_waitcnt vmcnt(0)
	ds_write_b32 v64, v73
	s_waitcnt lgkmcnt(0)
	; wave barrier
	s_waitcnt lgkmcnt(0)
	s_and_saveexec_b64 s[8:9], s[6:7]
	s_cbranch_execz .LBB94_166
; %bb.157:
	s_andn2_b64 vcc, exec, s[10:11]
	s_cbranch_vccnz .LBB94_159
; %bb.158:
	buffer_load_dword v73, v65, s[0:3], 0 offen
	ds_read_b32 v74, v64
	s_waitcnt vmcnt(0) lgkmcnt(0)
	v_mul_f32_e32 v73, v73, v74
	s_cbranch_execz .LBB94_160
	s_branch .LBB94_161
.LBB94_159:
                                        ; implicit-def: $vgpr73
.LBB94_160:
	ds_read_b32 v73, v64
.LBB94_161:
	s_and_saveexec_b64 s[12:13], s[4:5]
	s_cbranch_execz .LBB94_165
; %bb.162:
	v_add_u32_e32 v74, -14, v0
	s_movk_i32 s14, 0xb8
	s_mov_b64 s[4:5], 0
.LBB94_163:                             ; =>This Inner Loop Header: Depth=1
	buffer_load_dword v75, v72, s[0:3], 0 offen
	v_mov_b32_e32 v76, s14
	ds_read_b32 v76, v76
	v_add_u32_e32 v74, -1, v74
	s_add_i32 s14, s14, 4
	v_cmp_eq_u32_e32 vcc, 0, v74
	v_add_u32_e32 v72, 4, v72
	s_or_b64 s[4:5], vcc, s[4:5]
	s_waitcnt vmcnt(0) lgkmcnt(0)
	v_fmac_f32_e32 v73, v75, v76
	s_andn2_b64 exec, exec, s[4:5]
	s_cbranch_execnz .LBB94_163
; %bb.164:
	s_or_b64 exec, exec, s[4:5]
.LBB94_165:
	s_or_b64 exec, exec, s[12:13]
	v_mov_b32_e32 v72, 0
	ds_read_b32 v72, v72 offset:52
	s_waitcnt lgkmcnt(0)
	v_mul_f32_e32 v72, v73, v72
	buffer_store_dword v72, off, s[0:3], 0 offset:52
.LBB94_166:
	s_or_b64 exec, exec, s[8:9]
	buffer_load_dword v72, off, s[0:3], 0 offset:48
	v_cmp_lt_u32_e64 s[4:5], 12, v0
	s_waitcnt vmcnt(0)
	ds_write_b32 v64, v72
	s_waitcnt lgkmcnt(0)
	; wave barrier
	s_waitcnt lgkmcnt(0)
	s_and_saveexec_b64 s[8:9], s[4:5]
	s_cbranch_execz .LBB94_176
; %bb.167:
	s_andn2_b64 vcc, exec, s[10:11]
	s_cbranch_vccnz .LBB94_169
; %bb.168:
	buffer_load_dword v72, v65, s[0:3], 0 offen
	ds_read_b32 v73, v64
	s_waitcnt vmcnt(0) lgkmcnt(0)
	v_mul_f32_e32 v72, v72, v73
	s_cbranch_execz .LBB94_170
	s_branch .LBB94_171
.LBB94_169:
                                        ; implicit-def: $vgpr72
.LBB94_170:
	ds_read_b32 v72, v64
.LBB94_171:
	s_and_saveexec_b64 s[12:13], s[6:7]
	s_cbranch_execz .LBB94_175
; %bb.172:
	v_mov_b32_e32 v73, 0
	v_add_u32_e32 v73, 52, v73
	v_add_u32_e32 v74, -13, v0
	s_movk_i32 s14, 0xb4
	s_mov_b64 s[6:7], 0
.LBB94_173:                             ; =>This Inner Loop Header: Depth=1
	buffer_load_dword v75, v73, s[0:3], 0 offen
	v_mov_b32_e32 v76, s14
	ds_read_b32 v76, v76
	v_add_u32_e32 v74, -1, v74
	s_add_i32 s14, s14, 4
	v_cmp_eq_u32_e32 vcc, 0, v74
	v_add_u32_e32 v73, 4, v73
	s_or_b64 s[6:7], vcc, s[6:7]
	s_waitcnt vmcnt(0) lgkmcnt(0)
	v_fmac_f32_e32 v72, v75, v76
	s_andn2_b64 exec, exec, s[6:7]
	s_cbranch_execnz .LBB94_173
; %bb.174:
	s_or_b64 exec, exec, s[6:7]
.LBB94_175:
	s_or_b64 exec, exec, s[12:13]
	v_mov_b32_e32 v73, 0
	ds_read_b32 v73, v73 offset:48
	s_waitcnt lgkmcnt(0)
	v_mul_f32_e32 v72, v72, v73
	buffer_store_dword v72, off, s[0:3], 0 offset:48
.LBB94_176:
	s_or_b64 exec, exec, s[8:9]
	buffer_load_dword v72, off, s[0:3], 0 offset:44
	v_cmp_lt_u32_e64 s[6:7], 11, v0
	s_waitcnt vmcnt(0)
	ds_write_b32 v64, v72
	s_waitcnt lgkmcnt(0)
	; wave barrier
	s_waitcnt lgkmcnt(0)
	s_and_saveexec_b64 s[8:9], s[6:7]
	s_cbranch_execz .LBB94_186
; %bb.177:
	s_andn2_b64 vcc, exec, s[10:11]
	s_cbranch_vccnz .LBB94_179
; %bb.178:
	buffer_load_dword v72, v65, s[0:3], 0 offen
	ds_read_b32 v73, v64
	s_waitcnt vmcnt(0) lgkmcnt(0)
	v_mul_f32_e32 v72, v72, v73
	s_cbranch_execz .LBB94_180
	s_branch .LBB94_181
.LBB94_179:
                                        ; implicit-def: $vgpr72
.LBB94_180:
	ds_read_b32 v72, v64
.LBB94_181:
	s_and_saveexec_b64 s[12:13], s[4:5]
	s_cbranch_execz .LBB94_185
; %bb.182:
	v_add_u32_e32 v73, -12, v0
	s_movk_i32 s14, 0xb0
	s_mov_b64 s[4:5], 0
.LBB94_183:                             ; =>This Inner Loop Header: Depth=1
	buffer_load_dword v74, v71, s[0:3], 0 offen
	v_mov_b32_e32 v75, s14
	ds_read_b32 v75, v75
	v_add_u32_e32 v73, -1, v73
	s_add_i32 s14, s14, 4
	v_cmp_eq_u32_e32 vcc, 0, v73
	v_add_u32_e32 v71, 4, v71
	s_or_b64 s[4:5], vcc, s[4:5]
	s_waitcnt vmcnt(0) lgkmcnt(0)
	v_fmac_f32_e32 v72, v74, v75
	s_andn2_b64 exec, exec, s[4:5]
	s_cbranch_execnz .LBB94_183
; %bb.184:
	s_or_b64 exec, exec, s[4:5]
.LBB94_185:
	s_or_b64 exec, exec, s[12:13]
	v_mov_b32_e32 v71, 0
	ds_read_b32 v71, v71 offset:44
	s_waitcnt lgkmcnt(0)
	v_mul_f32_e32 v71, v72, v71
	buffer_store_dword v71, off, s[0:3], 0 offset:44
.LBB94_186:
	s_or_b64 exec, exec, s[8:9]
	buffer_load_dword v71, off, s[0:3], 0 offset:40
	v_cmp_lt_u32_e64 s[4:5], 10, v0
	s_waitcnt vmcnt(0)
	ds_write_b32 v64, v71
	s_waitcnt lgkmcnt(0)
	; wave barrier
	s_waitcnt lgkmcnt(0)
	s_and_saveexec_b64 s[8:9], s[4:5]
	s_cbranch_execz .LBB94_196
; %bb.187:
	s_andn2_b64 vcc, exec, s[10:11]
	s_cbranch_vccnz .LBB94_189
; %bb.188:
	buffer_load_dword v71, v65, s[0:3], 0 offen
	ds_read_b32 v72, v64
	s_waitcnt vmcnt(0) lgkmcnt(0)
	v_mul_f32_e32 v71, v71, v72
	s_cbranch_execz .LBB94_190
	s_branch .LBB94_191
.LBB94_189:
                                        ; implicit-def: $vgpr71
.LBB94_190:
	ds_read_b32 v71, v64
.LBB94_191:
	s_and_saveexec_b64 s[12:13], s[6:7]
	s_cbranch_execz .LBB94_195
; %bb.192:
	v_mov_b32_e32 v72, 0
	v_add_u32_e32 v72, 44, v72
	v_add_u32_e32 v73, -11, v0
	s_movk_i32 s14, 0xac
	s_mov_b64 s[6:7], 0
.LBB94_193:                             ; =>This Inner Loop Header: Depth=1
	buffer_load_dword v74, v72, s[0:3], 0 offen
	v_mov_b32_e32 v75, s14
	ds_read_b32 v75, v75
	v_add_u32_e32 v73, -1, v73
	s_add_i32 s14, s14, 4
	v_cmp_eq_u32_e32 vcc, 0, v73
	v_add_u32_e32 v72, 4, v72
	s_or_b64 s[6:7], vcc, s[6:7]
	s_waitcnt vmcnt(0) lgkmcnt(0)
	v_fmac_f32_e32 v71, v74, v75
	s_andn2_b64 exec, exec, s[6:7]
	s_cbranch_execnz .LBB94_193
; %bb.194:
	s_or_b64 exec, exec, s[6:7]
.LBB94_195:
	s_or_b64 exec, exec, s[12:13]
	v_mov_b32_e32 v72, 0
	ds_read_b32 v72, v72 offset:40
	s_waitcnt lgkmcnt(0)
	v_mul_f32_e32 v71, v71, v72
	buffer_store_dword v71, off, s[0:3], 0 offset:40
.LBB94_196:
	s_or_b64 exec, exec, s[8:9]
	buffer_load_dword v71, off, s[0:3], 0 offset:36
	v_cmp_lt_u32_e64 s[6:7], 9, v0
	s_waitcnt vmcnt(0)
	ds_write_b32 v64, v71
	s_waitcnt lgkmcnt(0)
	; wave barrier
	s_waitcnt lgkmcnt(0)
	s_and_saveexec_b64 s[8:9], s[6:7]
	s_cbranch_execz .LBB94_206
; %bb.197:
	s_andn2_b64 vcc, exec, s[10:11]
	s_cbranch_vccnz .LBB94_199
; %bb.198:
	buffer_load_dword v71, v65, s[0:3], 0 offen
	ds_read_b32 v72, v64
	s_waitcnt vmcnt(0) lgkmcnt(0)
	v_mul_f32_e32 v71, v71, v72
	s_cbranch_execz .LBB94_200
	s_branch .LBB94_201
.LBB94_199:
                                        ; implicit-def: $vgpr71
.LBB94_200:
	ds_read_b32 v71, v64
.LBB94_201:
	s_and_saveexec_b64 s[12:13], s[4:5]
	s_cbranch_execz .LBB94_205
; %bb.202:
	v_add_u32_e32 v72, -10, v0
	s_movk_i32 s14, 0xa8
	s_mov_b64 s[4:5], 0
.LBB94_203:                             ; =>This Inner Loop Header: Depth=1
	buffer_load_dword v73, v70, s[0:3], 0 offen
	v_mov_b32_e32 v74, s14
	ds_read_b32 v74, v74
	v_add_u32_e32 v72, -1, v72
	s_add_i32 s14, s14, 4
	v_cmp_eq_u32_e32 vcc, 0, v72
	v_add_u32_e32 v70, 4, v70
	s_or_b64 s[4:5], vcc, s[4:5]
	s_waitcnt vmcnt(0) lgkmcnt(0)
	v_fmac_f32_e32 v71, v73, v74
	s_andn2_b64 exec, exec, s[4:5]
	s_cbranch_execnz .LBB94_203
; %bb.204:
	s_or_b64 exec, exec, s[4:5]
.LBB94_205:
	s_or_b64 exec, exec, s[12:13]
	v_mov_b32_e32 v70, 0
	ds_read_b32 v70, v70 offset:36
	s_waitcnt lgkmcnt(0)
	v_mul_f32_e32 v70, v71, v70
	buffer_store_dword v70, off, s[0:3], 0 offset:36
.LBB94_206:
	s_or_b64 exec, exec, s[8:9]
	buffer_load_dword v70, off, s[0:3], 0 offset:32
	v_cmp_lt_u32_e64 s[4:5], 8, v0
	s_waitcnt vmcnt(0)
	ds_write_b32 v64, v70
	s_waitcnt lgkmcnt(0)
	; wave barrier
	s_waitcnt lgkmcnt(0)
	s_and_saveexec_b64 s[8:9], s[4:5]
	s_cbranch_execz .LBB94_216
; %bb.207:
	s_andn2_b64 vcc, exec, s[10:11]
	s_cbranch_vccnz .LBB94_209
; %bb.208:
	buffer_load_dword v70, v65, s[0:3], 0 offen
	ds_read_b32 v71, v64
	s_waitcnt vmcnt(0) lgkmcnt(0)
	v_mul_f32_e32 v70, v70, v71
	s_cbranch_execz .LBB94_210
	s_branch .LBB94_211
.LBB94_209:
                                        ; implicit-def: $vgpr70
.LBB94_210:
	ds_read_b32 v70, v64
.LBB94_211:
	s_and_saveexec_b64 s[12:13], s[6:7]
	s_cbranch_execz .LBB94_215
; %bb.212:
	v_mov_b32_e32 v71, 0
	v_add_u32_e32 v71, 36, v71
	v_add_u32_e32 v72, -9, v0
	s_movk_i32 s14, 0xa4
	s_mov_b64 s[6:7], 0
.LBB94_213:                             ; =>This Inner Loop Header: Depth=1
	buffer_load_dword v73, v71, s[0:3], 0 offen
	v_mov_b32_e32 v74, s14
	ds_read_b32 v74, v74
	v_add_u32_e32 v72, -1, v72
	s_add_i32 s14, s14, 4
	v_cmp_eq_u32_e32 vcc, 0, v72
	v_add_u32_e32 v71, 4, v71
	s_or_b64 s[6:7], vcc, s[6:7]
	s_waitcnt vmcnt(0) lgkmcnt(0)
	v_fmac_f32_e32 v70, v73, v74
	s_andn2_b64 exec, exec, s[6:7]
	s_cbranch_execnz .LBB94_213
; %bb.214:
	s_or_b64 exec, exec, s[6:7]
.LBB94_215:
	s_or_b64 exec, exec, s[12:13]
	v_mov_b32_e32 v71, 0
	ds_read_b32 v71, v71 offset:32
	s_waitcnt lgkmcnt(0)
	v_mul_f32_e32 v70, v70, v71
	buffer_store_dword v70, off, s[0:3], 0 offset:32
.LBB94_216:
	s_or_b64 exec, exec, s[8:9]
	buffer_load_dword v70, off, s[0:3], 0 offset:28
	v_cmp_lt_u32_e64 s[6:7], 7, v0
	s_waitcnt vmcnt(0)
	ds_write_b32 v64, v70
	s_waitcnt lgkmcnt(0)
	; wave barrier
	s_waitcnt lgkmcnt(0)
	s_and_saveexec_b64 s[8:9], s[6:7]
	s_cbranch_execz .LBB94_226
; %bb.217:
	s_andn2_b64 vcc, exec, s[10:11]
	s_cbranch_vccnz .LBB94_219
; %bb.218:
	buffer_load_dword v70, v65, s[0:3], 0 offen
	ds_read_b32 v71, v64
	s_waitcnt vmcnt(0) lgkmcnt(0)
	v_mul_f32_e32 v70, v70, v71
	s_cbranch_execz .LBB94_220
	s_branch .LBB94_221
.LBB94_219:
                                        ; implicit-def: $vgpr70
.LBB94_220:
	ds_read_b32 v70, v64
.LBB94_221:
	s_and_saveexec_b64 s[12:13], s[4:5]
	s_cbranch_execz .LBB94_225
; %bb.222:
	v_add_u32_e32 v71, -8, v0
	s_movk_i32 s14, 0xa0
	s_mov_b64 s[4:5], 0
.LBB94_223:                             ; =>This Inner Loop Header: Depth=1
	buffer_load_dword v72, v69, s[0:3], 0 offen
	v_mov_b32_e32 v73, s14
	ds_read_b32 v73, v73
	v_add_u32_e32 v71, -1, v71
	s_add_i32 s14, s14, 4
	v_cmp_eq_u32_e32 vcc, 0, v71
	v_add_u32_e32 v69, 4, v69
	s_or_b64 s[4:5], vcc, s[4:5]
	s_waitcnt vmcnt(0) lgkmcnt(0)
	v_fmac_f32_e32 v70, v72, v73
	s_andn2_b64 exec, exec, s[4:5]
	s_cbranch_execnz .LBB94_223
; %bb.224:
	s_or_b64 exec, exec, s[4:5]
.LBB94_225:
	s_or_b64 exec, exec, s[12:13]
	v_mov_b32_e32 v69, 0
	ds_read_b32 v69, v69 offset:28
	s_waitcnt lgkmcnt(0)
	v_mul_f32_e32 v69, v70, v69
	buffer_store_dword v69, off, s[0:3], 0 offset:28
.LBB94_226:
	s_or_b64 exec, exec, s[8:9]
	buffer_load_dword v69, off, s[0:3], 0 offset:24
	v_cmp_lt_u32_e64 s[4:5], 6, v0
	s_waitcnt vmcnt(0)
	ds_write_b32 v64, v69
	s_waitcnt lgkmcnt(0)
	; wave barrier
	s_waitcnt lgkmcnt(0)
	s_and_saveexec_b64 s[8:9], s[4:5]
	s_cbranch_execz .LBB94_236
; %bb.227:
	s_andn2_b64 vcc, exec, s[10:11]
	s_cbranch_vccnz .LBB94_229
; %bb.228:
	buffer_load_dword v69, v65, s[0:3], 0 offen
	ds_read_b32 v70, v64
	s_waitcnt vmcnt(0) lgkmcnt(0)
	v_mul_f32_e32 v69, v69, v70
	s_cbranch_execz .LBB94_230
	s_branch .LBB94_231
.LBB94_229:
                                        ; implicit-def: $vgpr69
.LBB94_230:
	ds_read_b32 v69, v64
.LBB94_231:
	s_and_saveexec_b64 s[12:13], s[6:7]
	s_cbranch_execz .LBB94_235
; %bb.232:
	v_mov_b32_e32 v70, 0
	v_add_u32_e32 v70, 28, v70
	v_add_u32_e32 v71, -7, v0
	s_movk_i32 s14, 0x9c
	s_mov_b64 s[6:7], 0
.LBB94_233:                             ; =>This Inner Loop Header: Depth=1
	buffer_load_dword v72, v70, s[0:3], 0 offen
	v_mov_b32_e32 v73, s14
	ds_read_b32 v73, v73
	v_add_u32_e32 v71, -1, v71
	s_add_i32 s14, s14, 4
	v_cmp_eq_u32_e32 vcc, 0, v71
	v_add_u32_e32 v70, 4, v70
	s_or_b64 s[6:7], vcc, s[6:7]
	s_waitcnt vmcnt(0) lgkmcnt(0)
	v_fmac_f32_e32 v69, v72, v73
	s_andn2_b64 exec, exec, s[6:7]
	s_cbranch_execnz .LBB94_233
; %bb.234:
	s_or_b64 exec, exec, s[6:7]
.LBB94_235:
	s_or_b64 exec, exec, s[12:13]
	v_mov_b32_e32 v70, 0
	ds_read_b32 v70, v70 offset:24
	s_waitcnt lgkmcnt(0)
	v_mul_f32_e32 v69, v69, v70
	buffer_store_dword v69, off, s[0:3], 0 offset:24
.LBB94_236:
	s_or_b64 exec, exec, s[8:9]
	buffer_load_dword v69, off, s[0:3], 0 offset:20
	v_cmp_lt_u32_e64 s[6:7], 5, v0
	s_waitcnt vmcnt(0)
	ds_write_b32 v64, v69
	s_waitcnt lgkmcnt(0)
	; wave barrier
	s_waitcnt lgkmcnt(0)
	s_and_saveexec_b64 s[8:9], s[6:7]
	s_cbranch_execz .LBB94_246
; %bb.237:
	s_andn2_b64 vcc, exec, s[10:11]
	s_cbranch_vccnz .LBB94_239
; %bb.238:
	buffer_load_dword v69, v65, s[0:3], 0 offen
	ds_read_b32 v70, v64
	s_waitcnt vmcnt(0) lgkmcnt(0)
	v_mul_f32_e32 v69, v69, v70
	s_cbranch_execz .LBB94_240
	s_branch .LBB94_241
.LBB94_239:
                                        ; implicit-def: $vgpr69
.LBB94_240:
	ds_read_b32 v69, v64
.LBB94_241:
	s_and_saveexec_b64 s[12:13], s[4:5]
	s_cbranch_execz .LBB94_245
; %bb.242:
	v_add_u32_e32 v70, -6, v0
	s_movk_i32 s14, 0x98
	s_mov_b64 s[4:5], 0
.LBB94_243:                             ; =>This Inner Loop Header: Depth=1
	buffer_load_dword v71, v68, s[0:3], 0 offen
	v_mov_b32_e32 v72, s14
	ds_read_b32 v72, v72
	v_add_u32_e32 v70, -1, v70
	s_add_i32 s14, s14, 4
	v_cmp_eq_u32_e32 vcc, 0, v70
	v_add_u32_e32 v68, 4, v68
	s_or_b64 s[4:5], vcc, s[4:5]
	s_waitcnt vmcnt(0) lgkmcnt(0)
	v_fmac_f32_e32 v69, v71, v72
	s_andn2_b64 exec, exec, s[4:5]
	s_cbranch_execnz .LBB94_243
; %bb.244:
	s_or_b64 exec, exec, s[4:5]
.LBB94_245:
	s_or_b64 exec, exec, s[12:13]
	v_mov_b32_e32 v68, 0
	ds_read_b32 v68, v68 offset:20
	s_waitcnt lgkmcnt(0)
	v_mul_f32_e32 v68, v69, v68
	buffer_store_dword v68, off, s[0:3], 0 offset:20
.LBB94_246:
	s_or_b64 exec, exec, s[8:9]
	buffer_load_dword v68, off, s[0:3], 0 offset:16
	v_cmp_lt_u32_e64 s[4:5], 4, v0
	s_waitcnt vmcnt(0)
	ds_write_b32 v64, v68
	s_waitcnt lgkmcnt(0)
	; wave barrier
	s_waitcnt lgkmcnt(0)
	s_and_saveexec_b64 s[8:9], s[4:5]
	s_cbranch_execz .LBB94_256
; %bb.247:
	s_andn2_b64 vcc, exec, s[10:11]
	s_cbranch_vccnz .LBB94_249
; %bb.248:
	buffer_load_dword v68, v65, s[0:3], 0 offen
	ds_read_b32 v69, v64
	s_waitcnt vmcnt(0) lgkmcnt(0)
	v_mul_f32_e32 v68, v68, v69
	s_cbranch_execz .LBB94_250
	s_branch .LBB94_251
.LBB94_249:
                                        ; implicit-def: $vgpr68
.LBB94_250:
	ds_read_b32 v68, v64
.LBB94_251:
	s_and_saveexec_b64 s[12:13], s[6:7]
	s_cbranch_execz .LBB94_255
; %bb.252:
	v_mov_b32_e32 v69, 0
	v_add_u32_e32 v69, 20, v69
	v_add_u32_e32 v70, -5, v0
	s_movk_i32 s14, 0x94
	s_mov_b64 s[6:7], 0
.LBB94_253:                             ; =>This Inner Loop Header: Depth=1
	buffer_load_dword v71, v69, s[0:3], 0 offen
	v_mov_b32_e32 v72, s14
	ds_read_b32 v72, v72
	v_add_u32_e32 v70, -1, v70
	s_add_i32 s14, s14, 4
	v_cmp_eq_u32_e32 vcc, 0, v70
	v_add_u32_e32 v69, 4, v69
	s_or_b64 s[6:7], vcc, s[6:7]
	s_waitcnt vmcnt(0) lgkmcnt(0)
	v_fmac_f32_e32 v68, v71, v72
	s_andn2_b64 exec, exec, s[6:7]
	s_cbranch_execnz .LBB94_253
; %bb.254:
	s_or_b64 exec, exec, s[6:7]
.LBB94_255:
	s_or_b64 exec, exec, s[12:13]
	v_mov_b32_e32 v69, 0
	ds_read_b32 v69, v69 offset:16
	s_waitcnt lgkmcnt(0)
	v_mul_f32_e32 v68, v68, v69
	buffer_store_dword v68, off, s[0:3], 0 offset:16
.LBB94_256:
	s_or_b64 exec, exec, s[8:9]
	buffer_load_dword v68, off, s[0:3], 0 offset:12
	v_cmp_lt_u32_e64 s[6:7], 3, v0
	s_waitcnt vmcnt(0)
	ds_write_b32 v64, v68
	s_waitcnt lgkmcnt(0)
	; wave barrier
	s_waitcnt lgkmcnt(0)
	s_and_saveexec_b64 s[8:9], s[6:7]
	s_cbranch_execz .LBB94_266
; %bb.257:
	s_andn2_b64 vcc, exec, s[10:11]
	s_cbranch_vccnz .LBB94_259
; %bb.258:
	buffer_load_dword v68, v65, s[0:3], 0 offen
	ds_read_b32 v69, v64
	s_waitcnt vmcnt(0) lgkmcnt(0)
	v_mul_f32_e32 v68, v68, v69
	s_cbranch_execz .LBB94_260
	s_branch .LBB94_261
.LBB94_259:
                                        ; implicit-def: $vgpr68
.LBB94_260:
	ds_read_b32 v68, v64
.LBB94_261:
	s_and_saveexec_b64 s[12:13], s[4:5]
	s_cbranch_execz .LBB94_265
; %bb.262:
	v_add_u32_e32 v69, -4, v0
	s_movk_i32 s14, 0x90
	s_mov_b64 s[4:5], 0
.LBB94_263:                             ; =>This Inner Loop Header: Depth=1
	buffer_load_dword v70, v67, s[0:3], 0 offen
	v_mov_b32_e32 v71, s14
	ds_read_b32 v71, v71
	v_add_u32_e32 v69, -1, v69
	s_add_i32 s14, s14, 4
	v_cmp_eq_u32_e32 vcc, 0, v69
	v_add_u32_e32 v67, 4, v67
	s_or_b64 s[4:5], vcc, s[4:5]
	s_waitcnt vmcnt(0) lgkmcnt(0)
	v_fmac_f32_e32 v68, v70, v71
	s_andn2_b64 exec, exec, s[4:5]
	s_cbranch_execnz .LBB94_263
; %bb.264:
	s_or_b64 exec, exec, s[4:5]
.LBB94_265:
	s_or_b64 exec, exec, s[12:13]
	v_mov_b32_e32 v67, 0
	ds_read_b32 v67, v67 offset:12
	s_waitcnt lgkmcnt(0)
	v_mul_f32_e32 v67, v68, v67
	buffer_store_dword v67, off, s[0:3], 0 offset:12
.LBB94_266:
	s_or_b64 exec, exec, s[8:9]
	buffer_load_dword v67, off, s[0:3], 0 offset:8
	v_cmp_lt_u32_e64 s[4:5], 2, v0
	s_waitcnt vmcnt(0)
	ds_write_b32 v64, v67
	s_waitcnt lgkmcnt(0)
	; wave barrier
	s_waitcnt lgkmcnt(0)
	s_and_saveexec_b64 s[8:9], s[4:5]
	s_cbranch_execz .LBB94_276
; %bb.267:
	s_andn2_b64 vcc, exec, s[10:11]
	s_cbranch_vccnz .LBB94_269
; %bb.268:
	buffer_load_dword v67, v65, s[0:3], 0 offen
	ds_read_b32 v68, v64
	s_waitcnt vmcnt(0) lgkmcnt(0)
	v_mul_f32_e32 v67, v67, v68
	s_cbranch_execz .LBB94_270
	s_branch .LBB94_271
.LBB94_269:
                                        ; implicit-def: $vgpr67
.LBB94_270:
	ds_read_b32 v67, v64
.LBB94_271:
	s_and_saveexec_b64 s[12:13], s[6:7]
	s_cbranch_execz .LBB94_275
; %bb.272:
	v_mov_b32_e32 v68, 0
	v_or_b32_e32 v68, 12, v68
	v_add_u32_e32 v69, -3, v0
	s_movk_i32 s14, 0x8c
	s_mov_b64 s[6:7], 0
.LBB94_273:                             ; =>This Inner Loop Header: Depth=1
	buffer_load_dword v70, v68, s[0:3], 0 offen
	v_mov_b32_e32 v71, s14
	ds_read_b32 v71, v71
	v_add_u32_e32 v69, -1, v69
	s_add_i32 s14, s14, 4
	v_cmp_eq_u32_e32 vcc, 0, v69
	v_add_u32_e32 v68, 4, v68
	s_or_b64 s[6:7], vcc, s[6:7]
	s_waitcnt vmcnt(0) lgkmcnt(0)
	v_fmac_f32_e32 v67, v70, v71
	s_andn2_b64 exec, exec, s[6:7]
	s_cbranch_execnz .LBB94_273
; %bb.274:
	s_or_b64 exec, exec, s[6:7]
.LBB94_275:
	s_or_b64 exec, exec, s[12:13]
	v_mov_b32_e32 v68, 0
	ds_read_b32 v68, v68 offset:8
	s_waitcnt lgkmcnt(0)
	v_mul_f32_e32 v67, v67, v68
	buffer_store_dword v67, off, s[0:3], 0 offset:8
.LBB94_276:
	s_or_b64 exec, exec, s[8:9]
	buffer_load_dword v67, off, s[0:3], 0 offset:4
	v_cmp_lt_u32_e64 s[6:7], 1, v0
	s_waitcnt vmcnt(0)
	ds_write_b32 v64, v67
	s_waitcnt lgkmcnt(0)
	; wave barrier
	s_waitcnt lgkmcnt(0)
	s_and_saveexec_b64 s[8:9], s[6:7]
	s_cbranch_execz .LBB94_286
; %bb.277:
	s_andn2_b64 vcc, exec, s[10:11]
	s_cbranch_vccnz .LBB94_279
; %bb.278:
	buffer_load_dword v67, v65, s[0:3], 0 offen
	ds_read_b32 v68, v64
	s_waitcnt vmcnt(0) lgkmcnt(0)
	v_mul_f32_e32 v67, v67, v68
	s_cbranch_execz .LBB94_280
	s_branch .LBB94_281
.LBB94_279:
                                        ; implicit-def: $vgpr67
.LBB94_280:
	ds_read_b32 v67, v64
.LBB94_281:
	s_and_saveexec_b64 s[12:13], s[4:5]
	s_cbranch_execz .LBB94_285
; %bb.282:
	v_add_u32_e32 v68, -2, v0
	s_movk_i32 s14, 0x88
	s_mov_b64 s[4:5], 0
.LBB94_283:                             ; =>This Inner Loop Header: Depth=1
	buffer_load_dword v69, v66, s[0:3], 0 offen
	v_mov_b32_e32 v70, s14
	ds_read_b32 v70, v70
	v_add_u32_e32 v68, -1, v68
	s_add_i32 s14, s14, 4
	v_cmp_eq_u32_e32 vcc, 0, v68
	v_add_u32_e32 v66, 4, v66
	s_or_b64 s[4:5], vcc, s[4:5]
	s_waitcnt vmcnt(0) lgkmcnt(0)
	v_fmac_f32_e32 v67, v69, v70
	s_andn2_b64 exec, exec, s[4:5]
	s_cbranch_execnz .LBB94_283
; %bb.284:
	s_or_b64 exec, exec, s[4:5]
.LBB94_285:
	s_or_b64 exec, exec, s[12:13]
	v_mov_b32_e32 v66, 0
	ds_read_b32 v66, v66 offset:4
	s_waitcnt lgkmcnt(0)
	v_mul_f32_e32 v66, v67, v66
	buffer_store_dword v66, off, s[0:3], 0 offset:4
.LBB94_286:
	s_or_b64 exec, exec, s[8:9]
	buffer_load_dword v66, off, s[0:3], 0
	v_cmp_ne_u32_e32 vcc, 0, v0
	s_waitcnt vmcnt(0)
	ds_write_b32 v64, v66
	s_waitcnt lgkmcnt(0)
	; wave barrier
	s_waitcnt lgkmcnt(0)
	s_and_saveexec_b64 s[4:5], vcc
	s_cbranch_execz .LBB94_296
; %bb.287:
	s_andn2_b64 vcc, exec, s[10:11]
	s_cbranch_vccnz .LBB94_289
; %bb.288:
	buffer_load_dword v66, v65, s[0:3], 0 offen
	ds_read_b32 v67, v64
	s_waitcnt vmcnt(0) lgkmcnt(0)
	v_mul_f32_e32 v66, v66, v67
	s_cbranch_execz .LBB94_290
	s_branch .LBB94_291
.LBB94_289:
                                        ; implicit-def: $vgpr66
.LBB94_290:
	ds_read_b32 v66, v64
.LBB94_291:
	s_and_saveexec_b64 s[8:9], s[6:7]
	s_cbranch_execz .LBB94_295
; %bb.292:
	v_mov_b32_e32 v67, 0
	v_or_b32_e32 v67, 4, v67
	v_add_u32_e32 v68, -1, v0
	s_movk_i32 s12, 0x84
	s_mov_b64 s[6:7], 0
.LBB94_293:                             ; =>This Inner Loop Header: Depth=1
	buffer_load_dword v69, v67, s[0:3], 0 offen
	v_mov_b32_e32 v70, s12
	ds_read_b32 v70, v70
	v_add_u32_e32 v68, -1, v68
	s_add_i32 s12, s12, 4
	v_cmp_eq_u32_e32 vcc, 0, v68
	v_add_u32_e32 v67, 4, v67
	s_or_b64 s[6:7], vcc, s[6:7]
	s_waitcnt vmcnt(0) lgkmcnt(0)
	v_fmac_f32_e32 v66, v69, v70
	s_andn2_b64 exec, exec, s[6:7]
	s_cbranch_execnz .LBB94_293
; %bb.294:
	s_or_b64 exec, exec, s[6:7]
.LBB94_295:
	s_or_b64 exec, exec, s[8:9]
	v_mov_b32_e32 v67, 0
	ds_read_b32 v67, v67
	s_waitcnt lgkmcnt(0)
	v_mul_f32_e32 v66, v66, v67
	buffer_store_dword v66, off, s[0:3], 0
.LBB94_296:
	s_or_b64 exec, exec, s[4:5]
	s_mov_b64 s[4:5], 0
.LBB94_297:
	s_and_b64 vcc, exec, s[4:5]
	s_cbranch_vccz .LBB94_591
; %bb.298:
	buffer_load_dword v66, off, s[0:3], 0 offset:4
	v_cmp_eq_u32_e64 s[6:7], 0, v0
	s_waitcnt vmcnt(0)
	ds_write_b32 v64, v66
	s_waitcnt lgkmcnt(0)
	; wave barrier
	s_waitcnt lgkmcnt(0)
	s_and_saveexec_b64 s[4:5], s[6:7]
	s_cbranch_execz .LBB94_304
; %bb.299:
	s_and_b64 vcc, exec, s[10:11]
	s_cbranch_vccz .LBB94_301
; %bb.300:
	buffer_load_dword v66, v65, s[0:3], 0 offen
	ds_read_b32 v67, v64
	s_waitcnt vmcnt(0) lgkmcnt(0)
	v_mul_f32_e32 v66, v66, v67
	s_cbranch_execz .LBB94_302
	s_branch .LBB94_303
.LBB94_301:
                                        ; implicit-def: $vgpr66
.LBB94_302:
	ds_read_b32 v66, v64
.LBB94_303:
	v_mov_b32_e32 v67, 0
	ds_read_b32 v67, v67 offset:4
	s_waitcnt lgkmcnt(0)
	v_mul_f32_e32 v66, v66, v67
	buffer_store_dword v66, off, s[0:3], 0 offset:4
.LBB94_304:
	s_or_b64 exec, exec, s[4:5]
	buffer_load_dword v66, off, s[0:3], 0 offset:8
	v_cndmask_b32_e64 v67, 0, 1, s[10:11]
	v_cmp_gt_u32_e32 vcc, 2, v0
	v_cmp_ne_u32_e64 s[4:5], 1, v67
	s_waitcnt vmcnt(0)
	ds_write_b32 v64, v66
	s_waitcnt lgkmcnt(0)
	; wave barrier
	s_waitcnt lgkmcnt(0)
	s_and_saveexec_b64 s[8:9], vcc
	s_cbranch_execz .LBB94_312
; %bb.305:
	s_and_b64 vcc, exec, s[4:5]
	s_cbranch_vccnz .LBB94_307
; %bb.306:
	buffer_load_dword v66, v65, s[0:3], 0 offen
	ds_read_b32 v67, v64
	s_waitcnt vmcnt(0) lgkmcnt(0)
	v_mul_f32_e32 v66, v66, v67
	s_cbranch_execz .LBB94_308
	s_branch .LBB94_309
.LBB94_307:
                                        ; implicit-def: $vgpr66
.LBB94_308:
	ds_read_b32 v66, v64
.LBB94_309:
	s_and_saveexec_b64 s[10:11], s[6:7]
	s_cbranch_execz .LBB94_311
; %bb.310:
	buffer_load_dword v67, v65, s[0:3], 0 offen offset:4
	ds_read_b32 v68, v64 offset:4
	s_waitcnt vmcnt(0) lgkmcnt(0)
	v_fmac_f32_e32 v66, v67, v68
.LBB94_311:
	s_or_b64 exec, exec, s[10:11]
	v_mov_b32_e32 v67, 0
	ds_read_b32 v67, v67 offset:8
	s_waitcnt lgkmcnt(0)
	v_mul_f32_e32 v66, v66, v67
	buffer_store_dword v66, off, s[0:3], 0 offset:8
.LBB94_312:
	s_or_b64 exec, exec, s[8:9]
	buffer_load_dword v66, off, s[0:3], 0 offset:12
	v_cmp_gt_u32_e32 vcc, 3, v0
	s_waitcnt vmcnt(0)
	ds_write_b32 v64, v66
	s_waitcnt lgkmcnt(0)
	; wave barrier
	s_waitcnt lgkmcnt(0)
	s_and_saveexec_b64 s[8:9], vcc
	s_cbranch_execz .LBB94_320
; %bb.313:
	s_and_b64 vcc, exec, s[4:5]
	s_cbranch_vccnz .LBB94_315
; %bb.314:
	buffer_load_dword v66, v65, s[0:3], 0 offen
	ds_read_b32 v67, v64
	s_waitcnt vmcnt(0) lgkmcnt(0)
	v_mul_f32_e32 v66, v66, v67
	s_cbranch_execz .LBB94_316
	s_branch .LBB94_317
.LBB94_315:
                                        ; implicit-def: $vgpr66
.LBB94_316:
	ds_read_b32 v66, v64
.LBB94_317:
	v_cmp_ne_u32_e32 vcc, 2, v0
	s_and_saveexec_b64 s[10:11], vcc
	s_cbranch_execz .LBB94_319
; %bb.318:
	buffer_load_dword v67, v65, s[0:3], 0 offen offset:4
	buffer_load_dword v68, off, s[0:3], 0 offset:8
	v_mov_b32_e32 v69, 0
	ds_read_b32 v70, v64 offset:4
	ds_read_b32 v69, v69 offset:136
	s_waitcnt vmcnt(1) lgkmcnt(1)
	v_fmac_f32_e32 v66, v67, v70
	s_waitcnt vmcnt(0) lgkmcnt(0)
	v_fma_f32 v67, v68, v69, v66
	v_cndmask_b32_e64 v66, v66, v67, s[6:7]
.LBB94_319:
	s_or_b64 exec, exec, s[10:11]
	v_mov_b32_e32 v67, 0
	ds_read_b32 v67, v67 offset:12
	s_waitcnt lgkmcnt(0)
	v_mul_f32_e32 v66, v66, v67
	buffer_store_dword v66, off, s[0:3], 0 offset:12
.LBB94_320:
	s_or_b64 exec, exec, s[8:9]
	buffer_load_dword v66, off, s[0:3], 0 offset:16
	v_cmp_gt_u32_e32 vcc, 4, v0
	s_waitcnt vmcnt(0)
	ds_write_b32 v64, v66
	s_waitcnt lgkmcnt(0)
	; wave barrier
	s_waitcnt lgkmcnt(0)
	s_and_saveexec_b64 s[6:7], vcc
	s_cbranch_execz .LBB94_330
; %bb.321:
	s_and_b64 vcc, exec, s[4:5]
	s_cbranch_vccnz .LBB94_323
; %bb.322:
	buffer_load_dword v66, v65, s[0:3], 0 offen
	ds_read_b32 v67, v64
	s_waitcnt vmcnt(0) lgkmcnt(0)
	v_mul_f32_e32 v66, v66, v67
	s_cbranch_execz .LBB94_324
	s_branch .LBB94_325
.LBB94_323:
                                        ; implicit-def: $vgpr66
.LBB94_324:
	ds_read_b32 v66, v64
.LBB94_325:
	v_cmp_ne_u32_e32 vcc, 3, v0
	s_and_saveexec_b64 s[8:9], vcc
	s_cbranch_execz .LBB94_329
; %bb.326:
	v_mov_b32_e32 v68, 0
	v_add_u32_e32 v67, 0x84, v1
	v_add3_u32 v68, v1, v68, 4
	s_mov_b64 s[10:11], 0
	v_mov_b32_e32 v69, v0
.LBB94_327:                             ; =>This Inner Loop Header: Depth=1
	buffer_load_dword v70, v68, s[0:3], 0 offen
	ds_read_b32 v71, v67
	v_add_u32_e32 v69, 1, v69
	v_cmp_lt_u32_e32 vcc, 2, v69
	v_add_u32_e32 v67, 4, v67
	v_add_u32_e32 v68, 4, v68
	s_or_b64 s[10:11], vcc, s[10:11]
	s_waitcnt vmcnt(0) lgkmcnt(0)
	v_fmac_f32_e32 v66, v70, v71
	s_andn2_b64 exec, exec, s[10:11]
	s_cbranch_execnz .LBB94_327
; %bb.328:
	s_or_b64 exec, exec, s[10:11]
.LBB94_329:
	s_or_b64 exec, exec, s[8:9]
	v_mov_b32_e32 v67, 0
	ds_read_b32 v67, v67 offset:16
	s_waitcnt lgkmcnt(0)
	v_mul_f32_e32 v66, v66, v67
	buffer_store_dword v66, off, s[0:3], 0 offset:16
.LBB94_330:
	s_or_b64 exec, exec, s[6:7]
	buffer_load_dword v66, off, s[0:3], 0 offset:20
	v_cmp_gt_u32_e32 vcc, 5, v0
	s_waitcnt vmcnt(0)
	ds_write_b32 v64, v66
	s_waitcnt lgkmcnt(0)
	; wave barrier
	s_waitcnt lgkmcnt(0)
	s_and_saveexec_b64 s[6:7], vcc
	s_cbranch_execz .LBB94_340
; %bb.331:
	s_and_b64 vcc, exec, s[4:5]
	s_cbranch_vccnz .LBB94_333
; %bb.332:
	buffer_load_dword v66, v65, s[0:3], 0 offen
	ds_read_b32 v67, v64
	s_waitcnt vmcnt(0) lgkmcnt(0)
	v_mul_f32_e32 v66, v66, v67
	s_cbranch_execz .LBB94_334
	s_branch .LBB94_335
.LBB94_333:
                                        ; implicit-def: $vgpr66
.LBB94_334:
	ds_read_b32 v66, v64
.LBB94_335:
	v_cmp_ne_u32_e32 vcc, 4, v0
	s_and_saveexec_b64 s[8:9], vcc
	s_cbranch_execz .LBB94_339
; %bb.336:
	v_mov_b32_e32 v68, 0
	v_add_u32_e32 v67, 0x84, v1
	v_add3_u32 v68, v1, v68, 4
	s_mov_b64 s[10:11], 0
	v_mov_b32_e32 v69, v0
.LBB94_337:                             ; =>This Inner Loop Header: Depth=1
	buffer_load_dword v70, v68, s[0:3], 0 offen
	ds_read_b32 v71, v67
	v_add_u32_e32 v69, 1, v69
	v_cmp_lt_u32_e32 vcc, 3, v69
	v_add_u32_e32 v67, 4, v67
	v_add_u32_e32 v68, 4, v68
	s_or_b64 s[10:11], vcc, s[10:11]
	s_waitcnt vmcnt(0) lgkmcnt(0)
	v_fmac_f32_e32 v66, v70, v71
	s_andn2_b64 exec, exec, s[10:11]
	s_cbranch_execnz .LBB94_337
; %bb.338:
	s_or_b64 exec, exec, s[10:11]
.LBB94_339:
	s_or_b64 exec, exec, s[8:9]
	v_mov_b32_e32 v67, 0
	ds_read_b32 v67, v67 offset:20
	s_waitcnt lgkmcnt(0)
	v_mul_f32_e32 v66, v66, v67
	buffer_store_dword v66, off, s[0:3], 0 offset:20
.LBB94_340:
	;; [unrolled: 56-line block ×25, first 2 shown]
	s_or_b64 exec, exec, s[6:7]
	buffer_load_dword v66, off, s[0:3], 0 offset:116
	v_cmp_gt_u32_e64 s[6:7], 29, v0
	s_waitcnt vmcnt(0)
	ds_write_b32 v64, v66
	s_waitcnt lgkmcnt(0)
	; wave barrier
	s_waitcnt lgkmcnt(0)
	s_and_saveexec_b64 s[8:9], s[6:7]
	s_cbranch_execz .LBB94_580
; %bb.571:
	s_and_b64 vcc, exec, s[4:5]
	s_cbranch_vccnz .LBB94_573
; %bb.572:
	buffer_load_dword v66, v65, s[0:3], 0 offen
	ds_read_b32 v67, v64
	s_waitcnt vmcnt(0) lgkmcnt(0)
	v_mul_f32_e32 v66, v66, v67
	s_cbranch_execz .LBB94_574
	s_branch .LBB94_575
.LBB94_573:
                                        ; implicit-def: $vgpr66
.LBB94_574:
	ds_read_b32 v66, v64
.LBB94_575:
	v_cmp_ne_u32_e32 vcc, 28, v0
	s_and_saveexec_b64 s[10:11], vcc
	s_cbranch_execz .LBB94_579
; %bb.576:
	v_mov_b32_e32 v68, 0
	v_add_u32_e32 v67, 0x84, v1
	v_add3_u32 v68, v1, v68, 4
	s_mov_b64 s[12:13], 0
	v_mov_b32_e32 v69, v0
.LBB94_577:                             ; =>This Inner Loop Header: Depth=1
	buffer_load_dword v70, v68, s[0:3], 0 offen
	ds_read_b32 v71, v67
	v_add_u32_e32 v69, 1, v69
	v_cmp_lt_u32_e32 vcc, 27, v69
	v_add_u32_e32 v67, 4, v67
	v_add_u32_e32 v68, 4, v68
	s_or_b64 s[12:13], vcc, s[12:13]
	s_waitcnt vmcnt(0) lgkmcnt(0)
	v_fmac_f32_e32 v66, v70, v71
	s_andn2_b64 exec, exec, s[12:13]
	s_cbranch_execnz .LBB94_577
; %bb.578:
	s_or_b64 exec, exec, s[12:13]
.LBB94_579:
	s_or_b64 exec, exec, s[10:11]
	v_mov_b32_e32 v67, 0
	ds_read_b32 v67, v67 offset:116
	s_waitcnt lgkmcnt(0)
	v_mul_f32_e32 v66, v66, v67
	buffer_store_dword v66, off, s[0:3], 0 offset:116
.LBB94_580:
	s_or_b64 exec, exec, s[8:9]
	buffer_load_dword v66, off, s[0:3], 0 offset:120
	v_cmp_ne_u32_e32 vcc, 30, v0
	s_waitcnt vmcnt(0)
	ds_write_b32 v64, v66
	s_waitcnt lgkmcnt(0)
	; wave barrier
	s_waitcnt lgkmcnt(0)
	s_and_saveexec_b64 s[8:9], vcc
	s_cbranch_execz .LBB94_590
; %bb.581:
	s_and_b64 vcc, exec, s[4:5]
	s_cbranch_vccnz .LBB94_583
; %bb.582:
	buffer_load_dword v65, v65, s[0:3], 0 offen
	ds_read_b32 v66, v64
	s_waitcnt vmcnt(0) lgkmcnt(0)
	v_mul_f32_e32 v65, v65, v66
	s_cbranch_execz .LBB94_584
	s_branch .LBB94_585
.LBB94_583:
                                        ; implicit-def: $vgpr65
.LBB94_584:
	ds_read_b32 v65, v64
.LBB94_585:
	s_and_saveexec_b64 s[4:5], s[6:7]
	s_cbranch_execz .LBB94_589
; %bb.586:
	v_mov_b32_e32 v66, 0
	v_add_u32_e32 v64, 0x84, v1
	v_add3_u32 v1, v1, v66, 4
	s_mov_b64 s[6:7], 0
.LBB94_587:                             ; =>This Inner Loop Header: Depth=1
	buffer_load_dword v66, v1, s[0:3], 0 offen
	ds_read_b32 v67, v64
	v_add_u32_e32 v0, 1, v0
	v_cmp_lt_u32_e32 vcc, 28, v0
	v_add_u32_e32 v64, 4, v64
	v_add_u32_e32 v1, 4, v1
	s_or_b64 s[6:7], vcc, s[6:7]
	s_waitcnt vmcnt(0) lgkmcnt(0)
	v_fmac_f32_e32 v65, v66, v67
	s_andn2_b64 exec, exec, s[6:7]
	s_cbranch_execnz .LBB94_587
; %bb.588:
	s_or_b64 exec, exec, s[6:7]
.LBB94_589:
	s_or_b64 exec, exec, s[4:5]
	v_mov_b32_e32 v0, 0
	ds_read_b32 v0, v0 offset:120
	s_waitcnt lgkmcnt(0)
	v_mul_f32_e32 v0, v65, v0
	buffer_store_dword v0, off, s[0:3], 0 offset:120
.LBB94_590:
	s_or_b64 exec, exec, s[8:9]
.LBB94_591:
	buffer_load_dword v0, off, s[0:3], 0
	buffer_load_dword v1, off, s[0:3], 0 offset:4
	buffer_load_dword v64, off, s[0:3], 0 offset:8
	;; [unrolled: 1-line block ×23, first 2 shown]
	s_waitcnt vmcnt(23)
	global_store_dword v[54:55], v0, off
	buffer_load_dword v0, off, s[0:3], 0 offset:96
	s_nop 0
	buffer_load_dword v54, off, s[0:3], 0 offset:100
	buffer_load_dword v55, off, s[0:3], 0 offset:104
	buffer_load_dword v86, off, s[0:3], 0 offset:108
	buffer_load_dword v87, off, s[0:3], 0 offset:112
	buffer_load_dword v88, off, s[0:3], 0 offset:116
	buffer_load_dword v89, off, s[0:3], 0 offset:120
	s_waitcnt vmcnt(30)
	global_store_dword v[52:53], v1, off
	s_waitcnt vmcnt(30)
	global_store_dword v[2:3], v64, off
	;; [unrolled: 2-line block ×30, first 2 shown]
.LBB94_592:
	s_endpgm
	.section	.rodata,"a",@progbits
	.p2align	6, 0x0
	.amdhsa_kernel _ZN9rocsolver6v33100L18trti2_kernel_smallILi31EfPKPfEEv13rocblas_fill_17rocblas_diagonal_T1_iil
		.amdhsa_group_segment_fixed_size 252
		.amdhsa_private_segment_fixed_size 128
		.amdhsa_kernarg_size 32
		.amdhsa_user_sgpr_count 8
		.amdhsa_user_sgpr_private_segment_buffer 1
		.amdhsa_user_sgpr_dispatch_ptr 0
		.amdhsa_user_sgpr_queue_ptr 0
		.amdhsa_user_sgpr_kernarg_segment_ptr 1
		.amdhsa_user_sgpr_dispatch_id 0
		.amdhsa_user_sgpr_flat_scratch_init 1
		.amdhsa_user_sgpr_kernarg_preload_length 0
		.amdhsa_user_sgpr_kernarg_preload_offset 0
		.amdhsa_user_sgpr_private_segment_size 0
		.amdhsa_uses_dynamic_stack 0
		.amdhsa_system_sgpr_private_segment_wavefront_offset 1
		.amdhsa_system_sgpr_workgroup_id_x 1
		.amdhsa_system_sgpr_workgroup_id_y 0
		.amdhsa_system_sgpr_workgroup_id_z 0
		.amdhsa_system_sgpr_workgroup_info 0
		.amdhsa_system_vgpr_workitem_id 0
		.amdhsa_next_free_vgpr 92
		.amdhsa_next_free_sgpr 16
		.amdhsa_accum_offset 92
		.amdhsa_reserve_vcc 1
		.amdhsa_reserve_flat_scratch 0
		.amdhsa_float_round_mode_32 0
		.amdhsa_float_round_mode_16_64 0
		.amdhsa_float_denorm_mode_32 3
		.amdhsa_float_denorm_mode_16_64 3
		.amdhsa_dx10_clamp 1
		.amdhsa_ieee_mode 1
		.amdhsa_fp16_overflow 0
		.amdhsa_tg_split 0
		.amdhsa_exception_fp_ieee_invalid_op 0
		.amdhsa_exception_fp_denorm_src 0
		.amdhsa_exception_fp_ieee_div_zero 0
		.amdhsa_exception_fp_ieee_overflow 0
		.amdhsa_exception_fp_ieee_underflow 0
		.amdhsa_exception_fp_ieee_inexact 0
		.amdhsa_exception_int_div_zero 0
	.end_amdhsa_kernel
	.section	.text._ZN9rocsolver6v33100L18trti2_kernel_smallILi31EfPKPfEEv13rocblas_fill_17rocblas_diagonal_T1_iil,"axG",@progbits,_ZN9rocsolver6v33100L18trti2_kernel_smallILi31EfPKPfEEv13rocblas_fill_17rocblas_diagonal_T1_iil,comdat
.Lfunc_end94:
	.size	_ZN9rocsolver6v33100L18trti2_kernel_smallILi31EfPKPfEEv13rocblas_fill_17rocblas_diagonal_T1_iil, .Lfunc_end94-_ZN9rocsolver6v33100L18trti2_kernel_smallILi31EfPKPfEEv13rocblas_fill_17rocblas_diagonal_T1_iil
                                        ; -- End function
	.section	.AMDGPU.csdata,"",@progbits
; Kernel info:
; codeLenInByte = 14992
; NumSgprs: 20
; NumVgprs: 92
; NumAgprs: 0
; TotalNumVgprs: 92
; ScratchSize: 128
; MemoryBound: 0
; FloatMode: 240
; IeeeMode: 1
; LDSByteSize: 252 bytes/workgroup (compile time only)
; SGPRBlocks: 2
; VGPRBlocks: 11
; NumSGPRsForWavesPerEU: 20
; NumVGPRsForWavesPerEU: 92
; AccumOffset: 92
; Occupancy: 5
; WaveLimiterHint : 1
; COMPUTE_PGM_RSRC2:SCRATCH_EN: 1
; COMPUTE_PGM_RSRC2:USER_SGPR: 8
; COMPUTE_PGM_RSRC2:TRAP_HANDLER: 0
; COMPUTE_PGM_RSRC2:TGID_X_EN: 1
; COMPUTE_PGM_RSRC2:TGID_Y_EN: 0
; COMPUTE_PGM_RSRC2:TGID_Z_EN: 0
; COMPUTE_PGM_RSRC2:TIDIG_COMP_CNT: 0
; COMPUTE_PGM_RSRC3_GFX90A:ACCUM_OFFSET: 22
; COMPUTE_PGM_RSRC3_GFX90A:TG_SPLIT: 0
	.section	.text._ZN9rocsolver6v33100L18trti2_kernel_smallILi32EfPKPfEEv13rocblas_fill_17rocblas_diagonal_T1_iil,"axG",@progbits,_ZN9rocsolver6v33100L18trti2_kernel_smallILi32EfPKPfEEv13rocblas_fill_17rocblas_diagonal_T1_iil,comdat
	.globl	_ZN9rocsolver6v33100L18trti2_kernel_smallILi32EfPKPfEEv13rocblas_fill_17rocblas_diagonal_T1_iil ; -- Begin function _ZN9rocsolver6v33100L18trti2_kernel_smallILi32EfPKPfEEv13rocblas_fill_17rocblas_diagonal_T1_iil
	.p2align	8
	.type	_ZN9rocsolver6v33100L18trti2_kernel_smallILi32EfPKPfEEv13rocblas_fill_17rocblas_diagonal_T1_iil,@function
_ZN9rocsolver6v33100L18trti2_kernel_smallILi32EfPKPfEEv13rocblas_fill_17rocblas_diagonal_T1_iil: ; @_ZN9rocsolver6v33100L18trti2_kernel_smallILi32EfPKPfEEv13rocblas_fill_17rocblas_diagonal_T1_iil
; %bb.0:
	s_add_u32 s0, s0, s9
	s_addc_u32 s1, s1, 0
	v_cmp_gt_u32_e32 vcc, 32, v0
	s_and_saveexec_b64 s[6:7], vcc
	s_cbranch_execz .LBB95_612
; %bb.1:
	s_load_dwordx2 s[6:7], s[4:5], 0x10
	s_load_dwordx4 s[12:15], s[4:5], 0x0
	s_ashr_i32 s9, s8, 31
	s_lshl_b64 s[4:5], s[8:9], 3
	s_waitcnt lgkmcnt(0)
	s_ashr_i32 s9, s6, 31
	s_add_u32 s4, s14, s4
	s_addc_u32 s5, s15, s5
	s_load_dwordx2 s[4:5], s[4:5], 0x0
	s_mov_b32 s8, s6
	s_lshl_b64 s[8:9], s[8:9], 2
	s_waitcnt lgkmcnt(0)
	s_add_u32 s4, s4, s8
	s_addc_u32 s5, s5, s9
	s_add_i32 s6, s7, s7
	v_add_u32_e32 v4, s6, v0
	v_ashrrev_i32_e32 v5, 31, v4
	v_lshlrev_b64 v[2:3], 2, v[4:5]
	v_add_u32_e32 v6, s7, v4
	v_mov_b32_e32 v1, s5
	v_add_co_u32_e32 v2, vcc, s4, v2
	v_ashrrev_i32_e32 v7, 31, v6
	v_addc_co_u32_e32 v3, vcc, v1, v3, vcc
	v_lshlrev_b64 v[4:5], 2, v[6:7]
	v_add_u32_e32 v8, s7, v6
	v_add_co_u32_e32 v4, vcc, s4, v4
	v_ashrrev_i32_e32 v9, 31, v8
	v_addc_co_u32_e32 v5, vcc, v1, v5, vcc
	v_lshlrev_b64 v[6:7], 2, v[8:9]
	v_add_u32_e32 v10, s7, v8
	;; [unrolled: 5-line block ×19, first 2 shown]
	v_add_co_u32_e32 v40, vcc, s4, v40
	v_ashrrev_i32_e32 v45, 31, v44
	v_addc_co_u32_e32 v41, vcc, v1, v41, vcc
	v_lshlrev_b64 v[42:43], 2, v[44:45]
	v_add_co_u32_e32 v42, vcc, s4, v42
	v_addc_co_u32_e32 v43, vcc, v1, v43, vcc
	v_lshlrev_b32_e32 v1, 2, v0
	v_add_u32_e32 v46, s7, v44
	v_mov_b32_e32 v44, s5
	v_add_co_u32_e32 v52, vcc, s4, v1
	s_ashr_i32 s9, s7, 31
	s_mov_b32 s8, s7
	v_addc_co_u32_e32 v53, vcc, 0, v44, vcc
	s_lshl_b64 s[8:9], s[8:9], 2
	v_mov_b32_e32 v44, s9
	v_add_co_u32_e32 v56, vcc, s8, v52
	global_load_dword v66, v1, s[4:5]
	v_addc_co_u32_e32 v57, vcc, v53, v44, vcc
	global_load_dword v67, v[56:57], off
	global_load_dword v68, v[2:3], off
	global_load_dword v69, v[4:5], off
	global_load_dword v70, v[6:7], off
	global_load_dword v71, v[8:9], off
	v_ashrrev_i32_e32 v47, 31, v46
	v_lshlrev_b64 v[44:45], 2, v[46:47]
	v_add_u32_e32 v48, s7, v46
	v_mov_b32_e32 v47, s5
	v_add_co_u32_e32 v44, vcc, s4, v44
	v_ashrrev_i32_e32 v49, 31, v48
	v_addc_co_u32_e32 v45, vcc, v47, v45, vcc
	v_lshlrev_b64 v[46:47], 2, v[48:49]
	v_add_u32_e32 v50, s7, v48
	v_mov_b32_e32 v49, s5
	v_add_co_u32_e32 v46, vcc, s4, v46
	v_ashrrev_i32_e32 v51, 31, v50
	v_addc_co_u32_e32 v47, vcc, v49, v47, vcc
	;; [unrolled: 6-line block ×8, first 2 shown]
	v_lshlrev_b64 v[64:65], 2, v[64:65]
	v_add_co_u32_e32 v64, vcc, s4, v64
	v_addc_co_u32_e32 v65, vcc, v72, v65, vcc
	global_load_dword v72, v[64:65], off
	s_cmpk_lg_i32 s13, 0x84
	s_cselect_b64 s[8:9], -1, 0
	s_cmpk_eq_i32 s13, 0x84
	s_waitcnt vmcnt(6)
	buffer_store_dword v66, off, s[0:3], 0
	global_load_dword v66, v[10:11], off
	s_nop 0
	global_load_dword v73, v[12:13], off
	global_load_dword v74, v[14:15], off
	s_waitcnt vmcnt(9)
	buffer_store_dword v67, off, s[0:3], 0 offset:4
	s_waitcnt vmcnt(9)
	buffer_store_dword v68, off, s[0:3], 0 offset:8
	global_load_dword v67, v[16:17], off
	s_nop 0
	global_load_dword v68, v[22:23], off
	global_load_dword v75, v[24:25], off
	;; [unrolled: 1-line block ×7, first 2 shown]
	s_waitcnt vmcnt(17)
	buffer_store_dword v69, off, s[0:3], 0 offset:12
	s_waitcnt vmcnt(17)
	buffer_store_dword v70, off, s[0:3], 0 offset:16
	global_load_dword v69, v[32:33], off
	s_nop 0
	global_load_dword v70, v[34:35], off
	global_load_dword v81, v[36:37], off
	;; [unrolled: 1-line block ×7, first 2 shown]
	s_waitcnt vmcnt(25)
	buffer_store_dword v71, off, s[0:3], 0 offset:20
	global_load_dword v71, v[48:49], off
	s_nop 0
	global_load_dword v87, v[62:63], off
	global_load_dword v88, v[58:59], off
	;; [unrolled: 1-line block ×5, first 2 shown]
	s_waitcnt vmcnt(29)
	buffer_store_dword v66, off, s[0:3], 0 offset:24
	s_waitcnt vmcnt(29)
	buffer_store_dword v73, off, s[0:3], 0 offset:28
	;; [unrolled: 2-line block ×6, first 2 shown]
	buffer_store_dword v68, off, s[0:3], 0 offset:48
	buffer_store_dword v75, off, s[0:3], 0 offset:52
	;; [unrolled: 1-line block ×5, first 2 shown]
	s_waitcnt vmcnt(25)
	buffer_store_dword v69, off, s[0:3], 0 offset:68
	s_waitcnt vmcnt(25)
	buffer_store_dword v70, off, s[0:3], 0 offset:72
	;; [unrolled: 2-line block ×5, first 2 shown]
	buffer_store_dword v83, off, s[0:3], 0 offset:92
	buffer_store_dword v84, off, s[0:3], 0 offset:88
	s_waitcnt vmcnt(23)
	buffer_store_dword v71, off, s[0:3], 0 offset:100
	buffer_store_dword v82, off, s[0:3], 0 offset:96
	s_waitcnt vmcnt(22)
	buffer_store_dword v89, off, s[0:3], 0 offset:108
	s_waitcnt vmcnt(22)
	;; [unrolled: 2-line block ×3, first 2 shown]
	buffer_store_dword v91, off, s[0:3], 0 offset:116
	buffer_store_dword v88, off, s[0:3], 0 offset:112
	;; [unrolled: 1-line block ×4, first 2 shown]
	v_mov_b32_e32 v81, 0
	v_mov_b32_e32 v66, -1.0
	s_cbranch_scc1 .LBB95_3
; %bb.2:
	v_lshl_add_u32 v66, v0, 2, v81
	buffer_load_dword v67, v66, s[0:3], 0 offen
	s_waitcnt vmcnt(0)
	v_div_scale_f32 v68, s[4:5], v67, v67, 1.0
	v_rcp_f32_e32 v69, v68
	v_div_scale_f32 v70, vcc, 1.0, v67, 1.0
	v_fma_f32 v71, -v68, v69, 1.0
	v_fmac_f32_e32 v69, v71, v69
	v_mul_f32_e32 v71, v70, v69
	v_fma_f32 v72, -v68, v71, v70
	v_fmac_f32_e32 v71, v72, v69
	v_fma_f32 v68, -v68, v71, v70
	v_div_fmas_f32 v68, v68, v69, v71
	v_div_fixup_f32 v67, v68, v67, 1.0
	buffer_store_dword v67, v66, s[0:3], 0 offen
	v_xor_b32_e32 v66, 0x80000000, v67
.LBB95_3:
	ds_write_b32 v1, v66
	s_cmpk_eq_i32 s12, 0x79
	v_add_u32_e32 v66, 0x80, v1
	v_add_u32_e32 v67, 0, v1
	s_mov_b64 s[4:5], -1
	s_cbranch_scc1 .LBB95_307
; %bb.4:
	buffer_load_dword v68, off, s[0:3], 0 offset:120
	v_cmp_eq_u32_e64 s[4:5], 31, v0
	s_waitcnt vmcnt(0)
	ds_write_b32 v66, v68
	s_waitcnt lgkmcnt(0)
	; wave barrier
	s_waitcnt lgkmcnt(0)
	s_and_saveexec_b64 s[6:7], s[4:5]
	s_cbranch_execz .LBB95_10
; %bb.5:
	s_and_b64 vcc, exec, s[8:9]
	s_cbranch_vccz .LBB95_7
; %bb.6:
	buffer_load_dword v68, v67, s[0:3], 0 offen
	ds_read_b32 v69, v66
	s_waitcnt vmcnt(0) lgkmcnt(0)
	v_mul_f32_e32 v68, v68, v69
	s_cbranch_execz .LBB95_8
	s_branch .LBB95_9
.LBB95_7:
                                        ; implicit-def: $vgpr68
.LBB95_8:
	ds_read_b32 v68, v66
.LBB95_9:
	v_mov_b32_e32 v69, 0
	ds_read_b32 v69, v69 offset:120
	s_waitcnt lgkmcnt(0)
	v_mul_f32_e32 v68, v68, v69
	buffer_store_dword v68, off, s[0:3], 0 offset:120
.LBB95_10:
	s_or_b64 exec, exec, s[6:7]
	buffer_load_dword v82, off, s[0:3], 0 offset:116
	v_or_b32_e32 v68, 8, v81
	v_add_u32_e32 v69, 16, v81
	v_add_u32_e32 v70, 24, v81
	;; [unrolled: 1-line block ×13, first 2 shown]
	v_cmp_lt_u32_e64 s[6:7], 29, v0
	s_waitcnt vmcnt(0)
	ds_write_b32 v66, v82
	s_waitcnt lgkmcnt(0)
	; wave barrier
	s_waitcnt lgkmcnt(0)
	s_and_saveexec_b64 s[10:11], s[6:7]
	s_cbranch_execz .LBB95_16
; %bb.11:
	s_andn2_b64 vcc, exec, s[8:9]
	s_cbranch_vccnz .LBB95_13
; %bb.12:
	buffer_load_dword v82, v67, s[0:3], 0 offen
	ds_read_b32 v83, v66
	s_waitcnt vmcnt(0) lgkmcnt(0)
	v_mul_f32_e32 v82, v82, v83
	s_cbranch_execz .LBB95_14
	s_branch .LBB95_15
.LBB95_13:
                                        ; implicit-def: $vgpr82
.LBB95_14:
	ds_read_b32 v82, v66
.LBB95_15:
	buffer_load_dword v83, off, s[0:3], 0 offset:120
	v_mov_b32_e32 v84, 0
	ds_read2_b32 v[84:85], v84 offset0:29 offset1:62
	s_waitcnt vmcnt(0) lgkmcnt(0)
	v_fma_f32 v83, v83, v85, v82
	v_cndmask_b32_e64 v82, v82, v83, s[4:5]
	v_mul_f32_e32 v82, v82, v84
	buffer_store_dword v82, off, s[0:3], 0 offset:116
.LBB95_16:
	s_or_b64 exec, exec, s[10:11]
	buffer_load_dword v82, off, s[0:3], 0 offset:112
	v_cmp_lt_u32_e64 s[4:5], 28, v0
	s_waitcnt vmcnt(0)
	ds_write_b32 v66, v82
	s_waitcnt lgkmcnt(0)
	; wave barrier
	s_waitcnt lgkmcnt(0)
	s_and_saveexec_b64 s[10:11], s[4:5]
	s_cbranch_execz .LBB95_26
; %bb.17:
	s_andn2_b64 vcc, exec, s[8:9]
	s_cbranch_vccnz .LBB95_19
; %bb.18:
	buffer_load_dword v82, v67, s[0:3], 0 offen
	ds_read_b32 v83, v66
	s_waitcnt vmcnt(0) lgkmcnt(0)
	v_mul_f32_e32 v82, v82, v83
	s_cbranch_execz .LBB95_20
	s_branch .LBB95_21
.LBB95_19:
                                        ; implicit-def: $vgpr82
.LBB95_20:
	ds_read_b32 v82, v66
.LBB95_21:
	s_and_saveexec_b64 s[12:13], s[6:7]
	s_cbranch_execz .LBB95_25
; %bb.22:
	v_mov_b32_e32 v83, 0
	v_add_u32_e32 v83, 0x74, v83
	v_subrev_u32_e32 v84, 29, v0
	s_movk_i32 s14, 0xf4
	s_mov_b64 s[6:7], 0
.LBB95_23:                              ; =>This Inner Loop Header: Depth=1
	buffer_load_dword v85, v83, s[0:3], 0 offen
	v_mov_b32_e32 v86, s14
	ds_read_b32 v86, v86
	v_add_u32_e32 v84, -1, v84
	s_add_i32 s14, s14, 4
	v_cmp_eq_u32_e32 vcc, 0, v84
	v_add_u32_e32 v83, 4, v83
	s_or_b64 s[6:7], vcc, s[6:7]
	s_waitcnt vmcnt(0) lgkmcnt(0)
	v_fmac_f32_e32 v82, v85, v86
	s_andn2_b64 exec, exec, s[6:7]
	s_cbranch_execnz .LBB95_23
; %bb.24:
	s_or_b64 exec, exec, s[6:7]
.LBB95_25:
	s_or_b64 exec, exec, s[12:13]
	v_mov_b32_e32 v83, 0
	ds_read_b32 v83, v83 offset:112
	s_waitcnt lgkmcnt(0)
	v_mul_f32_e32 v82, v82, v83
	buffer_store_dword v82, off, s[0:3], 0 offset:112
.LBB95_26:
	s_or_b64 exec, exec, s[10:11]
	buffer_load_dword v82, off, s[0:3], 0 offset:108
	v_cmp_lt_u32_e64 s[6:7], 27, v0
	s_waitcnt vmcnt(0)
	ds_write_b32 v66, v82
	s_waitcnt lgkmcnt(0)
	; wave barrier
	s_waitcnt lgkmcnt(0)
	s_and_saveexec_b64 s[10:11], s[6:7]
	s_cbranch_execz .LBB95_36
; %bb.27:
	s_andn2_b64 vcc, exec, s[8:9]
	s_cbranch_vccnz .LBB95_29
; %bb.28:
	buffer_load_dword v82, v67, s[0:3], 0 offen
	ds_read_b32 v83, v66
	s_waitcnt vmcnt(0) lgkmcnt(0)
	v_mul_f32_e32 v82, v82, v83
	s_cbranch_execz .LBB95_30
	s_branch .LBB95_31
.LBB95_29:
                                        ; implicit-def: $vgpr82
.LBB95_30:
	ds_read_b32 v82, v66
.LBB95_31:
	s_and_saveexec_b64 s[12:13], s[4:5]
	s_cbranch_execz .LBB95_35
; %bb.32:
	v_subrev_u32_e32 v83, 28, v0
	s_movk_i32 s14, 0xf0
	s_mov_b64 s[4:5], 0
.LBB95_33:                              ; =>This Inner Loop Header: Depth=1
	buffer_load_dword v84, v81, s[0:3], 0 offen
	v_mov_b32_e32 v85, s14
	ds_read_b32 v85, v85
	v_add_u32_e32 v83, -1, v83
	s_add_i32 s14, s14, 4
	v_cmp_eq_u32_e32 vcc, 0, v83
	v_add_u32_e32 v81, 4, v81
	s_or_b64 s[4:5], vcc, s[4:5]
	s_waitcnt vmcnt(0) lgkmcnt(0)
	v_fmac_f32_e32 v82, v84, v85
	s_andn2_b64 exec, exec, s[4:5]
	s_cbranch_execnz .LBB95_33
; %bb.34:
	s_or_b64 exec, exec, s[4:5]
.LBB95_35:
	s_or_b64 exec, exec, s[12:13]
	v_mov_b32_e32 v81, 0
	ds_read_b32 v81, v81 offset:108
	s_waitcnt lgkmcnt(0)
	v_mul_f32_e32 v81, v82, v81
	buffer_store_dword v81, off, s[0:3], 0 offset:108
.LBB95_36:
	s_or_b64 exec, exec, s[10:11]
	buffer_load_dword v81, off, s[0:3], 0 offset:104
	v_cmp_lt_u32_e64 s[4:5], 26, v0
	s_waitcnt vmcnt(0)
	ds_write_b32 v66, v81
	s_waitcnt lgkmcnt(0)
	; wave barrier
	s_waitcnt lgkmcnt(0)
	s_and_saveexec_b64 s[10:11], s[4:5]
	s_cbranch_execz .LBB95_46
; %bb.37:
	s_andn2_b64 vcc, exec, s[8:9]
	s_cbranch_vccnz .LBB95_39
; %bb.38:
	buffer_load_dword v81, v67, s[0:3], 0 offen
	ds_read_b32 v82, v66
	s_waitcnt vmcnt(0) lgkmcnt(0)
	v_mul_f32_e32 v81, v81, v82
	s_cbranch_execz .LBB95_40
	s_branch .LBB95_41
.LBB95_39:
                                        ; implicit-def: $vgpr81
.LBB95_40:
	ds_read_b32 v81, v66
.LBB95_41:
	s_and_saveexec_b64 s[12:13], s[6:7]
	s_cbranch_execz .LBB95_45
; %bb.42:
	v_mov_b32_e32 v82, 0
	v_add_u32_e32 v82, 0x6c, v82
	v_subrev_u32_e32 v83, 27, v0
	s_movk_i32 s14, 0xec
	s_mov_b64 s[6:7], 0
.LBB95_43:                              ; =>This Inner Loop Header: Depth=1
	buffer_load_dword v84, v82, s[0:3], 0 offen
	v_mov_b32_e32 v85, s14
	ds_read_b32 v85, v85
	v_add_u32_e32 v83, -1, v83
	s_add_i32 s14, s14, 4
	v_cmp_eq_u32_e32 vcc, 0, v83
	v_add_u32_e32 v82, 4, v82
	s_or_b64 s[6:7], vcc, s[6:7]
	s_waitcnt vmcnt(0) lgkmcnt(0)
	v_fmac_f32_e32 v81, v84, v85
	s_andn2_b64 exec, exec, s[6:7]
	s_cbranch_execnz .LBB95_43
; %bb.44:
	s_or_b64 exec, exec, s[6:7]
.LBB95_45:
	s_or_b64 exec, exec, s[12:13]
	v_mov_b32_e32 v82, 0
	ds_read_b32 v82, v82 offset:104
	s_waitcnt lgkmcnt(0)
	v_mul_f32_e32 v81, v81, v82
	buffer_store_dword v81, off, s[0:3], 0 offset:104
.LBB95_46:
	s_or_b64 exec, exec, s[10:11]
	buffer_load_dword v81, off, s[0:3], 0 offset:100
	v_cmp_lt_u32_e64 s[6:7], 25, v0
	s_waitcnt vmcnt(0)
	ds_write_b32 v66, v81
	s_waitcnt lgkmcnt(0)
	; wave barrier
	s_waitcnt lgkmcnt(0)
	s_and_saveexec_b64 s[10:11], s[6:7]
	s_cbranch_execz .LBB95_56
; %bb.47:
	s_andn2_b64 vcc, exec, s[8:9]
	s_cbranch_vccnz .LBB95_49
; %bb.48:
	buffer_load_dword v81, v67, s[0:3], 0 offen
	ds_read_b32 v82, v66
	s_waitcnt vmcnt(0) lgkmcnt(0)
	v_mul_f32_e32 v81, v81, v82
	s_cbranch_execz .LBB95_50
	s_branch .LBB95_51
.LBB95_49:
                                        ; implicit-def: $vgpr81
.LBB95_50:
	ds_read_b32 v81, v66
.LBB95_51:
	s_and_saveexec_b64 s[12:13], s[4:5]
	s_cbranch_execz .LBB95_55
; %bb.52:
	v_subrev_u32_e32 v82, 26, v0
	s_movk_i32 s14, 0xe8
	s_mov_b64 s[4:5], 0
.LBB95_53:                              ; =>This Inner Loop Header: Depth=1
	buffer_load_dword v83, v80, s[0:3], 0 offen
	v_mov_b32_e32 v84, s14
	ds_read_b32 v84, v84
	v_add_u32_e32 v82, -1, v82
	s_add_i32 s14, s14, 4
	v_cmp_eq_u32_e32 vcc, 0, v82
	v_add_u32_e32 v80, 4, v80
	s_or_b64 s[4:5], vcc, s[4:5]
	s_waitcnt vmcnt(0) lgkmcnt(0)
	v_fmac_f32_e32 v81, v83, v84
	s_andn2_b64 exec, exec, s[4:5]
	s_cbranch_execnz .LBB95_53
; %bb.54:
	s_or_b64 exec, exec, s[4:5]
.LBB95_55:
	s_or_b64 exec, exec, s[12:13]
	v_mov_b32_e32 v80, 0
	ds_read_b32 v80, v80 offset:100
	s_waitcnt lgkmcnt(0)
	v_mul_f32_e32 v80, v81, v80
	buffer_store_dword v80, off, s[0:3], 0 offset:100
.LBB95_56:
	s_or_b64 exec, exec, s[10:11]
	buffer_load_dword v80, off, s[0:3], 0 offset:96
	v_cmp_lt_u32_e64 s[4:5], 24, v0
	s_waitcnt vmcnt(0)
	ds_write_b32 v66, v80
	s_waitcnt lgkmcnt(0)
	; wave barrier
	s_waitcnt lgkmcnt(0)
	s_and_saveexec_b64 s[10:11], s[4:5]
	s_cbranch_execz .LBB95_66
; %bb.57:
	s_andn2_b64 vcc, exec, s[8:9]
	s_cbranch_vccnz .LBB95_59
; %bb.58:
	buffer_load_dword v80, v67, s[0:3], 0 offen
	ds_read_b32 v81, v66
	s_waitcnt vmcnt(0) lgkmcnt(0)
	v_mul_f32_e32 v80, v80, v81
	s_cbranch_execz .LBB95_60
	s_branch .LBB95_61
.LBB95_59:
                                        ; implicit-def: $vgpr80
.LBB95_60:
	ds_read_b32 v80, v66
.LBB95_61:
	s_and_saveexec_b64 s[12:13], s[6:7]
	s_cbranch_execz .LBB95_65
; %bb.62:
	v_mov_b32_e32 v81, 0
	v_add_u32_e32 v81, 0x64, v81
	v_subrev_u32_e32 v82, 25, v0
	s_movk_i32 s14, 0xe4
	s_mov_b64 s[6:7], 0
.LBB95_63:                              ; =>This Inner Loop Header: Depth=1
	buffer_load_dword v83, v81, s[0:3], 0 offen
	v_mov_b32_e32 v84, s14
	ds_read_b32 v84, v84
	v_add_u32_e32 v82, -1, v82
	s_add_i32 s14, s14, 4
	v_cmp_eq_u32_e32 vcc, 0, v82
	v_add_u32_e32 v81, 4, v81
	s_or_b64 s[6:7], vcc, s[6:7]
	s_waitcnt vmcnt(0) lgkmcnt(0)
	v_fmac_f32_e32 v80, v83, v84
	s_andn2_b64 exec, exec, s[6:7]
	s_cbranch_execnz .LBB95_63
; %bb.64:
	s_or_b64 exec, exec, s[6:7]
.LBB95_65:
	s_or_b64 exec, exec, s[12:13]
	v_mov_b32_e32 v81, 0
	ds_read_b32 v81, v81 offset:96
	s_waitcnt lgkmcnt(0)
	v_mul_f32_e32 v80, v80, v81
	buffer_store_dword v80, off, s[0:3], 0 offset:96
.LBB95_66:
	s_or_b64 exec, exec, s[10:11]
	buffer_load_dword v80, off, s[0:3], 0 offset:92
	v_cmp_lt_u32_e64 s[6:7], 23, v0
	s_waitcnt vmcnt(0)
	ds_write_b32 v66, v80
	s_waitcnt lgkmcnt(0)
	; wave barrier
	s_waitcnt lgkmcnt(0)
	s_and_saveexec_b64 s[10:11], s[6:7]
	s_cbranch_execz .LBB95_76
; %bb.67:
	s_andn2_b64 vcc, exec, s[8:9]
	s_cbranch_vccnz .LBB95_69
; %bb.68:
	buffer_load_dword v80, v67, s[0:3], 0 offen
	ds_read_b32 v81, v66
	s_waitcnt vmcnt(0) lgkmcnt(0)
	v_mul_f32_e32 v80, v80, v81
	s_cbranch_execz .LBB95_70
	s_branch .LBB95_71
.LBB95_69:
                                        ; implicit-def: $vgpr80
.LBB95_70:
	ds_read_b32 v80, v66
.LBB95_71:
	s_and_saveexec_b64 s[12:13], s[4:5]
	s_cbranch_execz .LBB95_75
; %bb.72:
	v_subrev_u32_e32 v81, 24, v0
	s_movk_i32 s14, 0xe0
	s_mov_b64 s[4:5], 0
.LBB95_73:                              ; =>This Inner Loop Header: Depth=1
	buffer_load_dword v82, v79, s[0:3], 0 offen
	v_mov_b32_e32 v83, s14
	ds_read_b32 v83, v83
	v_add_u32_e32 v81, -1, v81
	s_add_i32 s14, s14, 4
	v_cmp_eq_u32_e32 vcc, 0, v81
	v_add_u32_e32 v79, 4, v79
	s_or_b64 s[4:5], vcc, s[4:5]
	s_waitcnt vmcnt(0) lgkmcnt(0)
	v_fmac_f32_e32 v80, v82, v83
	s_andn2_b64 exec, exec, s[4:5]
	s_cbranch_execnz .LBB95_73
; %bb.74:
	s_or_b64 exec, exec, s[4:5]
.LBB95_75:
	s_or_b64 exec, exec, s[12:13]
	v_mov_b32_e32 v79, 0
	ds_read_b32 v79, v79 offset:92
	s_waitcnt lgkmcnt(0)
	v_mul_f32_e32 v79, v80, v79
	buffer_store_dword v79, off, s[0:3], 0 offset:92
.LBB95_76:
	s_or_b64 exec, exec, s[10:11]
	buffer_load_dword v79, off, s[0:3], 0 offset:88
	v_cmp_lt_u32_e64 s[4:5], 22, v0
	s_waitcnt vmcnt(0)
	ds_write_b32 v66, v79
	s_waitcnt lgkmcnt(0)
	; wave barrier
	s_waitcnt lgkmcnt(0)
	s_and_saveexec_b64 s[10:11], s[4:5]
	s_cbranch_execz .LBB95_86
; %bb.77:
	s_andn2_b64 vcc, exec, s[8:9]
	s_cbranch_vccnz .LBB95_79
; %bb.78:
	buffer_load_dword v79, v67, s[0:3], 0 offen
	ds_read_b32 v80, v66
	s_waitcnt vmcnt(0) lgkmcnt(0)
	v_mul_f32_e32 v79, v79, v80
	s_cbranch_execz .LBB95_80
	s_branch .LBB95_81
.LBB95_79:
                                        ; implicit-def: $vgpr79
.LBB95_80:
	ds_read_b32 v79, v66
.LBB95_81:
	s_and_saveexec_b64 s[12:13], s[6:7]
	s_cbranch_execz .LBB95_85
; %bb.82:
	v_mov_b32_e32 v80, 0
	v_add_u32_e32 v80, 0x5c, v80
	v_subrev_u32_e32 v81, 23, v0
	s_movk_i32 s14, 0xdc
	s_mov_b64 s[6:7], 0
.LBB95_83:                              ; =>This Inner Loop Header: Depth=1
	buffer_load_dword v82, v80, s[0:3], 0 offen
	v_mov_b32_e32 v83, s14
	ds_read_b32 v83, v83
	v_add_u32_e32 v81, -1, v81
	s_add_i32 s14, s14, 4
	v_cmp_eq_u32_e32 vcc, 0, v81
	v_add_u32_e32 v80, 4, v80
	s_or_b64 s[6:7], vcc, s[6:7]
	s_waitcnt vmcnt(0) lgkmcnt(0)
	v_fmac_f32_e32 v79, v82, v83
	s_andn2_b64 exec, exec, s[6:7]
	s_cbranch_execnz .LBB95_83
; %bb.84:
	s_or_b64 exec, exec, s[6:7]
.LBB95_85:
	s_or_b64 exec, exec, s[12:13]
	v_mov_b32_e32 v80, 0
	ds_read_b32 v80, v80 offset:88
	s_waitcnt lgkmcnt(0)
	v_mul_f32_e32 v79, v79, v80
	buffer_store_dword v79, off, s[0:3], 0 offset:88
.LBB95_86:
	s_or_b64 exec, exec, s[10:11]
	buffer_load_dword v79, off, s[0:3], 0 offset:84
	v_cmp_lt_u32_e64 s[6:7], 21, v0
	s_waitcnt vmcnt(0)
	ds_write_b32 v66, v79
	s_waitcnt lgkmcnt(0)
	; wave barrier
	s_waitcnt lgkmcnt(0)
	s_and_saveexec_b64 s[10:11], s[6:7]
	s_cbranch_execz .LBB95_96
; %bb.87:
	s_andn2_b64 vcc, exec, s[8:9]
	s_cbranch_vccnz .LBB95_89
; %bb.88:
	buffer_load_dword v79, v67, s[0:3], 0 offen
	ds_read_b32 v80, v66
	s_waitcnt vmcnt(0) lgkmcnt(0)
	v_mul_f32_e32 v79, v79, v80
	s_cbranch_execz .LBB95_90
	s_branch .LBB95_91
.LBB95_89:
                                        ; implicit-def: $vgpr79
.LBB95_90:
	ds_read_b32 v79, v66
.LBB95_91:
	s_and_saveexec_b64 s[12:13], s[4:5]
	s_cbranch_execz .LBB95_95
; %bb.92:
	v_subrev_u32_e32 v80, 22, v0
	s_movk_i32 s14, 0xd8
	s_mov_b64 s[4:5], 0
.LBB95_93:                              ; =>This Inner Loop Header: Depth=1
	buffer_load_dword v81, v78, s[0:3], 0 offen
	v_mov_b32_e32 v82, s14
	ds_read_b32 v82, v82
	v_add_u32_e32 v80, -1, v80
	s_add_i32 s14, s14, 4
	v_cmp_eq_u32_e32 vcc, 0, v80
	v_add_u32_e32 v78, 4, v78
	s_or_b64 s[4:5], vcc, s[4:5]
	s_waitcnt vmcnt(0) lgkmcnt(0)
	v_fmac_f32_e32 v79, v81, v82
	s_andn2_b64 exec, exec, s[4:5]
	s_cbranch_execnz .LBB95_93
; %bb.94:
	s_or_b64 exec, exec, s[4:5]
.LBB95_95:
	s_or_b64 exec, exec, s[12:13]
	v_mov_b32_e32 v78, 0
	ds_read_b32 v78, v78 offset:84
	s_waitcnt lgkmcnt(0)
	v_mul_f32_e32 v78, v79, v78
	buffer_store_dword v78, off, s[0:3], 0 offset:84
.LBB95_96:
	s_or_b64 exec, exec, s[10:11]
	buffer_load_dword v78, off, s[0:3], 0 offset:80
	v_cmp_lt_u32_e64 s[4:5], 20, v0
	s_waitcnt vmcnt(0)
	ds_write_b32 v66, v78
	s_waitcnt lgkmcnt(0)
	; wave barrier
	s_waitcnt lgkmcnt(0)
	s_and_saveexec_b64 s[10:11], s[4:5]
	s_cbranch_execz .LBB95_106
; %bb.97:
	s_andn2_b64 vcc, exec, s[8:9]
	s_cbranch_vccnz .LBB95_99
; %bb.98:
	buffer_load_dword v78, v67, s[0:3], 0 offen
	ds_read_b32 v79, v66
	s_waitcnt vmcnt(0) lgkmcnt(0)
	v_mul_f32_e32 v78, v78, v79
	s_cbranch_execz .LBB95_100
	s_branch .LBB95_101
.LBB95_99:
                                        ; implicit-def: $vgpr78
.LBB95_100:
	ds_read_b32 v78, v66
.LBB95_101:
	s_and_saveexec_b64 s[12:13], s[6:7]
	s_cbranch_execz .LBB95_105
; %bb.102:
	v_mov_b32_e32 v79, 0
	v_add_u32_e32 v79, 0x54, v79
	v_subrev_u32_e32 v80, 21, v0
	s_movk_i32 s14, 0xd4
	s_mov_b64 s[6:7], 0
.LBB95_103:                             ; =>This Inner Loop Header: Depth=1
	buffer_load_dword v81, v79, s[0:3], 0 offen
	v_mov_b32_e32 v82, s14
	ds_read_b32 v82, v82
	v_add_u32_e32 v80, -1, v80
	s_add_i32 s14, s14, 4
	v_cmp_eq_u32_e32 vcc, 0, v80
	v_add_u32_e32 v79, 4, v79
	s_or_b64 s[6:7], vcc, s[6:7]
	s_waitcnt vmcnt(0) lgkmcnt(0)
	v_fmac_f32_e32 v78, v81, v82
	s_andn2_b64 exec, exec, s[6:7]
	s_cbranch_execnz .LBB95_103
; %bb.104:
	s_or_b64 exec, exec, s[6:7]
.LBB95_105:
	s_or_b64 exec, exec, s[12:13]
	v_mov_b32_e32 v79, 0
	ds_read_b32 v79, v79 offset:80
	s_waitcnt lgkmcnt(0)
	v_mul_f32_e32 v78, v78, v79
	buffer_store_dword v78, off, s[0:3], 0 offset:80
.LBB95_106:
	s_or_b64 exec, exec, s[10:11]
	buffer_load_dword v78, off, s[0:3], 0 offset:76
	v_cmp_lt_u32_e64 s[6:7], 19, v0
	s_waitcnt vmcnt(0)
	ds_write_b32 v66, v78
	s_waitcnt lgkmcnt(0)
	; wave barrier
	s_waitcnt lgkmcnt(0)
	s_and_saveexec_b64 s[10:11], s[6:7]
	s_cbranch_execz .LBB95_116
; %bb.107:
	s_andn2_b64 vcc, exec, s[8:9]
	s_cbranch_vccnz .LBB95_109
; %bb.108:
	buffer_load_dword v78, v67, s[0:3], 0 offen
	ds_read_b32 v79, v66
	s_waitcnt vmcnt(0) lgkmcnt(0)
	v_mul_f32_e32 v78, v78, v79
	s_cbranch_execz .LBB95_110
	s_branch .LBB95_111
.LBB95_109:
                                        ; implicit-def: $vgpr78
.LBB95_110:
	ds_read_b32 v78, v66
.LBB95_111:
	s_and_saveexec_b64 s[12:13], s[4:5]
	s_cbranch_execz .LBB95_115
; %bb.112:
	v_subrev_u32_e32 v79, 20, v0
	s_movk_i32 s14, 0xd0
	s_mov_b64 s[4:5], 0
.LBB95_113:                             ; =>This Inner Loop Header: Depth=1
	buffer_load_dword v80, v77, s[0:3], 0 offen
	v_mov_b32_e32 v81, s14
	ds_read_b32 v81, v81
	v_add_u32_e32 v79, -1, v79
	s_add_i32 s14, s14, 4
	v_cmp_eq_u32_e32 vcc, 0, v79
	v_add_u32_e32 v77, 4, v77
	s_or_b64 s[4:5], vcc, s[4:5]
	s_waitcnt vmcnt(0) lgkmcnt(0)
	v_fmac_f32_e32 v78, v80, v81
	s_andn2_b64 exec, exec, s[4:5]
	s_cbranch_execnz .LBB95_113
; %bb.114:
	s_or_b64 exec, exec, s[4:5]
.LBB95_115:
	s_or_b64 exec, exec, s[12:13]
	v_mov_b32_e32 v77, 0
	ds_read_b32 v77, v77 offset:76
	s_waitcnt lgkmcnt(0)
	v_mul_f32_e32 v77, v78, v77
	buffer_store_dword v77, off, s[0:3], 0 offset:76
.LBB95_116:
	s_or_b64 exec, exec, s[10:11]
	buffer_load_dword v77, off, s[0:3], 0 offset:72
	v_cmp_lt_u32_e64 s[4:5], 18, v0
	s_waitcnt vmcnt(0)
	ds_write_b32 v66, v77
	s_waitcnt lgkmcnt(0)
	; wave barrier
	s_waitcnt lgkmcnt(0)
	s_and_saveexec_b64 s[10:11], s[4:5]
	s_cbranch_execz .LBB95_126
; %bb.117:
	s_andn2_b64 vcc, exec, s[8:9]
	s_cbranch_vccnz .LBB95_119
; %bb.118:
	buffer_load_dword v77, v67, s[0:3], 0 offen
	ds_read_b32 v78, v66
	s_waitcnt vmcnt(0) lgkmcnt(0)
	v_mul_f32_e32 v77, v77, v78
	s_cbranch_execz .LBB95_120
	s_branch .LBB95_121
.LBB95_119:
                                        ; implicit-def: $vgpr77
.LBB95_120:
	ds_read_b32 v77, v66
.LBB95_121:
	s_and_saveexec_b64 s[12:13], s[6:7]
	s_cbranch_execz .LBB95_125
; %bb.122:
	v_mov_b32_e32 v78, 0
	v_add_u32_e32 v78, 0x4c, v78
	v_subrev_u32_e32 v79, 19, v0
	s_movk_i32 s14, 0xcc
	s_mov_b64 s[6:7], 0
.LBB95_123:                             ; =>This Inner Loop Header: Depth=1
	buffer_load_dword v80, v78, s[0:3], 0 offen
	v_mov_b32_e32 v81, s14
	ds_read_b32 v81, v81
	v_add_u32_e32 v79, -1, v79
	s_add_i32 s14, s14, 4
	v_cmp_eq_u32_e32 vcc, 0, v79
	v_add_u32_e32 v78, 4, v78
	s_or_b64 s[6:7], vcc, s[6:7]
	s_waitcnt vmcnt(0) lgkmcnt(0)
	v_fmac_f32_e32 v77, v80, v81
	s_andn2_b64 exec, exec, s[6:7]
	s_cbranch_execnz .LBB95_123
; %bb.124:
	s_or_b64 exec, exec, s[6:7]
.LBB95_125:
	s_or_b64 exec, exec, s[12:13]
	v_mov_b32_e32 v78, 0
	ds_read_b32 v78, v78 offset:72
	s_waitcnt lgkmcnt(0)
	v_mul_f32_e32 v77, v77, v78
	buffer_store_dword v77, off, s[0:3], 0 offset:72
.LBB95_126:
	s_or_b64 exec, exec, s[10:11]
	buffer_load_dword v77, off, s[0:3], 0 offset:68
	v_cmp_lt_u32_e64 s[6:7], 17, v0
	s_waitcnt vmcnt(0)
	ds_write_b32 v66, v77
	s_waitcnt lgkmcnt(0)
	; wave barrier
	s_waitcnt lgkmcnt(0)
	s_and_saveexec_b64 s[10:11], s[6:7]
	s_cbranch_execz .LBB95_136
; %bb.127:
	s_andn2_b64 vcc, exec, s[8:9]
	s_cbranch_vccnz .LBB95_129
; %bb.128:
	buffer_load_dword v77, v67, s[0:3], 0 offen
	ds_read_b32 v78, v66
	s_waitcnt vmcnt(0) lgkmcnt(0)
	v_mul_f32_e32 v77, v77, v78
	s_cbranch_execz .LBB95_130
	s_branch .LBB95_131
.LBB95_129:
                                        ; implicit-def: $vgpr77
.LBB95_130:
	ds_read_b32 v77, v66
.LBB95_131:
	s_and_saveexec_b64 s[12:13], s[4:5]
	s_cbranch_execz .LBB95_135
; %bb.132:
	v_subrev_u32_e32 v78, 18, v0
	s_movk_i32 s14, 0xc8
	s_mov_b64 s[4:5], 0
.LBB95_133:                             ; =>This Inner Loop Header: Depth=1
	buffer_load_dword v79, v76, s[0:3], 0 offen
	v_mov_b32_e32 v80, s14
	ds_read_b32 v80, v80
	v_add_u32_e32 v78, -1, v78
	s_add_i32 s14, s14, 4
	v_cmp_eq_u32_e32 vcc, 0, v78
	v_add_u32_e32 v76, 4, v76
	s_or_b64 s[4:5], vcc, s[4:5]
	s_waitcnt vmcnt(0) lgkmcnt(0)
	v_fmac_f32_e32 v77, v79, v80
	s_andn2_b64 exec, exec, s[4:5]
	s_cbranch_execnz .LBB95_133
; %bb.134:
	s_or_b64 exec, exec, s[4:5]
.LBB95_135:
	s_or_b64 exec, exec, s[12:13]
	v_mov_b32_e32 v76, 0
	ds_read_b32 v76, v76 offset:68
	s_waitcnt lgkmcnt(0)
	v_mul_f32_e32 v76, v77, v76
	buffer_store_dword v76, off, s[0:3], 0 offset:68
.LBB95_136:
	s_or_b64 exec, exec, s[10:11]
	buffer_load_dword v76, off, s[0:3], 0 offset:64
	v_cmp_lt_u32_e64 s[4:5], 16, v0
	s_waitcnt vmcnt(0)
	ds_write_b32 v66, v76
	s_waitcnt lgkmcnt(0)
	; wave barrier
	s_waitcnt lgkmcnt(0)
	s_and_saveexec_b64 s[10:11], s[4:5]
	s_cbranch_execz .LBB95_146
; %bb.137:
	s_andn2_b64 vcc, exec, s[8:9]
	s_cbranch_vccnz .LBB95_139
; %bb.138:
	buffer_load_dword v76, v67, s[0:3], 0 offen
	ds_read_b32 v77, v66
	s_waitcnt vmcnt(0) lgkmcnt(0)
	v_mul_f32_e32 v76, v76, v77
	s_cbranch_execz .LBB95_140
	s_branch .LBB95_141
.LBB95_139:
                                        ; implicit-def: $vgpr76
.LBB95_140:
	ds_read_b32 v76, v66
.LBB95_141:
	s_and_saveexec_b64 s[12:13], s[6:7]
	s_cbranch_execz .LBB95_145
; %bb.142:
	v_mov_b32_e32 v77, 0
	v_add_u32_e32 v77, 0x44, v77
	v_subrev_u32_e32 v78, 17, v0
	s_movk_i32 s14, 0xc4
	s_mov_b64 s[6:7], 0
.LBB95_143:                             ; =>This Inner Loop Header: Depth=1
	buffer_load_dword v79, v77, s[0:3], 0 offen
	v_mov_b32_e32 v80, s14
	ds_read_b32 v80, v80
	v_add_u32_e32 v78, -1, v78
	s_add_i32 s14, s14, 4
	v_cmp_eq_u32_e32 vcc, 0, v78
	v_add_u32_e32 v77, 4, v77
	s_or_b64 s[6:7], vcc, s[6:7]
	s_waitcnt vmcnt(0) lgkmcnt(0)
	v_fmac_f32_e32 v76, v79, v80
	s_andn2_b64 exec, exec, s[6:7]
	s_cbranch_execnz .LBB95_143
; %bb.144:
	s_or_b64 exec, exec, s[6:7]
.LBB95_145:
	s_or_b64 exec, exec, s[12:13]
	v_mov_b32_e32 v77, 0
	ds_read_b32 v77, v77 offset:64
	s_waitcnt lgkmcnt(0)
	v_mul_f32_e32 v76, v76, v77
	buffer_store_dword v76, off, s[0:3], 0 offset:64
.LBB95_146:
	s_or_b64 exec, exec, s[10:11]
	buffer_load_dword v76, off, s[0:3], 0 offset:60
	v_cmp_lt_u32_e64 s[6:7], 15, v0
	s_waitcnt vmcnt(0)
	ds_write_b32 v66, v76
	s_waitcnt lgkmcnt(0)
	; wave barrier
	s_waitcnt lgkmcnt(0)
	s_and_saveexec_b64 s[10:11], s[6:7]
	s_cbranch_execz .LBB95_156
; %bb.147:
	s_andn2_b64 vcc, exec, s[8:9]
	s_cbranch_vccnz .LBB95_149
; %bb.148:
	buffer_load_dword v76, v67, s[0:3], 0 offen
	ds_read_b32 v77, v66
	s_waitcnt vmcnt(0) lgkmcnt(0)
	v_mul_f32_e32 v76, v76, v77
	s_cbranch_execz .LBB95_150
	s_branch .LBB95_151
.LBB95_149:
                                        ; implicit-def: $vgpr76
.LBB95_150:
	ds_read_b32 v76, v66
.LBB95_151:
	s_and_saveexec_b64 s[12:13], s[4:5]
	s_cbranch_execz .LBB95_155
; %bb.152:
	v_add_u32_e32 v77, -16, v0
	s_movk_i32 s14, 0xc0
	s_mov_b64 s[4:5], 0
.LBB95_153:                             ; =>This Inner Loop Header: Depth=1
	buffer_load_dword v78, v75, s[0:3], 0 offen
	v_mov_b32_e32 v79, s14
	ds_read_b32 v79, v79
	v_add_u32_e32 v77, -1, v77
	s_add_i32 s14, s14, 4
	v_cmp_eq_u32_e32 vcc, 0, v77
	v_add_u32_e32 v75, 4, v75
	s_or_b64 s[4:5], vcc, s[4:5]
	s_waitcnt vmcnt(0) lgkmcnt(0)
	v_fmac_f32_e32 v76, v78, v79
	s_andn2_b64 exec, exec, s[4:5]
	s_cbranch_execnz .LBB95_153
; %bb.154:
	s_or_b64 exec, exec, s[4:5]
.LBB95_155:
	s_or_b64 exec, exec, s[12:13]
	v_mov_b32_e32 v75, 0
	ds_read_b32 v75, v75 offset:60
	s_waitcnt lgkmcnt(0)
	v_mul_f32_e32 v75, v76, v75
	buffer_store_dword v75, off, s[0:3], 0 offset:60
.LBB95_156:
	s_or_b64 exec, exec, s[10:11]
	buffer_load_dword v75, off, s[0:3], 0 offset:56
	v_cmp_lt_u32_e64 s[4:5], 14, v0
	s_waitcnt vmcnt(0)
	ds_write_b32 v66, v75
	s_waitcnt lgkmcnt(0)
	; wave barrier
	s_waitcnt lgkmcnt(0)
	s_and_saveexec_b64 s[10:11], s[4:5]
	s_cbranch_execz .LBB95_166
; %bb.157:
	s_andn2_b64 vcc, exec, s[8:9]
	s_cbranch_vccnz .LBB95_159
; %bb.158:
	buffer_load_dword v75, v67, s[0:3], 0 offen
	ds_read_b32 v76, v66
	s_waitcnt vmcnt(0) lgkmcnt(0)
	v_mul_f32_e32 v75, v75, v76
	s_cbranch_execz .LBB95_160
	s_branch .LBB95_161
.LBB95_159:
                                        ; implicit-def: $vgpr75
.LBB95_160:
	ds_read_b32 v75, v66
.LBB95_161:
	s_and_saveexec_b64 s[12:13], s[6:7]
	s_cbranch_execz .LBB95_165
; %bb.162:
	v_mov_b32_e32 v76, 0
	v_add_u32_e32 v76, 60, v76
	v_add_u32_e32 v77, -15, v0
	s_movk_i32 s14, 0xbc
	s_mov_b64 s[6:7], 0
.LBB95_163:                             ; =>This Inner Loop Header: Depth=1
	buffer_load_dword v78, v76, s[0:3], 0 offen
	v_mov_b32_e32 v79, s14
	ds_read_b32 v79, v79
	v_add_u32_e32 v77, -1, v77
	s_add_i32 s14, s14, 4
	v_cmp_eq_u32_e32 vcc, 0, v77
	v_add_u32_e32 v76, 4, v76
	s_or_b64 s[6:7], vcc, s[6:7]
	s_waitcnt vmcnt(0) lgkmcnt(0)
	v_fmac_f32_e32 v75, v78, v79
	s_andn2_b64 exec, exec, s[6:7]
	s_cbranch_execnz .LBB95_163
; %bb.164:
	s_or_b64 exec, exec, s[6:7]
.LBB95_165:
	s_or_b64 exec, exec, s[12:13]
	v_mov_b32_e32 v76, 0
	ds_read_b32 v76, v76 offset:56
	s_waitcnt lgkmcnt(0)
	v_mul_f32_e32 v75, v75, v76
	buffer_store_dword v75, off, s[0:3], 0 offset:56
.LBB95_166:
	s_or_b64 exec, exec, s[10:11]
	buffer_load_dword v75, off, s[0:3], 0 offset:52
	v_cmp_lt_u32_e64 s[6:7], 13, v0
	s_waitcnt vmcnt(0)
	ds_write_b32 v66, v75
	s_waitcnt lgkmcnt(0)
	; wave barrier
	s_waitcnt lgkmcnt(0)
	s_and_saveexec_b64 s[10:11], s[6:7]
	s_cbranch_execz .LBB95_176
; %bb.167:
	s_andn2_b64 vcc, exec, s[8:9]
	s_cbranch_vccnz .LBB95_169
; %bb.168:
	buffer_load_dword v75, v67, s[0:3], 0 offen
	ds_read_b32 v76, v66
	s_waitcnt vmcnt(0) lgkmcnt(0)
	v_mul_f32_e32 v75, v75, v76
	s_cbranch_execz .LBB95_170
	s_branch .LBB95_171
.LBB95_169:
                                        ; implicit-def: $vgpr75
.LBB95_170:
	ds_read_b32 v75, v66
.LBB95_171:
	s_and_saveexec_b64 s[12:13], s[4:5]
	s_cbranch_execz .LBB95_175
; %bb.172:
	v_add_u32_e32 v76, -14, v0
	s_movk_i32 s14, 0xb8
	s_mov_b64 s[4:5], 0
.LBB95_173:                             ; =>This Inner Loop Header: Depth=1
	buffer_load_dword v77, v74, s[0:3], 0 offen
	v_mov_b32_e32 v78, s14
	ds_read_b32 v78, v78
	v_add_u32_e32 v76, -1, v76
	s_add_i32 s14, s14, 4
	v_cmp_eq_u32_e32 vcc, 0, v76
	v_add_u32_e32 v74, 4, v74
	s_or_b64 s[4:5], vcc, s[4:5]
	s_waitcnt vmcnt(0) lgkmcnt(0)
	v_fmac_f32_e32 v75, v77, v78
	s_andn2_b64 exec, exec, s[4:5]
	s_cbranch_execnz .LBB95_173
; %bb.174:
	s_or_b64 exec, exec, s[4:5]
.LBB95_175:
	s_or_b64 exec, exec, s[12:13]
	v_mov_b32_e32 v74, 0
	ds_read_b32 v74, v74 offset:52
	s_waitcnt lgkmcnt(0)
	v_mul_f32_e32 v74, v75, v74
	buffer_store_dword v74, off, s[0:3], 0 offset:52
.LBB95_176:
	s_or_b64 exec, exec, s[10:11]
	buffer_load_dword v74, off, s[0:3], 0 offset:48
	v_cmp_lt_u32_e64 s[4:5], 12, v0
	s_waitcnt vmcnt(0)
	ds_write_b32 v66, v74
	s_waitcnt lgkmcnt(0)
	; wave barrier
	s_waitcnt lgkmcnt(0)
	s_and_saveexec_b64 s[10:11], s[4:5]
	s_cbranch_execz .LBB95_186
; %bb.177:
	s_andn2_b64 vcc, exec, s[8:9]
	s_cbranch_vccnz .LBB95_179
; %bb.178:
	buffer_load_dword v74, v67, s[0:3], 0 offen
	ds_read_b32 v75, v66
	s_waitcnt vmcnt(0) lgkmcnt(0)
	v_mul_f32_e32 v74, v74, v75
	s_cbranch_execz .LBB95_180
	s_branch .LBB95_181
.LBB95_179:
                                        ; implicit-def: $vgpr74
.LBB95_180:
	ds_read_b32 v74, v66
.LBB95_181:
	s_and_saveexec_b64 s[12:13], s[6:7]
	s_cbranch_execz .LBB95_185
; %bb.182:
	v_mov_b32_e32 v75, 0
	v_add_u32_e32 v75, 52, v75
	v_add_u32_e32 v76, -13, v0
	s_movk_i32 s14, 0xb4
	s_mov_b64 s[6:7], 0
.LBB95_183:                             ; =>This Inner Loop Header: Depth=1
	buffer_load_dword v77, v75, s[0:3], 0 offen
	v_mov_b32_e32 v78, s14
	ds_read_b32 v78, v78
	v_add_u32_e32 v76, -1, v76
	s_add_i32 s14, s14, 4
	v_cmp_eq_u32_e32 vcc, 0, v76
	v_add_u32_e32 v75, 4, v75
	s_or_b64 s[6:7], vcc, s[6:7]
	s_waitcnt vmcnt(0) lgkmcnt(0)
	v_fmac_f32_e32 v74, v77, v78
	s_andn2_b64 exec, exec, s[6:7]
	s_cbranch_execnz .LBB95_183
; %bb.184:
	s_or_b64 exec, exec, s[6:7]
.LBB95_185:
	s_or_b64 exec, exec, s[12:13]
	v_mov_b32_e32 v75, 0
	ds_read_b32 v75, v75 offset:48
	s_waitcnt lgkmcnt(0)
	v_mul_f32_e32 v74, v74, v75
	buffer_store_dword v74, off, s[0:3], 0 offset:48
.LBB95_186:
	s_or_b64 exec, exec, s[10:11]
	buffer_load_dword v74, off, s[0:3], 0 offset:44
	v_cmp_lt_u32_e64 s[6:7], 11, v0
	s_waitcnt vmcnt(0)
	ds_write_b32 v66, v74
	s_waitcnt lgkmcnt(0)
	; wave barrier
	s_waitcnt lgkmcnt(0)
	s_and_saveexec_b64 s[10:11], s[6:7]
	s_cbranch_execz .LBB95_196
; %bb.187:
	s_andn2_b64 vcc, exec, s[8:9]
	s_cbranch_vccnz .LBB95_189
; %bb.188:
	buffer_load_dword v74, v67, s[0:3], 0 offen
	ds_read_b32 v75, v66
	s_waitcnt vmcnt(0) lgkmcnt(0)
	v_mul_f32_e32 v74, v74, v75
	s_cbranch_execz .LBB95_190
	s_branch .LBB95_191
.LBB95_189:
                                        ; implicit-def: $vgpr74
.LBB95_190:
	ds_read_b32 v74, v66
.LBB95_191:
	s_and_saveexec_b64 s[12:13], s[4:5]
	s_cbranch_execz .LBB95_195
; %bb.192:
	v_add_u32_e32 v75, -12, v0
	s_movk_i32 s14, 0xb0
	s_mov_b64 s[4:5], 0
.LBB95_193:                             ; =>This Inner Loop Header: Depth=1
	buffer_load_dword v76, v73, s[0:3], 0 offen
	v_mov_b32_e32 v77, s14
	ds_read_b32 v77, v77
	v_add_u32_e32 v75, -1, v75
	s_add_i32 s14, s14, 4
	v_cmp_eq_u32_e32 vcc, 0, v75
	v_add_u32_e32 v73, 4, v73
	s_or_b64 s[4:5], vcc, s[4:5]
	s_waitcnt vmcnt(0) lgkmcnt(0)
	v_fmac_f32_e32 v74, v76, v77
	s_andn2_b64 exec, exec, s[4:5]
	s_cbranch_execnz .LBB95_193
; %bb.194:
	s_or_b64 exec, exec, s[4:5]
.LBB95_195:
	s_or_b64 exec, exec, s[12:13]
	v_mov_b32_e32 v73, 0
	ds_read_b32 v73, v73 offset:44
	s_waitcnt lgkmcnt(0)
	v_mul_f32_e32 v73, v74, v73
	buffer_store_dword v73, off, s[0:3], 0 offset:44
.LBB95_196:
	s_or_b64 exec, exec, s[10:11]
	buffer_load_dword v73, off, s[0:3], 0 offset:40
	v_cmp_lt_u32_e64 s[4:5], 10, v0
	s_waitcnt vmcnt(0)
	ds_write_b32 v66, v73
	s_waitcnt lgkmcnt(0)
	; wave barrier
	s_waitcnt lgkmcnt(0)
	s_and_saveexec_b64 s[10:11], s[4:5]
	s_cbranch_execz .LBB95_206
; %bb.197:
	s_andn2_b64 vcc, exec, s[8:9]
	s_cbranch_vccnz .LBB95_199
; %bb.198:
	buffer_load_dword v73, v67, s[0:3], 0 offen
	ds_read_b32 v74, v66
	s_waitcnt vmcnt(0) lgkmcnt(0)
	v_mul_f32_e32 v73, v73, v74
	s_cbranch_execz .LBB95_200
	s_branch .LBB95_201
.LBB95_199:
                                        ; implicit-def: $vgpr73
.LBB95_200:
	ds_read_b32 v73, v66
.LBB95_201:
	s_and_saveexec_b64 s[12:13], s[6:7]
	s_cbranch_execz .LBB95_205
; %bb.202:
	v_mov_b32_e32 v74, 0
	v_add_u32_e32 v74, 44, v74
	v_add_u32_e32 v75, -11, v0
	s_movk_i32 s14, 0xac
	s_mov_b64 s[6:7], 0
.LBB95_203:                             ; =>This Inner Loop Header: Depth=1
	buffer_load_dword v76, v74, s[0:3], 0 offen
	v_mov_b32_e32 v77, s14
	ds_read_b32 v77, v77
	v_add_u32_e32 v75, -1, v75
	s_add_i32 s14, s14, 4
	v_cmp_eq_u32_e32 vcc, 0, v75
	v_add_u32_e32 v74, 4, v74
	s_or_b64 s[6:7], vcc, s[6:7]
	s_waitcnt vmcnt(0) lgkmcnt(0)
	v_fmac_f32_e32 v73, v76, v77
	s_andn2_b64 exec, exec, s[6:7]
	s_cbranch_execnz .LBB95_203
; %bb.204:
	s_or_b64 exec, exec, s[6:7]
.LBB95_205:
	s_or_b64 exec, exec, s[12:13]
	v_mov_b32_e32 v74, 0
	ds_read_b32 v74, v74 offset:40
	s_waitcnt lgkmcnt(0)
	v_mul_f32_e32 v73, v73, v74
	buffer_store_dword v73, off, s[0:3], 0 offset:40
.LBB95_206:
	s_or_b64 exec, exec, s[10:11]
	buffer_load_dword v73, off, s[0:3], 0 offset:36
	v_cmp_lt_u32_e64 s[6:7], 9, v0
	s_waitcnt vmcnt(0)
	ds_write_b32 v66, v73
	s_waitcnt lgkmcnt(0)
	; wave barrier
	s_waitcnt lgkmcnt(0)
	s_and_saveexec_b64 s[10:11], s[6:7]
	s_cbranch_execz .LBB95_216
; %bb.207:
	s_andn2_b64 vcc, exec, s[8:9]
	s_cbranch_vccnz .LBB95_209
; %bb.208:
	buffer_load_dword v73, v67, s[0:3], 0 offen
	ds_read_b32 v74, v66
	s_waitcnt vmcnt(0) lgkmcnt(0)
	v_mul_f32_e32 v73, v73, v74
	s_cbranch_execz .LBB95_210
	s_branch .LBB95_211
.LBB95_209:
                                        ; implicit-def: $vgpr73
.LBB95_210:
	ds_read_b32 v73, v66
.LBB95_211:
	s_and_saveexec_b64 s[12:13], s[4:5]
	s_cbranch_execz .LBB95_215
; %bb.212:
	v_add_u32_e32 v74, -10, v0
	s_movk_i32 s14, 0xa8
	s_mov_b64 s[4:5], 0
.LBB95_213:                             ; =>This Inner Loop Header: Depth=1
	buffer_load_dword v75, v72, s[0:3], 0 offen
	v_mov_b32_e32 v76, s14
	ds_read_b32 v76, v76
	v_add_u32_e32 v74, -1, v74
	s_add_i32 s14, s14, 4
	v_cmp_eq_u32_e32 vcc, 0, v74
	v_add_u32_e32 v72, 4, v72
	s_or_b64 s[4:5], vcc, s[4:5]
	s_waitcnt vmcnt(0) lgkmcnt(0)
	v_fmac_f32_e32 v73, v75, v76
	s_andn2_b64 exec, exec, s[4:5]
	s_cbranch_execnz .LBB95_213
; %bb.214:
	s_or_b64 exec, exec, s[4:5]
.LBB95_215:
	s_or_b64 exec, exec, s[12:13]
	v_mov_b32_e32 v72, 0
	ds_read_b32 v72, v72 offset:36
	s_waitcnt lgkmcnt(0)
	v_mul_f32_e32 v72, v73, v72
	buffer_store_dword v72, off, s[0:3], 0 offset:36
.LBB95_216:
	s_or_b64 exec, exec, s[10:11]
	buffer_load_dword v72, off, s[0:3], 0 offset:32
	v_cmp_lt_u32_e64 s[4:5], 8, v0
	s_waitcnt vmcnt(0)
	ds_write_b32 v66, v72
	s_waitcnt lgkmcnt(0)
	; wave barrier
	s_waitcnt lgkmcnt(0)
	s_and_saveexec_b64 s[10:11], s[4:5]
	s_cbranch_execz .LBB95_226
; %bb.217:
	s_andn2_b64 vcc, exec, s[8:9]
	s_cbranch_vccnz .LBB95_219
; %bb.218:
	buffer_load_dword v72, v67, s[0:3], 0 offen
	ds_read_b32 v73, v66
	s_waitcnt vmcnt(0) lgkmcnt(0)
	v_mul_f32_e32 v72, v72, v73
	s_cbranch_execz .LBB95_220
	s_branch .LBB95_221
.LBB95_219:
                                        ; implicit-def: $vgpr72
.LBB95_220:
	ds_read_b32 v72, v66
.LBB95_221:
	s_and_saveexec_b64 s[12:13], s[6:7]
	s_cbranch_execz .LBB95_225
; %bb.222:
	v_mov_b32_e32 v73, 0
	v_add_u32_e32 v73, 36, v73
	v_add_u32_e32 v74, -9, v0
	s_movk_i32 s14, 0xa4
	s_mov_b64 s[6:7], 0
.LBB95_223:                             ; =>This Inner Loop Header: Depth=1
	buffer_load_dword v75, v73, s[0:3], 0 offen
	v_mov_b32_e32 v76, s14
	ds_read_b32 v76, v76
	v_add_u32_e32 v74, -1, v74
	s_add_i32 s14, s14, 4
	v_cmp_eq_u32_e32 vcc, 0, v74
	v_add_u32_e32 v73, 4, v73
	s_or_b64 s[6:7], vcc, s[6:7]
	s_waitcnt vmcnt(0) lgkmcnt(0)
	v_fmac_f32_e32 v72, v75, v76
	s_andn2_b64 exec, exec, s[6:7]
	s_cbranch_execnz .LBB95_223
; %bb.224:
	s_or_b64 exec, exec, s[6:7]
.LBB95_225:
	s_or_b64 exec, exec, s[12:13]
	v_mov_b32_e32 v73, 0
	ds_read_b32 v73, v73 offset:32
	s_waitcnt lgkmcnt(0)
	v_mul_f32_e32 v72, v72, v73
	buffer_store_dword v72, off, s[0:3], 0 offset:32
.LBB95_226:
	s_or_b64 exec, exec, s[10:11]
	buffer_load_dword v72, off, s[0:3], 0 offset:28
	v_cmp_lt_u32_e64 s[6:7], 7, v0
	s_waitcnt vmcnt(0)
	ds_write_b32 v66, v72
	s_waitcnt lgkmcnt(0)
	; wave barrier
	s_waitcnt lgkmcnt(0)
	s_and_saveexec_b64 s[10:11], s[6:7]
	s_cbranch_execz .LBB95_236
; %bb.227:
	s_andn2_b64 vcc, exec, s[8:9]
	s_cbranch_vccnz .LBB95_229
; %bb.228:
	buffer_load_dword v72, v67, s[0:3], 0 offen
	ds_read_b32 v73, v66
	s_waitcnt vmcnt(0) lgkmcnt(0)
	v_mul_f32_e32 v72, v72, v73
	s_cbranch_execz .LBB95_230
	s_branch .LBB95_231
.LBB95_229:
                                        ; implicit-def: $vgpr72
.LBB95_230:
	ds_read_b32 v72, v66
.LBB95_231:
	s_and_saveexec_b64 s[12:13], s[4:5]
	s_cbranch_execz .LBB95_235
; %bb.232:
	v_add_u32_e32 v73, -8, v0
	s_movk_i32 s14, 0xa0
	s_mov_b64 s[4:5], 0
.LBB95_233:                             ; =>This Inner Loop Header: Depth=1
	buffer_load_dword v74, v71, s[0:3], 0 offen
	v_mov_b32_e32 v75, s14
	ds_read_b32 v75, v75
	v_add_u32_e32 v73, -1, v73
	s_add_i32 s14, s14, 4
	v_cmp_eq_u32_e32 vcc, 0, v73
	v_add_u32_e32 v71, 4, v71
	s_or_b64 s[4:5], vcc, s[4:5]
	s_waitcnt vmcnt(0) lgkmcnt(0)
	v_fmac_f32_e32 v72, v74, v75
	s_andn2_b64 exec, exec, s[4:5]
	s_cbranch_execnz .LBB95_233
; %bb.234:
	s_or_b64 exec, exec, s[4:5]
.LBB95_235:
	s_or_b64 exec, exec, s[12:13]
	v_mov_b32_e32 v71, 0
	ds_read_b32 v71, v71 offset:28
	s_waitcnt lgkmcnt(0)
	v_mul_f32_e32 v71, v72, v71
	buffer_store_dword v71, off, s[0:3], 0 offset:28
.LBB95_236:
	s_or_b64 exec, exec, s[10:11]
	buffer_load_dword v71, off, s[0:3], 0 offset:24
	v_cmp_lt_u32_e64 s[4:5], 6, v0
	s_waitcnt vmcnt(0)
	ds_write_b32 v66, v71
	s_waitcnt lgkmcnt(0)
	; wave barrier
	s_waitcnt lgkmcnt(0)
	s_and_saveexec_b64 s[10:11], s[4:5]
	s_cbranch_execz .LBB95_246
; %bb.237:
	s_andn2_b64 vcc, exec, s[8:9]
	s_cbranch_vccnz .LBB95_239
; %bb.238:
	buffer_load_dword v71, v67, s[0:3], 0 offen
	ds_read_b32 v72, v66
	s_waitcnt vmcnt(0) lgkmcnt(0)
	v_mul_f32_e32 v71, v71, v72
	s_cbranch_execz .LBB95_240
	s_branch .LBB95_241
.LBB95_239:
                                        ; implicit-def: $vgpr71
.LBB95_240:
	ds_read_b32 v71, v66
.LBB95_241:
	s_and_saveexec_b64 s[12:13], s[6:7]
	s_cbranch_execz .LBB95_245
; %bb.242:
	v_mov_b32_e32 v72, 0
	v_add_u32_e32 v72, 28, v72
	v_add_u32_e32 v73, -7, v0
	s_movk_i32 s14, 0x9c
	s_mov_b64 s[6:7], 0
.LBB95_243:                             ; =>This Inner Loop Header: Depth=1
	buffer_load_dword v74, v72, s[0:3], 0 offen
	v_mov_b32_e32 v75, s14
	ds_read_b32 v75, v75
	v_add_u32_e32 v73, -1, v73
	s_add_i32 s14, s14, 4
	v_cmp_eq_u32_e32 vcc, 0, v73
	v_add_u32_e32 v72, 4, v72
	s_or_b64 s[6:7], vcc, s[6:7]
	s_waitcnt vmcnt(0) lgkmcnt(0)
	v_fmac_f32_e32 v71, v74, v75
	s_andn2_b64 exec, exec, s[6:7]
	s_cbranch_execnz .LBB95_243
; %bb.244:
	s_or_b64 exec, exec, s[6:7]
.LBB95_245:
	s_or_b64 exec, exec, s[12:13]
	v_mov_b32_e32 v72, 0
	ds_read_b32 v72, v72 offset:24
	s_waitcnt lgkmcnt(0)
	v_mul_f32_e32 v71, v71, v72
	buffer_store_dword v71, off, s[0:3], 0 offset:24
.LBB95_246:
	s_or_b64 exec, exec, s[10:11]
	buffer_load_dword v71, off, s[0:3], 0 offset:20
	v_cmp_lt_u32_e64 s[6:7], 5, v0
	s_waitcnt vmcnt(0)
	ds_write_b32 v66, v71
	s_waitcnt lgkmcnt(0)
	; wave barrier
	s_waitcnt lgkmcnt(0)
	s_and_saveexec_b64 s[10:11], s[6:7]
	s_cbranch_execz .LBB95_256
; %bb.247:
	s_andn2_b64 vcc, exec, s[8:9]
	s_cbranch_vccnz .LBB95_249
; %bb.248:
	buffer_load_dword v71, v67, s[0:3], 0 offen
	ds_read_b32 v72, v66
	s_waitcnt vmcnt(0) lgkmcnt(0)
	v_mul_f32_e32 v71, v71, v72
	s_cbranch_execz .LBB95_250
	s_branch .LBB95_251
.LBB95_249:
                                        ; implicit-def: $vgpr71
.LBB95_250:
	ds_read_b32 v71, v66
.LBB95_251:
	s_and_saveexec_b64 s[12:13], s[4:5]
	s_cbranch_execz .LBB95_255
; %bb.252:
	v_add_u32_e32 v72, -6, v0
	s_movk_i32 s14, 0x98
	s_mov_b64 s[4:5], 0
.LBB95_253:                             ; =>This Inner Loop Header: Depth=1
	buffer_load_dword v73, v70, s[0:3], 0 offen
	v_mov_b32_e32 v74, s14
	ds_read_b32 v74, v74
	v_add_u32_e32 v72, -1, v72
	s_add_i32 s14, s14, 4
	v_cmp_eq_u32_e32 vcc, 0, v72
	v_add_u32_e32 v70, 4, v70
	s_or_b64 s[4:5], vcc, s[4:5]
	s_waitcnt vmcnt(0) lgkmcnt(0)
	v_fmac_f32_e32 v71, v73, v74
	s_andn2_b64 exec, exec, s[4:5]
	s_cbranch_execnz .LBB95_253
; %bb.254:
	s_or_b64 exec, exec, s[4:5]
.LBB95_255:
	s_or_b64 exec, exec, s[12:13]
	v_mov_b32_e32 v70, 0
	ds_read_b32 v70, v70 offset:20
	s_waitcnt lgkmcnt(0)
	v_mul_f32_e32 v70, v71, v70
	buffer_store_dword v70, off, s[0:3], 0 offset:20
.LBB95_256:
	s_or_b64 exec, exec, s[10:11]
	buffer_load_dword v70, off, s[0:3], 0 offset:16
	v_cmp_lt_u32_e64 s[4:5], 4, v0
	s_waitcnt vmcnt(0)
	ds_write_b32 v66, v70
	s_waitcnt lgkmcnt(0)
	; wave barrier
	s_waitcnt lgkmcnt(0)
	s_and_saveexec_b64 s[10:11], s[4:5]
	s_cbranch_execz .LBB95_266
; %bb.257:
	s_andn2_b64 vcc, exec, s[8:9]
	s_cbranch_vccnz .LBB95_259
; %bb.258:
	buffer_load_dword v70, v67, s[0:3], 0 offen
	ds_read_b32 v71, v66
	s_waitcnt vmcnt(0) lgkmcnt(0)
	v_mul_f32_e32 v70, v70, v71
	s_cbranch_execz .LBB95_260
	s_branch .LBB95_261
.LBB95_259:
                                        ; implicit-def: $vgpr70
.LBB95_260:
	ds_read_b32 v70, v66
.LBB95_261:
	s_and_saveexec_b64 s[12:13], s[6:7]
	s_cbranch_execz .LBB95_265
; %bb.262:
	v_mov_b32_e32 v71, 0
	v_add_u32_e32 v71, 20, v71
	v_add_u32_e32 v72, -5, v0
	s_movk_i32 s14, 0x94
	s_mov_b64 s[6:7], 0
.LBB95_263:                             ; =>This Inner Loop Header: Depth=1
	buffer_load_dword v73, v71, s[0:3], 0 offen
	v_mov_b32_e32 v74, s14
	ds_read_b32 v74, v74
	v_add_u32_e32 v72, -1, v72
	s_add_i32 s14, s14, 4
	v_cmp_eq_u32_e32 vcc, 0, v72
	v_add_u32_e32 v71, 4, v71
	s_or_b64 s[6:7], vcc, s[6:7]
	s_waitcnt vmcnt(0) lgkmcnt(0)
	v_fmac_f32_e32 v70, v73, v74
	s_andn2_b64 exec, exec, s[6:7]
	s_cbranch_execnz .LBB95_263
; %bb.264:
	s_or_b64 exec, exec, s[6:7]
.LBB95_265:
	s_or_b64 exec, exec, s[12:13]
	v_mov_b32_e32 v71, 0
	ds_read_b32 v71, v71 offset:16
	s_waitcnt lgkmcnt(0)
	v_mul_f32_e32 v70, v70, v71
	buffer_store_dword v70, off, s[0:3], 0 offset:16
.LBB95_266:
	s_or_b64 exec, exec, s[10:11]
	buffer_load_dword v70, off, s[0:3], 0 offset:12
	v_cmp_lt_u32_e64 s[6:7], 3, v0
	s_waitcnt vmcnt(0)
	ds_write_b32 v66, v70
	s_waitcnt lgkmcnt(0)
	; wave barrier
	s_waitcnt lgkmcnt(0)
	s_and_saveexec_b64 s[10:11], s[6:7]
	s_cbranch_execz .LBB95_276
; %bb.267:
	s_andn2_b64 vcc, exec, s[8:9]
	s_cbranch_vccnz .LBB95_269
; %bb.268:
	buffer_load_dword v70, v67, s[0:3], 0 offen
	ds_read_b32 v71, v66
	s_waitcnt vmcnt(0) lgkmcnt(0)
	v_mul_f32_e32 v70, v70, v71
	s_cbranch_execz .LBB95_270
	s_branch .LBB95_271
.LBB95_269:
                                        ; implicit-def: $vgpr70
.LBB95_270:
	ds_read_b32 v70, v66
.LBB95_271:
	s_and_saveexec_b64 s[12:13], s[4:5]
	s_cbranch_execz .LBB95_275
; %bb.272:
	v_add_u32_e32 v71, -4, v0
	s_movk_i32 s14, 0x90
	s_mov_b64 s[4:5], 0
.LBB95_273:                             ; =>This Inner Loop Header: Depth=1
	buffer_load_dword v72, v69, s[0:3], 0 offen
	v_mov_b32_e32 v73, s14
	ds_read_b32 v73, v73
	v_add_u32_e32 v71, -1, v71
	s_add_i32 s14, s14, 4
	v_cmp_eq_u32_e32 vcc, 0, v71
	v_add_u32_e32 v69, 4, v69
	s_or_b64 s[4:5], vcc, s[4:5]
	s_waitcnt vmcnt(0) lgkmcnt(0)
	v_fmac_f32_e32 v70, v72, v73
	s_andn2_b64 exec, exec, s[4:5]
	s_cbranch_execnz .LBB95_273
; %bb.274:
	s_or_b64 exec, exec, s[4:5]
.LBB95_275:
	s_or_b64 exec, exec, s[12:13]
	v_mov_b32_e32 v69, 0
	ds_read_b32 v69, v69 offset:12
	s_waitcnt lgkmcnt(0)
	v_mul_f32_e32 v69, v70, v69
	buffer_store_dword v69, off, s[0:3], 0 offset:12
.LBB95_276:
	s_or_b64 exec, exec, s[10:11]
	buffer_load_dword v69, off, s[0:3], 0 offset:8
	v_cmp_lt_u32_e64 s[4:5], 2, v0
	s_waitcnt vmcnt(0)
	ds_write_b32 v66, v69
	s_waitcnt lgkmcnt(0)
	; wave barrier
	s_waitcnt lgkmcnt(0)
	s_and_saveexec_b64 s[10:11], s[4:5]
	s_cbranch_execz .LBB95_286
; %bb.277:
	s_andn2_b64 vcc, exec, s[8:9]
	s_cbranch_vccnz .LBB95_279
; %bb.278:
	buffer_load_dword v69, v67, s[0:3], 0 offen
	ds_read_b32 v70, v66
	s_waitcnt vmcnt(0) lgkmcnt(0)
	v_mul_f32_e32 v69, v69, v70
	s_cbranch_execz .LBB95_280
	s_branch .LBB95_281
.LBB95_279:
                                        ; implicit-def: $vgpr69
.LBB95_280:
	ds_read_b32 v69, v66
.LBB95_281:
	s_and_saveexec_b64 s[12:13], s[6:7]
	s_cbranch_execz .LBB95_285
; %bb.282:
	v_mov_b32_e32 v70, 0
	v_or_b32_e32 v70, 12, v70
	v_add_u32_e32 v71, -3, v0
	s_movk_i32 s14, 0x8c
	s_mov_b64 s[6:7], 0
.LBB95_283:                             ; =>This Inner Loop Header: Depth=1
	buffer_load_dword v72, v70, s[0:3], 0 offen
	v_mov_b32_e32 v73, s14
	ds_read_b32 v73, v73
	v_add_u32_e32 v71, -1, v71
	s_add_i32 s14, s14, 4
	v_cmp_eq_u32_e32 vcc, 0, v71
	v_add_u32_e32 v70, 4, v70
	s_or_b64 s[6:7], vcc, s[6:7]
	s_waitcnt vmcnt(0) lgkmcnt(0)
	v_fmac_f32_e32 v69, v72, v73
	s_andn2_b64 exec, exec, s[6:7]
	s_cbranch_execnz .LBB95_283
; %bb.284:
	s_or_b64 exec, exec, s[6:7]
.LBB95_285:
	s_or_b64 exec, exec, s[12:13]
	v_mov_b32_e32 v70, 0
	ds_read_b32 v70, v70 offset:8
	s_waitcnt lgkmcnt(0)
	v_mul_f32_e32 v69, v69, v70
	buffer_store_dword v69, off, s[0:3], 0 offset:8
.LBB95_286:
	s_or_b64 exec, exec, s[10:11]
	buffer_load_dword v69, off, s[0:3], 0 offset:4
	v_cmp_lt_u32_e64 s[6:7], 1, v0
	s_waitcnt vmcnt(0)
	ds_write_b32 v66, v69
	s_waitcnt lgkmcnt(0)
	; wave barrier
	s_waitcnt lgkmcnt(0)
	s_and_saveexec_b64 s[10:11], s[6:7]
	s_cbranch_execz .LBB95_296
; %bb.287:
	s_andn2_b64 vcc, exec, s[8:9]
	s_cbranch_vccnz .LBB95_289
; %bb.288:
	buffer_load_dword v69, v67, s[0:3], 0 offen
	ds_read_b32 v70, v66
	s_waitcnt vmcnt(0) lgkmcnt(0)
	v_mul_f32_e32 v69, v69, v70
	s_cbranch_execz .LBB95_290
	s_branch .LBB95_291
.LBB95_289:
                                        ; implicit-def: $vgpr69
.LBB95_290:
	ds_read_b32 v69, v66
.LBB95_291:
	s_and_saveexec_b64 s[12:13], s[4:5]
	s_cbranch_execz .LBB95_295
; %bb.292:
	v_add_u32_e32 v70, -2, v0
	s_movk_i32 s14, 0x88
	s_mov_b64 s[4:5], 0
.LBB95_293:                             ; =>This Inner Loop Header: Depth=1
	buffer_load_dword v71, v68, s[0:3], 0 offen
	v_mov_b32_e32 v72, s14
	ds_read_b32 v72, v72
	v_add_u32_e32 v70, -1, v70
	s_add_i32 s14, s14, 4
	v_cmp_eq_u32_e32 vcc, 0, v70
	v_add_u32_e32 v68, 4, v68
	s_or_b64 s[4:5], vcc, s[4:5]
	s_waitcnt vmcnt(0) lgkmcnt(0)
	v_fmac_f32_e32 v69, v71, v72
	s_andn2_b64 exec, exec, s[4:5]
	s_cbranch_execnz .LBB95_293
; %bb.294:
	s_or_b64 exec, exec, s[4:5]
.LBB95_295:
	s_or_b64 exec, exec, s[12:13]
	v_mov_b32_e32 v68, 0
	ds_read_b32 v68, v68 offset:4
	s_waitcnt lgkmcnt(0)
	v_mul_f32_e32 v68, v69, v68
	buffer_store_dword v68, off, s[0:3], 0 offset:4
.LBB95_296:
	s_or_b64 exec, exec, s[10:11]
	buffer_load_dword v68, off, s[0:3], 0
	v_cmp_ne_u32_e32 vcc, 0, v0
	s_waitcnt vmcnt(0)
	ds_write_b32 v66, v68
	s_waitcnt lgkmcnt(0)
	; wave barrier
	s_waitcnt lgkmcnt(0)
	s_and_saveexec_b64 s[4:5], vcc
	s_cbranch_execz .LBB95_306
; %bb.297:
	s_andn2_b64 vcc, exec, s[8:9]
	s_cbranch_vccnz .LBB95_299
; %bb.298:
	buffer_load_dword v68, v67, s[0:3], 0 offen
	ds_read_b32 v69, v66
	s_waitcnt vmcnt(0) lgkmcnt(0)
	v_mul_f32_e32 v68, v68, v69
	s_cbranch_execz .LBB95_300
	s_branch .LBB95_301
.LBB95_299:
                                        ; implicit-def: $vgpr68
.LBB95_300:
	ds_read_b32 v68, v66
.LBB95_301:
	s_and_saveexec_b64 s[10:11], s[6:7]
	s_cbranch_execz .LBB95_305
; %bb.302:
	v_mov_b32_e32 v69, 0
	v_or_b32_e32 v69, 4, v69
	v_add_u32_e32 v70, -1, v0
	s_movk_i32 s12, 0x84
	s_mov_b64 s[6:7], 0
.LBB95_303:                             ; =>This Inner Loop Header: Depth=1
	buffer_load_dword v71, v69, s[0:3], 0 offen
	v_mov_b32_e32 v72, s12
	ds_read_b32 v72, v72
	v_add_u32_e32 v70, -1, v70
	s_add_i32 s12, s12, 4
	v_cmp_eq_u32_e32 vcc, 0, v70
	v_add_u32_e32 v69, 4, v69
	s_or_b64 s[6:7], vcc, s[6:7]
	s_waitcnt vmcnt(0) lgkmcnt(0)
	v_fmac_f32_e32 v68, v71, v72
	s_andn2_b64 exec, exec, s[6:7]
	s_cbranch_execnz .LBB95_303
; %bb.304:
	s_or_b64 exec, exec, s[6:7]
.LBB95_305:
	s_or_b64 exec, exec, s[10:11]
	v_mov_b32_e32 v69, 0
	ds_read_b32 v69, v69
	s_waitcnt lgkmcnt(0)
	v_mul_f32_e32 v68, v68, v69
	buffer_store_dword v68, off, s[0:3], 0
.LBB95_306:
	s_or_b64 exec, exec, s[4:5]
	s_mov_b64 s[4:5], 0
.LBB95_307:
	s_and_b64 vcc, exec, s[4:5]
	s_cbranch_vccz .LBB95_611
; %bb.308:
	buffer_load_dword v68, off, s[0:3], 0 offset:4
	v_cmp_eq_u32_e64 s[6:7], 0, v0
	s_waitcnt vmcnt(0)
	ds_write_b32 v66, v68
	s_waitcnt lgkmcnt(0)
	; wave barrier
	s_waitcnt lgkmcnt(0)
	s_and_saveexec_b64 s[4:5], s[6:7]
	s_cbranch_execz .LBB95_314
; %bb.309:
	s_and_b64 vcc, exec, s[8:9]
	s_cbranch_vccz .LBB95_311
; %bb.310:
	buffer_load_dword v68, v67, s[0:3], 0 offen
	ds_read_b32 v69, v66
	s_waitcnt vmcnt(0) lgkmcnt(0)
	v_mul_f32_e32 v68, v68, v69
	s_cbranch_execz .LBB95_312
	s_branch .LBB95_313
.LBB95_311:
                                        ; implicit-def: $vgpr68
.LBB95_312:
	ds_read_b32 v68, v66
.LBB95_313:
	v_mov_b32_e32 v69, 0
	ds_read_b32 v69, v69 offset:4
	s_waitcnt lgkmcnt(0)
	v_mul_f32_e32 v68, v68, v69
	buffer_store_dword v68, off, s[0:3], 0 offset:4
.LBB95_314:
	s_or_b64 exec, exec, s[4:5]
	buffer_load_dword v68, off, s[0:3], 0 offset:8
	v_cndmask_b32_e64 v69, 0, 1, s[8:9]
	v_cmp_gt_u32_e32 vcc, 2, v0
	v_cmp_ne_u32_e64 s[4:5], 1, v69
	s_waitcnt vmcnt(0)
	ds_write_b32 v66, v68
	s_waitcnt lgkmcnt(0)
	; wave barrier
	s_waitcnt lgkmcnt(0)
	s_and_saveexec_b64 s[8:9], vcc
	s_cbranch_execz .LBB95_322
; %bb.315:
	s_and_b64 vcc, exec, s[4:5]
	s_cbranch_vccnz .LBB95_317
; %bb.316:
	buffer_load_dword v68, v67, s[0:3], 0 offen
	ds_read_b32 v69, v66
	s_waitcnt vmcnt(0) lgkmcnt(0)
	v_mul_f32_e32 v68, v68, v69
	s_cbranch_execz .LBB95_318
	s_branch .LBB95_319
.LBB95_317:
                                        ; implicit-def: $vgpr68
.LBB95_318:
	ds_read_b32 v68, v66
.LBB95_319:
	s_and_saveexec_b64 s[10:11], s[6:7]
	s_cbranch_execz .LBB95_321
; %bb.320:
	buffer_load_dword v69, v67, s[0:3], 0 offen offset:4
	ds_read_b32 v70, v66 offset:4
	s_waitcnt vmcnt(0) lgkmcnt(0)
	v_fmac_f32_e32 v68, v69, v70
.LBB95_321:
	s_or_b64 exec, exec, s[10:11]
	v_mov_b32_e32 v69, 0
	ds_read_b32 v69, v69 offset:8
	s_waitcnt lgkmcnt(0)
	v_mul_f32_e32 v68, v68, v69
	buffer_store_dword v68, off, s[0:3], 0 offset:8
.LBB95_322:
	s_or_b64 exec, exec, s[8:9]
	buffer_load_dword v68, off, s[0:3], 0 offset:12
	v_cmp_gt_u32_e32 vcc, 3, v0
	s_waitcnt vmcnt(0)
	ds_write_b32 v66, v68
	s_waitcnt lgkmcnt(0)
	; wave barrier
	s_waitcnt lgkmcnt(0)
	s_and_saveexec_b64 s[8:9], vcc
	s_cbranch_execz .LBB95_330
; %bb.323:
	s_and_b64 vcc, exec, s[4:5]
	s_cbranch_vccnz .LBB95_325
; %bb.324:
	buffer_load_dword v68, v67, s[0:3], 0 offen
	ds_read_b32 v69, v66
	s_waitcnt vmcnt(0) lgkmcnt(0)
	v_mul_f32_e32 v68, v68, v69
	s_cbranch_execz .LBB95_326
	s_branch .LBB95_327
.LBB95_325:
                                        ; implicit-def: $vgpr68
.LBB95_326:
	ds_read_b32 v68, v66
.LBB95_327:
	v_cmp_ne_u32_e32 vcc, 2, v0
	s_and_saveexec_b64 s[10:11], vcc
	s_cbranch_execz .LBB95_329
; %bb.328:
	buffer_load_dword v69, v67, s[0:3], 0 offen offset:4
	buffer_load_dword v70, off, s[0:3], 0 offset:8
	v_mov_b32_e32 v71, 0
	ds_read_b32 v72, v66 offset:4
	ds_read_b32 v71, v71 offset:136
	s_waitcnt vmcnt(1) lgkmcnt(1)
	v_fmac_f32_e32 v68, v69, v72
	s_waitcnt vmcnt(0) lgkmcnt(0)
	v_fma_f32 v69, v70, v71, v68
	v_cndmask_b32_e64 v68, v68, v69, s[6:7]
.LBB95_329:
	s_or_b64 exec, exec, s[10:11]
	v_mov_b32_e32 v69, 0
	ds_read_b32 v69, v69 offset:12
	s_waitcnt lgkmcnt(0)
	v_mul_f32_e32 v68, v68, v69
	buffer_store_dword v68, off, s[0:3], 0 offset:12
.LBB95_330:
	s_or_b64 exec, exec, s[8:9]
	buffer_load_dword v68, off, s[0:3], 0 offset:16
	v_cmp_gt_u32_e32 vcc, 4, v0
	s_waitcnt vmcnt(0)
	ds_write_b32 v66, v68
	s_waitcnt lgkmcnt(0)
	; wave barrier
	s_waitcnt lgkmcnt(0)
	s_and_saveexec_b64 s[6:7], vcc
	s_cbranch_execz .LBB95_340
; %bb.331:
	s_and_b64 vcc, exec, s[4:5]
	s_cbranch_vccnz .LBB95_333
; %bb.332:
	buffer_load_dword v68, v67, s[0:3], 0 offen
	ds_read_b32 v69, v66
	s_waitcnt vmcnt(0) lgkmcnt(0)
	v_mul_f32_e32 v68, v68, v69
	s_cbranch_execz .LBB95_334
	s_branch .LBB95_335
.LBB95_333:
                                        ; implicit-def: $vgpr68
.LBB95_334:
	ds_read_b32 v68, v66
.LBB95_335:
	v_cmp_ne_u32_e32 vcc, 3, v0
	s_and_saveexec_b64 s[8:9], vcc
	s_cbranch_execz .LBB95_339
; %bb.336:
	v_mov_b32_e32 v70, 0
	v_add_u32_e32 v69, 0x84, v1
	v_add3_u32 v70, v1, v70, 4
	s_mov_b64 s[10:11], 0
	v_mov_b32_e32 v71, v0
.LBB95_337:                             ; =>This Inner Loop Header: Depth=1
	buffer_load_dword v72, v70, s[0:3], 0 offen
	ds_read_b32 v73, v69
	v_add_u32_e32 v71, 1, v71
	v_cmp_lt_u32_e32 vcc, 2, v71
	v_add_u32_e32 v69, 4, v69
	v_add_u32_e32 v70, 4, v70
	s_or_b64 s[10:11], vcc, s[10:11]
	s_waitcnt vmcnt(0) lgkmcnt(0)
	v_fmac_f32_e32 v68, v72, v73
	s_andn2_b64 exec, exec, s[10:11]
	s_cbranch_execnz .LBB95_337
; %bb.338:
	s_or_b64 exec, exec, s[10:11]
.LBB95_339:
	s_or_b64 exec, exec, s[8:9]
	v_mov_b32_e32 v69, 0
	ds_read_b32 v69, v69 offset:16
	s_waitcnt lgkmcnt(0)
	v_mul_f32_e32 v68, v68, v69
	buffer_store_dword v68, off, s[0:3], 0 offset:16
.LBB95_340:
	s_or_b64 exec, exec, s[6:7]
	buffer_load_dword v68, off, s[0:3], 0 offset:20
	v_cmp_gt_u32_e32 vcc, 5, v0
	s_waitcnt vmcnt(0)
	ds_write_b32 v66, v68
	s_waitcnt lgkmcnt(0)
	; wave barrier
	s_waitcnt lgkmcnt(0)
	s_and_saveexec_b64 s[6:7], vcc
	s_cbranch_execz .LBB95_350
; %bb.341:
	s_and_b64 vcc, exec, s[4:5]
	s_cbranch_vccnz .LBB95_343
; %bb.342:
	buffer_load_dword v68, v67, s[0:3], 0 offen
	ds_read_b32 v69, v66
	s_waitcnt vmcnt(0) lgkmcnt(0)
	v_mul_f32_e32 v68, v68, v69
	s_cbranch_execz .LBB95_344
	s_branch .LBB95_345
.LBB95_343:
                                        ; implicit-def: $vgpr68
.LBB95_344:
	ds_read_b32 v68, v66
.LBB95_345:
	v_cmp_ne_u32_e32 vcc, 4, v0
	s_and_saveexec_b64 s[8:9], vcc
	s_cbranch_execz .LBB95_349
; %bb.346:
	v_mov_b32_e32 v70, 0
	v_add_u32_e32 v69, 0x84, v1
	v_add3_u32 v70, v1, v70, 4
	s_mov_b64 s[10:11], 0
	v_mov_b32_e32 v71, v0
.LBB95_347:                             ; =>This Inner Loop Header: Depth=1
	buffer_load_dword v72, v70, s[0:3], 0 offen
	ds_read_b32 v73, v69
	v_add_u32_e32 v71, 1, v71
	v_cmp_lt_u32_e32 vcc, 3, v71
	v_add_u32_e32 v69, 4, v69
	v_add_u32_e32 v70, 4, v70
	s_or_b64 s[10:11], vcc, s[10:11]
	s_waitcnt vmcnt(0) lgkmcnt(0)
	v_fmac_f32_e32 v68, v72, v73
	s_andn2_b64 exec, exec, s[10:11]
	s_cbranch_execnz .LBB95_347
; %bb.348:
	s_or_b64 exec, exec, s[10:11]
.LBB95_349:
	s_or_b64 exec, exec, s[8:9]
	v_mov_b32_e32 v69, 0
	ds_read_b32 v69, v69 offset:20
	s_waitcnt lgkmcnt(0)
	v_mul_f32_e32 v68, v68, v69
	buffer_store_dword v68, off, s[0:3], 0 offset:20
.LBB95_350:
	;; [unrolled: 56-line block ×26, first 2 shown]
	s_or_b64 exec, exec, s[6:7]
	buffer_load_dword v68, off, s[0:3], 0 offset:120
	v_cmp_gt_u32_e64 s[6:7], 30, v0
	s_waitcnt vmcnt(0)
	ds_write_b32 v66, v68
	s_waitcnt lgkmcnt(0)
	; wave barrier
	s_waitcnt lgkmcnt(0)
	s_and_saveexec_b64 s[8:9], s[6:7]
	s_cbranch_execz .LBB95_600
; %bb.591:
	s_and_b64 vcc, exec, s[4:5]
	s_cbranch_vccnz .LBB95_593
; %bb.592:
	buffer_load_dword v68, v67, s[0:3], 0 offen
	ds_read_b32 v69, v66
	s_waitcnt vmcnt(0) lgkmcnt(0)
	v_mul_f32_e32 v68, v68, v69
	s_cbranch_execz .LBB95_594
	s_branch .LBB95_595
.LBB95_593:
                                        ; implicit-def: $vgpr68
.LBB95_594:
	ds_read_b32 v68, v66
.LBB95_595:
	v_cmp_ne_u32_e32 vcc, 29, v0
	s_and_saveexec_b64 s[10:11], vcc
	s_cbranch_execz .LBB95_599
; %bb.596:
	v_mov_b32_e32 v70, 0
	v_add_u32_e32 v69, 0x84, v1
	v_add3_u32 v70, v1, v70, 4
	s_mov_b64 s[12:13], 0
	v_mov_b32_e32 v71, v0
.LBB95_597:                             ; =>This Inner Loop Header: Depth=1
	buffer_load_dword v72, v70, s[0:3], 0 offen
	ds_read_b32 v73, v69
	v_add_u32_e32 v71, 1, v71
	v_cmp_lt_u32_e32 vcc, 28, v71
	v_add_u32_e32 v69, 4, v69
	v_add_u32_e32 v70, 4, v70
	s_or_b64 s[12:13], vcc, s[12:13]
	s_waitcnt vmcnt(0) lgkmcnt(0)
	v_fmac_f32_e32 v68, v72, v73
	s_andn2_b64 exec, exec, s[12:13]
	s_cbranch_execnz .LBB95_597
; %bb.598:
	s_or_b64 exec, exec, s[12:13]
.LBB95_599:
	s_or_b64 exec, exec, s[10:11]
	v_mov_b32_e32 v69, 0
	ds_read_b32 v69, v69 offset:120
	s_waitcnt lgkmcnt(0)
	v_mul_f32_e32 v68, v68, v69
	buffer_store_dword v68, off, s[0:3], 0 offset:120
.LBB95_600:
	s_or_b64 exec, exec, s[8:9]
	buffer_load_dword v68, off, s[0:3], 0 offset:124
	v_cmp_ne_u32_e32 vcc, 31, v0
	s_waitcnt vmcnt(0)
	ds_write_b32 v66, v68
	s_waitcnt lgkmcnt(0)
	; wave barrier
	s_waitcnt lgkmcnt(0)
	s_and_saveexec_b64 s[8:9], vcc
	s_cbranch_execz .LBB95_610
; %bb.601:
	s_and_b64 vcc, exec, s[4:5]
	s_cbranch_vccnz .LBB95_603
; %bb.602:
	buffer_load_dword v67, v67, s[0:3], 0 offen
	ds_read_b32 v68, v66
	s_waitcnt vmcnt(0) lgkmcnt(0)
	v_mul_f32_e32 v67, v67, v68
	s_cbranch_execz .LBB95_604
	s_branch .LBB95_605
.LBB95_603:
                                        ; implicit-def: $vgpr67
.LBB95_604:
	ds_read_b32 v67, v66
.LBB95_605:
	s_and_saveexec_b64 s[4:5], s[6:7]
	s_cbranch_execz .LBB95_609
; %bb.606:
	v_mov_b32_e32 v68, 0
	v_add_u32_e32 v66, 0x84, v1
	v_add3_u32 v1, v1, v68, 4
	s_mov_b64 s[6:7], 0
.LBB95_607:                             ; =>This Inner Loop Header: Depth=1
	buffer_load_dword v68, v1, s[0:3], 0 offen
	ds_read_b32 v69, v66
	v_add_u32_e32 v0, 1, v0
	v_cmp_lt_u32_e32 vcc, 29, v0
	v_add_u32_e32 v66, 4, v66
	v_add_u32_e32 v1, 4, v1
	s_or_b64 s[6:7], vcc, s[6:7]
	s_waitcnt vmcnt(0) lgkmcnt(0)
	v_fmac_f32_e32 v67, v68, v69
	s_andn2_b64 exec, exec, s[6:7]
	s_cbranch_execnz .LBB95_607
; %bb.608:
	s_or_b64 exec, exec, s[6:7]
.LBB95_609:
	s_or_b64 exec, exec, s[4:5]
	v_mov_b32_e32 v0, 0
	ds_read_b32 v0, v0 offset:124
	s_waitcnt lgkmcnt(0)
	v_mul_f32_e32 v0, v67, v0
	buffer_store_dword v0, off, s[0:3], 0 offset:124
.LBB95_610:
	s_or_b64 exec, exec, s[8:9]
.LBB95_611:
	buffer_load_dword v0, off, s[0:3], 0
	buffer_load_dword v1, off, s[0:3], 0 offset:4
	buffer_load_dword v66, off, s[0:3], 0 offset:8
	;; [unrolled: 1-line block ×23, first 2 shown]
	s_waitcnt vmcnt(23)
	global_store_dword v[52:53], v0, off
	s_waitcnt vmcnt(23)
	global_store_dword v[56:57], v1, off
	buffer_load_dword v0, off, s[0:3], 0 offset:96
	s_nop 0
	buffer_load_dword v1, off, s[0:3], 0 offset:100
	buffer_load_dword v52, off, s[0:3], 0 offset:104
	;; [unrolled: 1-line block ×7, first 2 shown]
	s_waitcnt vmcnt(31)
	global_store_dword v[2:3], v66, off
	s_waitcnt vmcnt(31)
	global_store_dword v[4:5], v67, off
	;; [unrolled: 2-line block ×30, first 2 shown]
.LBB95_612:
	s_endpgm
	.section	.rodata,"a",@progbits
	.p2align	6, 0x0
	.amdhsa_kernel _ZN9rocsolver6v33100L18trti2_kernel_smallILi32EfPKPfEEv13rocblas_fill_17rocblas_diagonal_T1_iil
		.amdhsa_group_segment_fixed_size 256
		.amdhsa_private_segment_fixed_size 144
		.amdhsa_kernarg_size 32
		.amdhsa_user_sgpr_count 8
		.amdhsa_user_sgpr_private_segment_buffer 1
		.amdhsa_user_sgpr_dispatch_ptr 0
		.amdhsa_user_sgpr_queue_ptr 0
		.amdhsa_user_sgpr_kernarg_segment_ptr 1
		.amdhsa_user_sgpr_dispatch_id 0
		.amdhsa_user_sgpr_flat_scratch_init 1
		.amdhsa_user_sgpr_kernarg_preload_length 0
		.amdhsa_user_sgpr_kernarg_preload_offset 0
		.amdhsa_user_sgpr_private_segment_size 0
		.amdhsa_uses_dynamic_stack 0
		.amdhsa_system_sgpr_private_segment_wavefront_offset 1
		.amdhsa_system_sgpr_workgroup_id_x 1
		.amdhsa_system_sgpr_workgroup_id_y 0
		.amdhsa_system_sgpr_workgroup_id_z 0
		.amdhsa_system_sgpr_workgroup_info 0
		.amdhsa_system_vgpr_workitem_id 0
		.amdhsa_next_free_vgpr 92
		.amdhsa_next_free_sgpr 16
		.amdhsa_accum_offset 92
		.amdhsa_reserve_vcc 1
		.amdhsa_reserve_flat_scratch 0
		.amdhsa_float_round_mode_32 0
		.amdhsa_float_round_mode_16_64 0
		.amdhsa_float_denorm_mode_32 3
		.amdhsa_float_denorm_mode_16_64 3
		.amdhsa_dx10_clamp 1
		.amdhsa_ieee_mode 1
		.amdhsa_fp16_overflow 0
		.amdhsa_tg_split 0
		.amdhsa_exception_fp_ieee_invalid_op 0
		.amdhsa_exception_fp_denorm_src 0
		.amdhsa_exception_fp_ieee_div_zero 0
		.amdhsa_exception_fp_ieee_overflow 0
		.amdhsa_exception_fp_ieee_underflow 0
		.amdhsa_exception_fp_ieee_inexact 0
		.amdhsa_exception_int_div_zero 0
	.end_amdhsa_kernel
	.section	.text._ZN9rocsolver6v33100L18trti2_kernel_smallILi32EfPKPfEEv13rocblas_fill_17rocblas_diagonal_T1_iil,"axG",@progbits,_ZN9rocsolver6v33100L18trti2_kernel_smallILi32EfPKPfEEv13rocblas_fill_17rocblas_diagonal_T1_iil,comdat
.Lfunc_end95:
	.size	_ZN9rocsolver6v33100L18trti2_kernel_smallILi32EfPKPfEEv13rocblas_fill_17rocblas_diagonal_T1_iil, .Lfunc_end95-_ZN9rocsolver6v33100L18trti2_kernel_smallILi32EfPKPfEEv13rocblas_fill_17rocblas_diagonal_T1_iil
                                        ; -- End function
	.section	.AMDGPU.csdata,"",@progbits
; Kernel info:
; codeLenInByte = 15504
; NumSgprs: 20
; NumVgprs: 92
; NumAgprs: 0
; TotalNumVgprs: 92
; ScratchSize: 144
; MemoryBound: 0
; FloatMode: 240
; IeeeMode: 1
; LDSByteSize: 256 bytes/workgroup (compile time only)
; SGPRBlocks: 2
; VGPRBlocks: 11
; NumSGPRsForWavesPerEU: 20
; NumVGPRsForWavesPerEU: 92
; AccumOffset: 92
; Occupancy: 5
; WaveLimiterHint : 1
; COMPUTE_PGM_RSRC2:SCRATCH_EN: 1
; COMPUTE_PGM_RSRC2:USER_SGPR: 8
; COMPUTE_PGM_RSRC2:TRAP_HANDLER: 0
; COMPUTE_PGM_RSRC2:TGID_X_EN: 1
; COMPUTE_PGM_RSRC2:TGID_Y_EN: 0
; COMPUTE_PGM_RSRC2:TGID_Z_EN: 0
; COMPUTE_PGM_RSRC2:TIDIG_COMP_CNT: 0
; COMPUTE_PGM_RSRC3_GFX90A:ACCUM_OFFSET: 22
; COMPUTE_PGM_RSRC3_GFX90A:TG_SPLIT: 0
	.section	.text._ZN9rocsolver6v33100L18trti2_kernel_smallILi33EfPKPfEEv13rocblas_fill_17rocblas_diagonal_T1_iil,"axG",@progbits,_ZN9rocsolver6v33100L18trti2_kernel_smallILi33EfPKPfEEv13rocblas_fill_17rocblas_diagonal_T1_iil,comdat
	.globl	_ZN9rocsolver6v33100L18trti2_kernel_smallILi33EfPKPfEEv13rocblas_fill_17rocblas_diagonal_T1_iil ; -- Begin function _ZN9rocsolver6v33100L18trti2_kernel_smallILi33EfPKPfEEv13rocblas_fill_17rocblas_diagonal_T1_iil
	.p2align	8
	.type	_ZN9rocsolver6v33100L18trti2_kernel_smallILi33EfPKPfEEv13rocblas_fill_17rocblas_diagonal_T1_iil,@function
_ZN9rocsolver6v33100L18trti2_kernel_smallILi33EfPKPfEEv13rocblas_fill_17rocblas_diagonal_T1_iil: ; @_ZN9rocsolver6v33100L18trti2_kernel_smallILi33EfPKPfEEv13rocblas_fill_17rocblas_diagonal_T1_iil
; %bb.0:
	s_add_u32 s0, s0, s9
	s_addc_u32 s1, s1, 0
	v_cmp_gt_u32_e32 vcc, 33, v0
	s_and_saveexec_b64 s[6:7], vcc
	s_cbranch_execz .LBB96_632
; %bb.1:
	s_load_dwordx2 s[6:7], s[4:5], 0x10
	s_load_dwordx4 s[12:15], s[4:5], 0x0
	s_ashr_i32 s9, s8, 31
	s_lshl_b64 s[4:5], s[8:9], 3
	s_waitcnt lgkmcnt(0)
	s_ashr_i32 s9, s6, 31
	s_add_u32 s4, s14, s4
	s_addc_u32 s5, s15, s5
	s_load_dwordx2 s[4:5], s[4:5], 0x0
	s_mov_b32 s8, s6
	s_lshl_b64 s[8:9], s[8:9], 2
	s_waitcnt lgkmcnt(0)
	s_add_u32 s4, s4, s8
	s_addc_u32 s5, s5, s9
	s_add_i32 s6, s7, s7
	v_add_u32_e32 v4, s6, v0
	v_ashrrev_i32_e32 v5, 31, v4
	v_lshlrev_b64 v[2:3], 2, v[4:5]
	v_add_u32_e32 v6, s7, v4
	v_mov_b32_e32 v1, s5
	v_add_co_u32_e32 v2, vcc, s4, v2
	v_ashrrev_i32_e32 v7, 31, v6
	v_addc_co_u32_e32 v3, vcc, v1, v3, vcc
	v_lshlrev_b64 v[4:5], 2, v[6:7]
	v_add_u32_e32 v8, s7, v6
	v_add_co_u32_e32 v4, vcc, s4, v4
	v_ashrrev_i32_e32 v9, 31, v8
	v_addc_co_u32_e32 v5, vcc, v1, v5, vcc
	v_lshlrev_b64 v[6:7], 2, v[8:9]
	v_add_u32_e32 v10, s7, v8
	;; [unrolled: 5-line block ×20, first 2 shown]
	v_add_co_u32_e32 v42, vcc, s4, v42
	v_ashrrev_i32_e32 v47, 31, v46
	v_addc_co_u32_e32 v43, vcc, v1, v43, vcc
	v_lshlrev_b64 v[44:45], 2, v[46:47]
	v_add_co_u32_e32 v44, vcc, s4, v44
	v_addc_co_u32_e32 v45, vcc, v1, v45, vcc
	v_lshlrev_b32_e32 v1, 2, v0
	v_add_u32_e32 v48, s7, v46
	v_mov_b32_e32 v46, s5
	v_add_co_u32_e32 v56, vcc, s4, v1
	s_ashr_i32 s9, s7, 31
	s_mov_b32 s8, s7
	v_addc_co_u32_e32 v57, vcc, 0, v46, vcc
	s_lshl_b64 s[8:9], s[8:9], 2
	v_mov_b32_e32 v46, s9
	v_add_co_u32_e32 v60, vcc, s8, v56
	v_addc_co_u32_e32 v61, vcc, v57, v46, vcc
	global_load_dword v68, v1, s[4:5]
	global_load_dword v69, v[60:61], off
	global_load_dword v70, v[2:3], off
	;; [unrolled: 1-line block ×8, first 2 shown]
	v_ashrrev_i32_e32 v49, 31, v48
	v_lshlrev_b64 v[46:47], 2, v[48:49]
	v_add_u32_e32 v50, s7, v48
	v_mov_b32_e32 v49, s5
	v_add_co_u32_e32 v46, vcc, s4, v46
	v_ashrrev_i32_e32 v51, 31, v50
	v_addc_co_u32_e32 v47, vcc, v49, v47, vcc
	v_lshlrev_b64 v[48:49], 2, v[50:51]
	v_add_u32_e32 v52, s7, v50
	v_mov_b32_e32 v51, s5
	v_add_co_u32_e32 v48, vcc, s4, v48
	v_ashrrev_i32_e32 v53, 31, v52
	v_addc_co_u32_e32 v49, vcc, v51, v49, vcc
	;; [unrolled: 6-line block ×6, first 2 shown]
	v_lshlrev_b64 v[62:63], 2, v[64:65]
	v_mov_b32_e32 v66, s5
	v_add_co_u32_e32 v62, vcc, s4, v62
	v_addc_co_u32_e32 v63, vcc, v66, v63, vcc
	v_add_u32_e32 v66, s7, v64
	v_ashrrev_i32_e32 v67, 31, v66
	v_lshlrev_b64 v[64:65], 2, v[66:67]
	v_add_u32_e32 v66, s7, v66
	v_mov_b32_e32 v77, s5
	v_add_co_u32_e32 v64, vcc, s4, v64
	v_ashrrev_i32_e32 v67, 31, v66
	v_addc_co_u32_e32 v65, vcc, v77, v65, vcc
	v_lshlrev_b64 v[66:67], 2, v[66:67]
	v_add_co_u32_e32 v66, vcc, s4, v66
	s_waitcnt vmcnt(8)
	buffer_store_dword v68, off, s[0:3], 0
	s_waitcnt vmcnt(8)
	buffer_store_dword v69, off, s[0:3], 0 offset:4
	s_waitcnt vmcnt(8)
	buffer_store_dword v70, off, s[0:3], 0 offset:8
	;; [unrolled: 2-line block ×5, first 2 shown]
	v_addc_co_u32_e32 v67, vcc, v77, v67, vcc
	global_load_dword v68, v[16:17], off
	global_load_dword v69, v[22:23], off
	;; [unrolled: 1-line block ×8, first 2 shown]
	s_waitcnt vmcnt(16)
	buffer_store_dword v74, off, s[0:3], 0 offset:24
	s_waitcnt vmcnt(16)
	buffer_store_dword v75, off, s[0:3], 0 offset:28
	global_load_dword v74, v[32:33], off
	s_nop 0
	global_load_dword v75, v[34:35], off
	global_load_dword v79, v[36:37], off
	;; [unrolled: 1-line block ×14, first 2 shown]
	s_cmpk_lg_i32 s13, 0x84
	s_waitcnt vmcnt(31)
	buffer_store_dword v76, off, s[0:3], 0 offset:32
	global_load_dword v76, v[64:65], off
	s_waitcnt vmcnt(26)
	buffer_store_dword v68, off, s[0:3], 0 offset:36
	s_waitcnt vmcnt(21)
	buffer_store_dword v77, off, s[0:3], 0 offset:44
	;; [unrolled: 2-line block ×3, first 2 shown]
	buffer_store_dword v69, off, s[0:3], 0 offset:48
	buffer_store_dword v70, off, s[0:3], 0 offset:52
	;; [unrolled: 1-line block ×5, first 2 shown]
	s_waitcnt vmcnt(24)
	buffer_store_dword v74, off, s[0:3], 0 offset:68
	s_waitcnt vmcnt(24)
	buffer_store_dword v75, off, s[0:3], 0 offset:72
	;; [unrolled: 2-line block ×5, first 2 shown]
	buffer_store_dword v81, off, s[0:3], 0 offset:92
	buffer_store_dword v82, off, s[0:3], 0 offset:88
	s_waitcnt vmcnt(23)
	buffer_store_dword v85, off, s[0:3], 0 offset:100
	buffer_store_dword v80, off, s[0:3], 0 offset:96
	s_waitcnt vmcnt(21)
	buffer_store_dword v89, off, s[0:3], 0 offset:108
	s_waitcnt vmcnt(21)
	;; [unrolled: 2-line block ×3, first 2 shown]
	buffer_store_dword v91, off, s[0:3], 0 offset:116
	buffer_store_dword v88, off, s[0:3], 0 offset:112
	s_waitcnt vmcnt(21)
	buffer_store_dword v76, off, s[0:3], 0 offset:124
	buffer_store_dword v87, off, s[0:3], 0 offset:120
	;; [unrolled: 1-line block ×3, first 2 shown]
	s_cselect_b64 s[10:11], -1, 0
	s_cmpk_eq_i32 s13, 0x84
	v_mov_b32_e32 v84, 0
	v_mov_b32_e32 v68, -1.0
	s_cbranch_scc1 .LBB96_3
; %bb.2:
	v_lshl_add_u32 v68, v0, 2, v84
	buffer_load_dword v69, v68, s[0:3], 0 offen
	s_waitcnt vmcnt(0)
	v_div_scale_f32 v70, s[4:5], v69, v69, 1.0
	v_rcp_f32_e32 v71, v70
	v_div_scale_f32 v72, vcc, 1.0, v69, 1.0
	v_fma_f32 v73, -v70, v71, 1.0
	v_fmac_f32_e32 v71, v73, v71
	v_mul_f32_e32 v73, v72, v71
	v_fma_f32 v74, -v70, v73, v72
	v_fmac_f32_e32 v73, v74, v71
	v_fma_f32 v70, -v70, v73, v72
	v_div_fmas_f32 v70, v70, v71, v73
	v_div_fixup_f32 v69, v70, v69, 1.0
	buffer_store_dword v69, v68, s[0:3], 0 offen
	v_xor_b32_e32 v68, 0x80000000, v69
.LBB96_3:
	ds_write_b32 v1, v68
	s_cmpk_eq_i32 s12, 0x79
	v_add_u32_e32 v68, 0x90, v1
	v_add_u32_e32 v69, 0, v1
	s_mov_b64 s[4:5], -1
	s_cbranch_scc1 .LBB96_317
; %bb.4:
	buffer_load_dword v70, off, s[0:3], 0 offset:124
	v_cmp_eq_u32_e64 s[4:5], 32, v0
	s_waitcnt vmcnt(0)
	ds_write_b32 v68, v70
	s_waitcnt lgkmcnt(0)
	; wave barrier
	s_waitcnt lgkmcnt(0)
	s_and_saveexec_b64 s[6:7], s[4:5]
	s_cbranch_execz .LBB96_10
; %bb.5:
	s_and_b64 vcc, exec, s[10:11]
	s_cbranch_vccz .LBB96_7
; %bb.6:
	buffer_load_dword v70, v69, s[0:3], 0 offen
	ds_read_b32 v71, v68
	s_waitcnt vmcnt(0) lgkmcnt(0)
	v_mul_f32_e32 v70, v70, v71
	s_cbranch_execz .LBB96_8
	s_branch .LBB96_9
.LBB96_7:
                                        ; implicit-def: $vgpr70
.LBB96_8:
	ds_read_b32 v70, v68
.LBB96_9:
	v_mov_b32_e32 v71, 0
	ds_read_b32 v71, v71 offset:124
	s_waitcnt lgkmcnt(0)
	v_mul_f32_e32 v70, v70, v71
	buffer_store_dword v70, off, s[0:3], 0 offset:124
.LBB96_10:
	s_or_b64 exec, exec, s[6:7]
	buffer_load_dword v85, off, s[0:3], 0 offset:120
	v_or_b32_e32 v70, 8, v84
	v_add_u32_e32 v71, 16, v84
	v_add_u32_e32 v72, 24, v84
	;; [unrolled: 1-line block ×14, first 2 shown]
	v_cmp_lt_u32_e64 s[8:9], 30, v0
	s_waitcnt vmcnt(0)
	ds_write_b32 v68, v85
	s_waitcnt lgkmcnt(0)
	; wave barrier
	s_waitcnt lgkmcnt(0)
	s_and_saveexec_b64 s[6:7], s[8:9]
	s_cbranch_execz .LBB96_16
; %bb.11:
	s_andn2_b64 vcc, exec, s[10:11]
	s_cbranch_vccnz .LBB96_13
; %bb.12:
	buffer_load_dword v85, v69, s[0:3], 0 offen
	ds_read_b32 v86, v68
	s_waitcnt vmcnt(0) lgkmcnt(0)
	v_mul_f32_e32 v85, v85, v86
	s_cbranch_execz .LBB96_14
	s_branch .LBB96_15
.LBB96_13:
                                        ; implicit-def: $vgpr85
.LBB96_14:
	ds_read_b32 v85, v68
.LBB96_15:
	buffer_load_dword v88, off, s[0:3], 0 offset:124
	v_mov_b32_e32 v86, 0
	ds_read2_b32 v[86:87], v86 offset0:30 offset1:67
	s_waitcnt vmcnt(0) lgkmcnt(0)
	v_fma_f32 v87, v88, v87, v85
	v_cndmask_b32_e64 v85, v85, v87, s[4:5]
	v_mul_f32_e32 v85, v85, v86
	buffer_store_dword v85, off, s[0:3], 0 offset:120
.LBB96_16:
	s_or_b64 exec, exec, s[6:7]
	buffer_load_dword v85, off, s[0:3], 0 offset:116
	v_cmp_lt_u32_e64 s[6:7], 29, v0
	s_waitcnt vmcnt(0)
	ds_write_b32 v68, v85
	s_waitcnt lgkmcnt(0)
	; wave barrier
	s_waitcnt lgkmcnt(0)
	s_and_saveexec_b64 s[4:5], s[6:7]
	s_cbranch_execz .LBB96_26
; %bb.17:
	s_andn2_b64 vcc, exec, s[10:11]
	s_cbranch_vccnz .LBB96_19
; %bb.18:
	buffer_load_dword v85, v69, s[0:3], 0 offen
	ds_read_b32 v86, v68
	s_waitcnt vmcnt(0) lgkmcnt(0)
	v_mul_f32_e32 v85, v85, v86
	s_cbranch_execz .LBB96_20
	s_branch .LBB96_21
.LBB96_19:
                                        ; implicit-def: $vgpr85
.LBB96_20:
	ds_read_b32 v85, v68
.LBB96_21:
	s_and_saveexec_b64 s[12:13], s[8:9]
	s_cbranch_execz .LBB96_25
; %bb.22:
	v_subrev_u32_e32 v86, 30, v0
	s_movk_i32 s14, 0x108
	s_mov_b64 s[8:9], 0
.LBB96_23:                              ; =>This Inner Loop Header: Depth=1
	buffer_load_dword v87, v84, s[0:3], 0 offen
	v_mov_b32_e32 v88, s14
	ds_read_b32 v88, v88
	v_add_u32_e32 v86, -1, v86
	s_add_i32 s14, s14, 4
	v_cmp_eq_u32_e32 vcc, 0, v86
	v_add_u32_e32 v84, 4, v84
	s_or_b64 s[8:9], vcc, s[8:9]
	s_waitcnt vmcnt(0) lgkmcnt(0)
	v_fmac_f32_e32 v85, v87, v88
	s_andn2_b64 exec, exec, s[8:9]
	s_cbranch_execnz .LBB96_23
; %bb.24:
	s_or_b64 exec, exec, s[8:9]
.LBB96_25:
	s_or_b64 exec, exec, s[12:13]
	v_mov_b32_e32 v84, 0
	ds_read_b32 v84, v84 offset:116
	s_waitcnt lgkmcnt(0)
	v_mul_f32_e32 v84, v85, v84
	buffer_store_dword v84, off, s[0:3], 0 offset:116
.LBB96_26:
	s_or_b64 exec, exec, s[4:5]
	buffer_load_dword v84, off, s[0:3], 0 offset:112
	v_cmp_lt_u32_e64 s[4:5], 28, v0
	s_waitcnt vmcnt(0)
	ds_write_b32 v68, v84
	s_waitcnt lgkmcnt(0)
	; wave barrier
	s_waitcnt lgkmcnt(0)
	s_and_saveexec_b64 s[8:9], s[4:5]
	s_cbranch_execz .LBB96_36
; %bb.27:
	s_andn2_b64 vcc, exec, s[10:11]
	s_cbranch_vccnz .LBB96_29
; %bb.28:
	buffer_load_dword v84, v69, s[0:3], 0 offen
	ds_read_b32 v85, v68
	s_waitcnt vmcnt(0) lgkmcnt(0)
	v_mul_f32_e32 v84, v84, v85
	s_cbranch_execz .LBB96_30
	s_branch .LBB96_31
.LBB96_29:
                                        ; implicit-def: $vgpr84
.LBB96_30:
	ds_read_b32 v84, v68
.LBB96_31:
	s_and_saveexec_b64 s[12:13], s[6:7]
	s_cbranch_execz .LBB96_35
; %bb.32:
	v_mov_b32_e32 v85, 0
	v_add_u32_e32 v85, 0x74, v85
	v_subrev_u32_e32 v86, 29, v0
	s_movk_i32 s14, 0x104
	s_mov_b64 s[6:7], 0
.LBB96_33:                              ; =>This Inner Loop Header: Depth=1
	buffer_load_dword v87, v85, s[0:3], 0 offen
	v_mov_b32_e32 v88, s14
	ds_read_b32 v88, v88
	v_add_u32_e32 v86, -1, v86
	s_add_i32 s14, s14, 4
	v_cmp_eq_u32_e32 vcc, 0, v86
	v_add_u32_e32 v85, 4, v85
	s_or_b64 s[6:7], vcc, s[6:7]
	s_waitcnt vmcnt(0) lgkmcnt(0)
	v_fmac_f32_e32 v84, v87, v88
	s_andn2_b64 exec, exec, s[6:7]
	s_cbranch_execnz .LBB96_33
; %bb.34:
	s_or_b64 exec, exec, s[6:7]
.LBB96_35:
	s_or_b64 exec, exec, s[12:13]
	v_mov_b32_e32 v85, 0
	ds_read_b32 v85, v85 offset:112
	s_waitcnt lgkmcnt(0)
	v_mul_f32_e32 v84, v84, v85
	buffer_store_dword v84, off, s[0:3], 0 offset:112
.LBB96_36:
	s_or_b64 exec, exec, s[8:9]
	buffer_load_dword v84, off, s[0:3], 0 offset:108
	v_cmp_lt_u32_e64 s[6:7], 27, v0
	s_waitcnt vmcnt(0)
	ds_write_b32 v68, v84
	s_waitcnt lgkmcnt(0)
	; wave barrier
	s_waitcnt lgkmcnt(0)
	s_and_saveexec_b64 s[8:9], s[6:7]
	s_cbranch_execz .LBB96_46
; %bb.37:
	s_andn2_b64 vcc, exec, s[10:11]
	s_cbranch_vccnz .LBB96_39
; %bb.38:
	buffer_load_dword v84, v69, s[0:3], 0 offen
	ds_read_b32 v85, v68
	s_waitcnt vmcnt(0) lgkmcnt(0)
	v_mul_f32_e32 v84, v84, v85
	s_cbranch_execz .LBB96_40
	s_branch .LBB96_41
.LBB96_39:
                                        ; implicit-def: $vgpr84
.LBB96_40:
	ds_read_b32 v84, v68
.LBB96_41:
	s_and_saveexec_b64 s[12:13], s[4:5]
	s_cbranch_execz .LBB96_45
; %bb.42:
	v_subrev_u32_e32 v85, 28, v0
	s_movk_i32 s14, 0x100
	s_mov_b64 s[4:5], 0
.LBB96_43:                              ; =>This Inner Loop Header: Depth=1
	buffer_load_dword v86, v83, s[0:3], 0 offen
	v_mov_b32_e32 v87, s14
	ds_read_b32 v87, v87
	v_add_u32_e32 v85, -1, v85
	s_add_i32 s14, s14, 4
	v_cmp_eq_u32_e32 vcc, 0, v85
	v_add_u32_e32 v83, 4, v83
	s_or_b64 s[4:5], vcc, s[4:5]
	s_waitcnt vmcnt(0) lgkmcnt(0)
	v_fmac_f32_e32 v84, v86, v87
	s_andn2_b64 exec, exec, s[4:5]
	s_cbranch_execnz .LBB96_43
; %bb.44:
	s_or_b64 exec, exec, s[4:5]
.LBB96_45:
	s_or_b64 exec, exec, s[12:13]
	v_mov_b32_e32 v83, 0
	ds_read_b32 v83, v83 offset:108
	s_waitcnt lgkmcnt(0)
	v_mul_f32_e32 v83, v84, v83
	buffer_store_dword v83, off, s[0:3], 0 offset:108
.LBB96_46:
	s_or_b64 exec, exec, s[8:9]
	buffer_load_dword v83, off, s[0:3], 0 offset:104
	v_cmp_lt_u32_e64 s[4:5], 26, v0
	s_waitcnt vmcnt(0)
	ds_write_b32 v68, v83
	s_waitcnt lgkmcnt(0)
	; wave barrier
	s_waitcnt lgkmcnt(0)
	s_and_saveexec_b64 s[8:9], s[4:5]
	s_cbranch_execz .LBB96_56
; %bb.47:
	s_andn2_b64 vcc, exec, s[10:11]
	s_cbranch_vccnz .LBB96_49
; %bb.48:
	buffer_load_dword v83, v69, s[0:3], 0 offen
	ds_read_b32 v84, v68
	s_waitcnt vmcnt(0) lgkmcnt(0)
	v_mul_f32_e32 v83, v83, v84
	s_cbranch_execz .LBB96_50
	s_branch .LBB96_51
.LBB96_49:
                                        ; implicit-def: $vgpr83
.LBB96_50:
	ds_read_b32 v83, v68
.LBB96_51:
	s_and_saveexec_b64 s[12:13], s[6:7]
	s_cbranch_execz .LBB96_55
; %bb.52:
	v_mov_b32_e32 v84, 0
	v_add_u32_e32 v84, 0x6c, v84
	v_subrev_u32_e32 v85, 27, v0
	s_movk_i32 s14, 0xfc
	s_mov_b64 s[6:7], 0
.LBB96_53:                              ; =>This Inner Loop Header: Depth=1
	buffer_load_dword v86, v84, s[0:3], 0 offen
	v_mov_b32_e32 v87, s14
	ds_read_b32 v87, v87
	v_add_u32_e32 v85, -1, v85
	s_add_i32 s14, s14, 4
	v_cmp_eq_u32_e32 vcc, 0, v85
	v_add_u32_e32 v84, 4, v84
	s_or_b64 s[6:7], vcc, s[6:7]
	s_waitcnt vmcnt(0) lgkmcnt(0)
	v_fmac_f32_e32 v83, v86, v87
	s_andn2_b64 exec, exec, s[6:7]
	s_cbranch_execnz .LBB96_53
; %bb.54:
	s_or_b64 exec, exec, s[6:7]
.LBB96_55:
	s_or_b64 exec, exec, s[12:13]
	v_mov_b32_e32 v84, 0
	ds_read_b32 v84, v84 offset:104
	s_waitcnt lgkmcnt(0)
	v_mul_f32_e32 v83, v83, v84
	buffer_store_dword v83, off, s[0:3], 0 offset:104
.LBB96_56:
	s_or_b64 exec, exec, s[8:9]
	buffer_load_dword v83, off, s[0:3], 0 offset:100
	v_cmp_lt_u32_e64 s[6:7], 25, v0
	s_waitcnt vmcnt(0)
	ds_write_b32 v68, v83
	s_waitcnt lgkmcnt(0)
	; wave barrier
	s_waitcnt lgkmcnt(0)
	s_and_saveexec_b64 s[8:9], s[6:7]
	s_cbranch_execz .LBB96_66
; %bb.57:
	s_andn2_b64 vcc, exec, s[10:11]
	s_cbranch_vccnz .LBB96_59
; %bb.58:
	buffer_load_dword v83, v69, s[0:3], 0 offen
	ds_read_b32 v84, v68
	s_waitcnt vmcnt(0) lgkmcnt(0)
	v_mul_f32_e32 v83, v83, v84
	s_cbranch_execz .LBB96_60
	s_branch .LBB96_61
.LBB96_59:
                                        ; implicit-def: $vgpr83
.LBB96_60:
	ds_read_b32 v83, v68
.LBB96_61:
	s_and_saveexec_b64 s[12:13], s[4:5]
	s_cbranch_execz .LBB96_65
; %bb.62:
	v_subrev_u32_e32 v84, 26, v0
	s_movk_i32 s14, 0xf8
	s_mov_b64 s[4:5], 0
.LBB96_63:                              ; =>This Inner Loop Header: Depth=1
	buffer_load_dword v85, v82, s[0:3], 0 offen
	v_mov_b32_e32 v86, s14
	ds_read_b32 v86, v86
	v_add_u32_e32 v84, -1, v84
	s_add_i32 s14, s14, 4
	v_cmp_eq_u32_e32 vcc, 0, v84
	v_add_u32_e32 v82, 4, v82
	s_or_b64 s[4:5], vcc, s[4:5]
	s_waitcnt vmcnt(0) lgkmcnt(0)
	v_fmac_f32_e32 v83, v85, v86
	s_andn2_b64 exec, exec, s[4:5]
	s_cbranch_execnz .LBB96_63
; %bb.64:
	s_or_b64 exec, exec, s[4:5]
.LBB96_65:
	s_or_b64 exec, exec, s[12:13]
	v_mov_b32_e32 v82, 0
	ds_read_b32 v82, v82 offset:100
	s_waitcnt lgkmcnt(0)
	v_mul_f32_e32 v82, v83, v82
	buffer_store_dword v82, off, s[0:3], 0 offset:100
.LBB96_66:
	s_or_b64 exec, exec, s[8:9]
	buffer_load_dword v82, off, s[0:3], 0 offset:96
	v_cmp_lt_u32_e64 s[4:5], 24, v0
	s_waitcnt vmcnt(0)
	ds_write_b32 v68, v82
	s_waitcnt lgkmcnt(0)
	; wave barrier
	s_waitcnt lgkmcnt(0)
	s_and_saveexec_b64 s[8:9], s[4:5]
	s_cbranch_execz .LBB96_76
; %bb.67:
	s_andn2_b64 vcc, exec, s[10:11]
	s_cbranch_vccnz .LBB96_69
; %bb.68:
	buffer_load_dword v82, v69, s[0:3], 0 offen
	ds_read_b32 v83, v68
	s_waitcnt vmcnt(0) lgkmcnt(0)
	v_mul_f32_e32 v82, v82, v83
	s_cbranch_execz .LBB96_70
	s_branch .LBB96_71
.LBB96_69:
                                        ; implicit-def: $vgpr82
.LBB96_70:
	ds_read_b32 v82, v68
.LBB96_71:
	s_and_saveexec_b64 s[12:13], s[6:7]
	s_cbranch_execz .LBB96_75
; %bb.72:
	v_mov_b32_e32 v83, 0
	v_add_u32_e32 v83, 0x64, v83
	v_subrev_u32_e32 v84, 25, v0
	s_movk_i32 s14, 0xf4
	s_mov_b64 s[6:7], 0
.LBB96_73:                              ; =>This Inner Loop Header: Depth=1
	buffer_load_dword v85, v83, s[0:3], 0 offen
	v_mov_b32_e32 v86, s14
	ds_read_b32 v86, v86
	v_add_u32_e32 v84, -1, v84
	s_add_i32 s14, s14, 4
	v_cmp_eq_u32_e32 vcc, 0, v84
	v_add_u32_e32 v83, 4, v83
	s_or_b64 s[6:7], vcc, s[6:7]
	s_waitcnt vmcnt(0) lgkmcnt(0)
	v_fmac_f32_e32 v82, v85, v86
	s_andn2_b64 exec, exec, s[6:7]
	s_cbranch_execnz .LBB96_73
; %bb.74:
	s_or_b64 exec, exec, s[6:7]
.LBB96_75:
	s_or_b64 exec, exec, s[12:13]
	v_mov_b32_e32 v83, 0
	ds_read_b32 v83, v83 offset:96
	s_waitcnt lgkmcnt(0)
	v_mul_f32_e32 v82, v82, v83
	buffer_store_dword v82, off, s[0:3], 0 offset:96
.LBB96_76:
	s_or_b64 exec, exec, s[8:9]
	buffer_load_dword v82, off, s[0:3], 0 offset:92
	v_cmp_lt_u32_e64 s[6:7], 23, v0
	s_waitcnt vmcnt(0)
	ds_write_b32 v68, v82
	s_waitcnt lgkmcnt(0)
	; wave barrier
	s_waitcnt lgkmcnt(0)
	s_and_saveexec_b64 s[8:9], s[6:7]
	s_cbranch_execz .LBB96_86
; %bb.77:
	s_andn2_b64 vcc, exec, s[10:11]
	s_cbranch_vccnz .LBB96_79
; %bb.78:
	buffer_load_dword v82, v69, s[0:3], 0 offen
	ds_read_b32 v83, v68
	s_waitcnt vmcnt(0) lgkmcnt(0)
	v_mul_f32_e32 v82, v82, v83
	s_cbranch_execz .LBB96_80
	s_branch .LBB96_81
.LBB96_79:
                                        ; implicit-def: $vgpr82
.LBB96_80:
	ds_read_b32 v82, v68
.LBB96_81:
	s_and_saveexec_b64 s[12:13], s[4:5]
	s_cbranch_execz .LBB96_85
; %bb.82:
	v_subrev_u32_e32 v83, 24, v0
	s_movk_i32 s14, 0xf0
	s_mov_b64 s[4:5], 0
.LBB96_83:                              ; =>This Inner Loop Header: Depth=1
	buffer_load_dword v84, v81, s[0:3], 0 offen
	v_mov_b32_e32 v85, s14
	ds_read_b32 v85, v85
	v_add_u32_e32 v83, -1, v83
	s_add_i32 s14, s14, 4
	v_cmp_eq_u32_e32 vcc, 0, v83
	v_add_u32_e32 v81, 4, v81
	s_or_b64 s[4:5], vcc, s[4:5]
	s_waitcnt vmcnt(0) lgkmcnt(0)
	v_fmac_f32_e32 v82, v84, v85
	s_andn2_b64 exec, exec, s[4:5]
	s_cbranch_execnz .LBB96_83
; %bb.84:
	s_or_b64 exec, exec, s[4:5]
.LBB96_85:
	s_or_b64 exec, exec, s[12:13]
	v_mov_b32_e32 v81, 0
	ds_read_b32 v81, v81 offset:92
	s_waitcnt lgkmcnt(0)
	v_mul_f32_e32 v81, v82, v81
	buffer_store_dword v81, off, s[0:3], 0 offset:92
.LBB96_86:
	s_or_b64 exec, exec, s[8:9]
	buffer_load_dword v81, off, s[0:3], 0 offset:88
	v_cmp_lt_u32_e64 s[4:5], 22, v0
	s_waitcnt vmcnt(0)
	ds_write_b32 v68, v81
	s_waitcnt lgkmcnt(0)
	; wave barrier
	s_waitcnt lgkmcnt(0)
	s_and_saveexec_b64 s[8:9], s[4:5]
	s_cbranch_execz .LBB96_96
; %bb.87:
	s_andn2_b64 vcc, exec, s[10:11]
	s_cbranch_vccnz .LBB96_89
; %bb.88:
	buffer_load_dword v81, v69, s[0:3], 0 offen
	ds_read_b32 v82, v68
	s_waitcnt vmcnt(0) lgkmcnt(0)
	v_mul_f32_e32 v81, v81, v82
	s_cbranch_execz .LBB96_90
	s_branch .LBB96_91
.LBB96_89:
                                        ; implicit-def: $vgpr81
.LBB96_90:
	ds_read_b32 v81, v68
.LBB96_91:
	s_and_saveexec_b64 s[12:13], s[6:7]
	s_cbranch_execz .LBB96_95
; %bb.92:
	v_mov_b32_e32 v82, 0
	v_add_u32_e32 v82, 0x5c, v82
	v_subrev_u32_e32 v83, 23, v0
	s_movk_i32 s14, 0xec
	s_mov_b64 s[6:7], 0
.LBB96_93:                              ; =>This Inner Loop Header: Depth=1
	buffer_load_dword v84, v82, s[0:3], 0 offen
	v_mov_b32_e32 v85, s14
	ds_read_b32 v85, v85
	v_add_u32_e32 v83, -1, v83
	s_add_i32 s14, s14, 4
	v_cmp_eq_u32_e32 vcc, 0, v83
	v_add_u32_e32 v82, 4, v82
	s_or_b64 s[6:7], vcc, s[6:7]
	s_waitcnt vmcnt(0) lgkmcnt(0)
	v_fmac_f32_e32 v81, v84, v85
	s_andn2_b64 exec, exec, s[6:7]
	s_cbranch_execnz .LBB96_93
; %bb.94:
	s_or_b64 exec, exec, s[6:7]
.LBB96_95:
	s_or_b64 exec, exec, s[12:13]
	v_mov_b32_e32 v82, 0
	ds_read_b32 v82, v82 offset:88
	s_waitcnt lgkmcnt(0)
	v_mul_f32_e32 v81, v81, v82
	buffer_store_dword v81, off, s[0:3], 0 offset:88
.LBB96_96:
	s_or_b64 exec, exec, s[8:9]
	buffer_load_dword v81, off, s[0:3], 0 offset:84
	v_cmp_lt_u32_e64 s[6:7], 21, v0
	s_waitcnt vmcnt(0)
	ds_write_b32 v68, v81
	s_waitcnt lgkmcnt(0)
	; wave barrier
	s_waitcnt lgkmcnt(0)
	s_and_saveexec_b64 s[8:9], s[6:7]
	s_cbranch_execz .LBB96_106
; %bb.97:
	s_andn2_b64 vcc, exec, s[10:11]
	s_cbranch_vccnz .LBB96_99
; %bb.98:
	buffer_load_dword v81, v69, s[0:3], 0 offen
	ds_read_b32 v82, v68
	s_waitcnt vmcnt(0) lgkmcnt(0)
	v_mul_f32_e32 v81, v81, v82
	s_cbranch_execz .LBB96_100
	s_branch .LBB96_101
.LBB96_99:
                                        ; implicit-def: $vgpr81
.LBB96_100:
	ds_read_b32 v81, v68
.LBB96_101:
	s_and_saveexec_b64 s[12:13], s[4:5]
	s_cbranch_execz .LBB96_105
; %bb.102:
	v_subrev_u32_e32 v82, 22, v0
	s_movk_i32 s14, 0xe8
	s_mov_b64 s[4:5], 0
.LBB96_103:                             ; =>This Inner Loop Header: Depth=1
	buffer_load_dword v83, v80, s[0:3], 0 offen
	v_mov_b32_e32 v84, s14
	ds_read_b32 v84, v84
	v_add_u32_e32 v82, -1, v82
	s_add_i32 s14, s14, 4
	v_cmp_eq_u32_e32 vcc, 0, v82
	v_add_u32_e32 v80, 4, v80
	s_or_b64 s[4:5], vcc, s[4:5]
	s_waitcnt vmcnt(0) lgkmcnt(0)
	v_fmac_f32_e32 v81, v83, v84
	s_andn2_b64 exec, exec, s[4:5]
	s_cbranch_execnz .LBB96_103
; %bb.104:
	s_or_b64 exec, exec, s[4:5]
.LBB96_105:
	s_or_b64 exec, exec, s[12:13]
	v_mov_b32_e32 v80, 0
	ds_read_b32 v80, v80 offset:84
	s_waitcnt lgkmcnt(0)
	v_mul_f32_e32 v80, v81, v80
	buffer_store_dword v80, off, s[0:3], 0 offset:84
.LBB96_106:
	s_or_b64 exec, exec, s[8:9]
	buffer_load_dword v80, off, s[0:3], 0 offset:80
	v_cmp_lt_u32_e64 s[4:5], 20, v0
	s_waitcnt vmcnt(0)
	ds_write_b32 v68, v80
	s_waitcnt lgkmcnt(0)
	; wave barrier
	s_waitcnt lgkmcnt(0)
	s_and_saveexec_b64 s[8:9], s[4:5]
	s_cbranch_execz .LBB96_116
; %bb.107:
	s_andn2_b64 vcc, exec, s[10:11]
	s_cbranch_vccnz .LBB96_109
; %bb.108:
	buffer_load_dword v80, v69, s[0:3], 0 offen
	ds_read_b32 v81, v68
	s_waitcnt vmcnt(0) lgkmcnt(0)
	v_mul_f32_e32 v80, v80, v81
	s_cbranch_execz .LBB96_110
	s_branch .LBB96_111
.LBB96_109:
                                        ; implicit-def: $vgpr80
.LBB96_110:
	ds_read_b32 v80, v68
.LBB96_111:
	s_and_saveexec_b64 s[12:13], s[6:7]
	s_cbranch_execz .LBB96_115
; %bb.112:
	v_mov_b32_e32 v81, 0
	v_add_u32_e32 v81, 0x54, v81
	v_subrev_u32_e32 v82, 21, v0
	s_movk_i32 s14, 0xe4
	s_mov_b64 s[6:7], 0
.LBB96_113:                             ; =>This Inner Loop Header: Depth=1
	buffer_load_dword v83, v81, s[0:3], 0 offen
	v_mov_b32_e32 v84, s14
	ds_read_b32 v84, v84
	v_add_u32_e32 v82, -1, v82
	s_add_i32 s14, s14, 4
	v_cmp_eq_u32_e32 vcc, 0, v82
	v_add_u32_e32 v81, 4, v81
	s_or_b64 s[6:7], vcc, s[6:7]
	s_waitcnt vmcnt(0) lgkmcnt(0)
	v_fmac_f32_e32 v80, v83, v84
	s_andn2_b64 exec, exec, s[6:7]
	s_cbranch_execnz .LBB96_113
; %bb.114:
	s_or_b64 exec, exec, s[6:7]
.LBB96_115:
	s_or_b64 exec, exec, s[12:13]
	v_mov_b32_e32 v81, 0
	ds_read_b32 v81, v81 offset:80
	s_waitcnt lgkmcnt(0)
	v_mul_f32_e32 v80, v80, v81
	buffer_store_dword v80, off, s[0:3], 0 offset:80
.LBB96_116:
	s_or_b64 exec, exec, s[8:9]
	buffer_load_dword v80, off, s[0:3], 0 offset:76
	v_cmp_lt_u32_e64 s[6:7], 19, v0
	s_waitcnt vmcnt(0)
	ds_write_b32 v68, v80
	s_waitcnt lgkmcnt(0)
	; wave barrier
	s_waitcnt lgkmcnt(0)
	s_and_saveexec_b64 s[8:9], s[6:7]
	s_cbranch_execz .LBB96_126
; %bb.117:
	s_andn2_b64 vcc, exec, s[10:11]
	s_cbranch_vccnz .LBB96_119
; %bb.118:
	buffer_load_dword v80, v69, s[0:3], 0 offen
	ds_read_b32 v81, v68
	s_waitcnt vmcnt(0) lgkmcnt(0)
	v_mul_f32_e32 v80, v80, v81
	s_cbranch_execz .LBB96_120
	s_branch .LBB96_121
.LBB96_119:
                                        ; implicit-def: $vgpr80
.LBB96_120:
	ds_read_b32 v80, v68
.LBB96_121:
	s_and_saveexec_b64 s[12:13], s[4:5]
	s_cbranch_execz .LBB96_125
; %bb.122:
	v_subrev_u32_e32 v81, 20, v0
	s_movk_i32 s14, 0xe0
	s_mov_b64 s[4:5], 0
.LBB96_123:                             ; =>This Inner Loop Header: Depth=1
	buffer_load_dword v82, v79, s[0:3], 0 offen
	v_mov_b32_e32 v83, s14
	ds_read_b32 v83, v83
	v_add_u32_e32 v81, -1, v81
	s_add_i32 s14, s14, 4
	v_cmp_eq_u32_e32 vcc, 0, v81
	v_add_u32_e32 v79, 4, v79
	s_or_b64 s[4:5], vcc, s[4:5]
	s_waitcnt vmcnt(0) lgkmcnt(0)
	v_fmac_f32_e32 v80, v82, v83
	s_andn2_b64 exec, exec, s[4:5]
	s_cbranch_execnz .LBB96_123
; %bb.124:
	s_or_b64 exec, exec, s[4:5]
.LBB96_125:
	s_or_b64 exec, exec, s[12:13]
	v_mov_b32_e32 v79, 0
	ds_read_b32 v79, v79 offset:76
	s_waitcnt lgkmcnt(0)
	v_mul_f32_e32 v79, v80, v79
	buffer_store_dword v79, off, s[0:3], 0 offset:76
.LBB96_126:
	s_or_b64 exec, exec, s[8:9]
	buffer_load_dword v79, off, s[0:3], 0 offset:72
	v_cmp_lt_u32_e64 s[4:5], 18, v0
	s_waitcnt vmcnt(0)
	ds_write_b32 v68, v79
	s_waitcnt lgkmcnt(0)
	; wave barrier
	s_waitcnt lgkmcnt(0)
	s_and_saveexec_b64 s[8:9], s[4:5]
	s_cbranch_execz .LBB96_136
; %bb.127:
	s_andn2_b64 vcc, exec, s[10:11]
	s_cbranch_vccnz .LBB96_129
; %bb.128:
	buffer_load_dword v79, v69, s[0:3], 0 offen
	ds_read_b32 v80, v68
	s_waitcnt vmcnt(0) lgkmcnt(0)
	v_mul_f32_e32 v79, v79, v80
	s_cbranch_execz .LBB96_130
	s_branch .LBB96_131
.LBB96_129:
                                        ; implicit-def: $vgpr79
.LBB96_130:
	ds_read_b32 v79, v68
.LBB96_131:
	s_and_saveexec_b64 s[12:13], s[6:7]
	s_cbranch_execz .LBB96_135
; %bb.132:
	v_mov_b32_e32 v80, 0
	v_add_u32_e32 v80, 0x4c, v80
	v_subrev_u32_e32 v81, 19, v0
	s_movk_i32 s14, 0xdc
	s_mov_b64 s[6:7], 0
.LBB96_133:                             ; =>This Inner Loop Header: Depth=1
	buffer_load_dword v82, v80, s[0:3], 0 offen
	v_mov_b32_e32 v83, s14
	ds_read_b32 v83, v83
	v_add_u32_e32 v81, -1, v81
	s_add_i32 s14, s14, 4
	v_cmp_eq_u32_e32 vcc, 0, v81
	v_add_u32_e32 v80, 4, v80
	s_or_b64 s[6:7], vcc, s[6:7]
	s_waitcnt vmcnt(0) lgkmcnt(0)
	v_fmac_f32_e32 v79, v82, v83
	s_andn2_b64 exec, exec, s[6:7]
	s_cbranch_execnz .LBB96_133
; %bb.134:
	s_or_b64 exec, exec, s[6:7]
.LBB96_135:
	s_or_b64 exec, exec, s[12:13]
	v_mov_b32_e32 v80, 0
	ds_read_b32 v80, v80 offset:72
	s_waitcnt lgkmcnt(0)
	v_mul_f32_e32 v79, v79, v80
	buffer_store_dword v79, off, s[0:3], 0 offset:72
.LBB96_136:
	s_or_b64 exec, exec, s[8:9]
	buffer_load_dword v79, off, s[0:3], 0 offset:68
	v_cmp_lt_u32_e64 s[6:7], 17, v0
	s_waitcnt vmcnt(0)
	ds_write_b32 v68, v79
	s_waitcnt lgkmcnt(0)
	; wave barrier
	s_waitcnt lgkmcnt(0)
	s_and_saveexec_b64 s[8:9], s[6:7]
	s_cbranch_execz .LBB96_146
; %bb.137:
	s_andn2_b64 vcc, exec, s[10:11]
	s_cbranch_vccnz .LBB96_139
; %bb.138:
	buffer_load_dword v79, v69, s[0:3], 0 offen
	ds_read_b32 v80, v68
	s_waitcnt vmcnt(0) lgkmcnt(0)
	v_mul_f32_e32 v79, v79, v80
	s_cbranch_execz .LBB96_140
	s_branch .LBB96_141
.LBB96_139:
                                        ; implicit-def: $vgpr79
.LBB96_140:
	ds_read_b32 v79, v68
.LBB96_141:
	s_and_saveexec_b64 s[12:13], s[4:5]
	s_cbranch_execz .LBB96_145
; %bb.142:
	v_subrev_u32_e32 v80, 18, v0
	s_movk_i32 s14, 0xd8
	s_mov_b64 s[4:5], 0
.LBB96_143:                             ; =>This Inner Loop Header: Depth=1
	buffer_load_dword v81, v78, s[0:3], 0 offen
	v_mov_b32_e32 v82, s14
	ds_read_b32 v82, v82
	v_add_u32_e32 v80, -1, v80
	s_add_i32 s14, s14, 4
	v_cmp_eq_u32_e32 vcc, 0, v80
	v_add_u32_e32 v78, 4, v78
	s_or_b64 s[4:5], vcc, s[4:5]
	s_waitcnt vmcnt(0) lgkmcnt(0)
	v_fmac_f32_e32 v79, v81, v82
	s_andn2_b64 exec, exec, s[4:5]
	s_cbranch_execnz .LBB96_143
; %bb.144:
	s_or_b64 exec, exec, s[4:5]
.LBB96_145:
	s_or_b64 exec, exec, s[12:13]
	v_mov_b32_e32 v78, 0
	ds_read_b32 v78, v78 offset:68
	s_waitcnt lgkmcnt(0)
	v_mul_f32_e32 v78, v79, v78
	buffer_store_dword v78, off, s[0:3], 0 offset:68
.LBB96_146:
	s_or_b64 exec, exec, s[8:9]
	buffer_load_dword v78, off, s[0:3], 0 offset:64
	v_cmp_lt_u32_e64 s[4:5], 16, v0
	s_waitcnt vmcnt(0)
	ds_write_b32 v68, v78
	s_waitcnt lgkmcnt(0)
	; wave barrier
	s_waitcnt lgkmcnt(0)
	s_and_saveexec_b64 s[8:9], s[4:5]
	s_cbranch_execz .LBB96_156
; %bb.147:
	s_andn2_b64 vcc, exec, s[10:11]
	s_cbranch_vccnz .LBB96_149
; %bb.148:
	buffer_load_dword v78, v69, s[0:3], 0 offen
	ds_read_b32 v79, v68
	s_waitcnt vmcnt(0) lgkmcnt(0)
	v_mul_f32_e32 v78, v78, v79
	s_cbranch_execz .LBB96_150
	s_branch .LBB96_151
.LBB96_149:
                                        ; implicit-def: $vgpr78
.LBB96_150:
	ds_read_b32 v78, v68
.LBB96_151:
	s_and_saveexec_b64 s[12:13], s[6:7]
	s_cbranch_execz .LBB96_155
; %bb.152:
	v_mov_b32_e32 v79, 0
	v_add_u32_e32 v79, 0x44, v79
	v_subrev_u32_e32 v80, 17, v0
	s_movk_i32 s14, 0xd4
	s_mov_b64 s[6:7], 0
.LBB96_153:                             ; =>This Inner Loop Header: Depth=1
	buffer_load_dword v81, v79, s[0:3], 0 offen
	v_mov_b32_e32 v82, s14
	ds_read_b32 v82, v82
	v_add_u32_e32 v80, -1, v80
	s_add_i32 s14, s14, 4
	v_cmp_eq_u32_e32 vcc, 0, v80
	v_add_u32_e32 v79, 4, v79
	s_or_b64 s[6:7], vcc, s[6:7]
	s_waitcnt vmcnt(0) lgkmcnt(0)
	v_fmac_f32_e32 v78, v81, v82
	s_andn2_b64 exec, exec, s[6:7]
	s_cbranch_execnz .LBB96_153
; %bb.154:
	s_or_b64 exec, exec, s[6:7]
.LBB96_155:
	s_or_b64 exec, exec, s[12:13]
	v_mov_b32_e32 v79, 0
	ds_read_b32 v79, v79 offset:64
	s_waitcnt lgkmcnt(0)
	v_mul_f32_e32 v78, v78, v79
	buffer_store_dword v78, off, s[0:3], 0 offset:64
.LBB96_156:
	s_or_b64 exec, exec, s[8:9]
	buffer_load_dword v78, off, s[0:3], 0 offset:60
	v_cmp_lt_u32_e64 s[6:7], 15, v0
	s_waitcnt vmcnt(0)
	ds_write_b32 v68, v78
	s_waitcnt lgkmcnt(0)
	; wave barrier
	s_waitcnt lgkmcnt(0)
	s_and_saveexec_b64 s[8:9], s[6:7]
	s_cbranch_execz .LBB96_166
; %bb.157:
	s_andn2_b64 vcc, exec, s[10:11]
	s_cbranch_vccnz .LBB96_159
; %bb.158:
	buffer_load_dword v78, v69, s[0:3], 0 offen
	ds_read_b32 v79, v68
	s_waitcnt vmcnt(0) lgkmcnt(0)
	v_mul_f32_e32 v78, v78, v79
	s_cbranch_execz .LBB96_160
	s_branch .LBB96_161
.LBB96_159:
                                        ; implicit-def: $vgpr78
.LBB96_160:
	ds_read_b32 v78, v68
.LBB96_161:
	s_and_saveexec_b64 s[12:13], s[4:5]
	s_cbranch_execz .LBB96_165
; %bb.162:
	v_add_u32_e32 v79, -16, v0
	s_movk_i32 s14, 0xd0
	s_mov_b64 s[4:5], 0
.LBB96_163:                             ; =>This Inner Loop Header: Depth=1
	buffer_load_dword v80, v77, s[0:3], 0 offen
	v_mov_b32_e32 v81, s14
	ds_read_b32 v81, v81
	v_add_u32_e32 v79, -1, v79
	s_add_i32 s14, s14, 4
	v_cmp_eq_u32_e32 vcc, 0, v79
	v_add_u32_e32 v77, 4, v77
	s_or_b64 s[4:5], vcc, s[4:5]
	s_waitcnt vmcnt(0) lgkmcnt(0)
	v_fmac_f32_e32 v78, v80, v81
	s_andn2_b64 exec, exec, s[4:5]
	s_cbranch_execnz .LBB96_163
; %bb.164:
	s_or_b64 exec, exec, s[4:5]
.LBB96_165:
	s_or_b64 exec, exec, s[12:13]
	v_mov_b32_e32 v77, 0
	ds_read_b32 v77, v77 offset:60
	s_waitcnt lgkmcnt(0)
	v_mul_f32_e32 v77, v78, v77
	buffer_store_dword v77, off, s[0:3], 0 offset:60
.LBB96_166:
	s_or_b64 exec, exec, s[8:9]
	buffer_load_dword v77, off, s[0:3], 0 offset:56
	v_cmp_lt_u32_e64 s[4:5], 14, v0
	s_waitcnt vmcnt(0)
	ds_write_b32 v68, v77
	s_waitcnt lgkmcnt(0)
	; wave barrier
	s_waitcnt lgkmcnt(0)
	s_and_saveexec_b64 s[8:9], s[4:5]
	s_cbranch_execz .LBB96_176
; %bb.167:
	s_andn2_b64 vcc, exec, s[10:11]
	s_cbranch_vccnz .LBB96_169
; %bb.168:
	buffer_load_dword v77, v69, s[0:3], 0 offen
	ds_read_b32 v78, v68
	s_waitcnt vmcnt(0) lgkmcnt(0)
	v_mul_f32_e32 v77, v77, v78
	s_cbranch_execz .LBB96_170
	s_branch .LBB96_171
.LBB96_169:
                                        ; implicit-def: $vgpr77
.LBB96_170:
	ds_read_b32 v77, v68
.LBB96_171:
	s_and_saveexec_b64 s[12:13], s[6:7]
	s_cbranch_execz .LBB96_175
; %bb.172:
	v_mov_b32_e32 v78, 0
	v_add_u32_e32 v78, 60, v78
	v_add_u32_e32 v79, -15, v0
	s_movk_i32 s14, 0xcc
	s_mov_b64 s[6:7], 0
.LBB96_173:                             ; =>This Inner Loop Header: Depth=1
	buffer_load_dword v80, v78, s[0:3], 0 offen
	v_mov_b32_e32 v81, s14
	ds_read_b32 v81, v81
	v_add_u32_e32 v79, -1, v79
	s_add_i32 s14, s14, 4
	v_cmp_eq_u32_e32 vcc, 0, v79
	v_add_u32_e32 v78, 4, v78
	s_or_b64 s[6:7], vcc, s[6:7]
	s_waitcnt vmcnt(0) lgkmcnt(0)
	v_fmac_f32_e32 v77, v80, v81
	s_andn2_b64 exec, exec, s[6:7]
	s_cbranch_execnz .LBB96_173
; %bb.174:
	s_or_b64 exec, exec, s[6:7]
.LBB96_175:
	s_or_b64 exec, exec, s[12:13]
	v_mov_b32_e32 v78, 0
	ds_read_b32 v78, v78 offset:56
	s_waitcnt lgkmcnt(0)
	v_mul_f32_e32 v77, v77, v78
	buffer_store_dword v77, off, s[0:3], 0 offset:56
.LBB96_176:
	s_or_b64 exec, exec, s[8:9]
	buffer_load_dword v77, off, s[0:3], 0 offset:52
	v_cmp_lt_u32_e64 s[6:7], 13, v0
	s_waitcnt vmcnt(0)
	ds_write_b32 v68, v77
	s_waitcnt lgkmcnt(0)
	; wave barrier
	s_waitcnt lgkmcnt(0)
	s_and_saveexec_b64 s[8:9], s[6:7]
	s_cbranch_execz .LBB96_186
; %bb.177:
	s_andn2_b64 vcc, exec, s[10:11]
	s_cbranch_vccnz .LBB96_179
; %bb.178:
	buffer_load_dword v77, v69, s[0:3], 0 offen
	ds_read_b32 v78, v68
	s_waitcnt vmcnt(0) lgkmcnt(0)
	v_mul_f32_e32 v77, v77, v78
	s_cbranch_execz .LBB96_180
	s_branch .LBB96_181
.LBB96_179:
                                        ; implicit-def: $vgpr77
.LBB96_180:
	ds_read_b32 v77, v68
.LBB96_181:
	s_and_saveexec_b64 s[12:13], s[4:5]
	s_cbranch_execz .LBB96_185
; %bb.182:
	v_add_u32_e32 v78, -14, v0
	s_movk_i32 s14, 0xc8
	s_mov_b64 s[4:5], 0
.LBB96_183:                             ; =>This Inner Loop Header: Depth=1
	buffer_load_dword v79, v76, s[0:3], 0 offen
	v_mov_b32_e32 v80, s14
	ds_read_b32 v80, v80
	v_add_u32_e32 v78, -1, v78
	s_add_i32 s14, s14, 4
	v_cmp_eq_u32_e32 vcc, 0, v78
	v_add_u32_e32 v76, 4, v76
	s_or_b64 s[4:5], vcc, s[4:5]
	s_waitcnt vmcnt(0) lgkmcnt(0)
	v_fmac_f32_e32 v77, v79, v80
	s_andn2_b64 exec, exec, s[4:5]
	s_cbranch_execnz .LBB96_183
; %bb.184:
	s_or_b64 exec, exec, s[4:5]
.LBB96_185:
	s_or_b64 exec, exec, s[12:13]
	v_mov_b32_e32 v76, 0
	ds_read_b32 v76, v76 offset:52
	s_waitcnt lgkmcnt(0)
	v_mul_f32_e32 v76, v77, v76
	buffer_store_dword v76, off, s[0:3], 0 offset:52
.LBB96_186:
	s_or_b64 exec, exec, s[8:9]
	buffer_load_dword v76, off, s[0:3], 0 offset:48
	v_cmp_lt_u32_e64 s[4:5], 12, v0
	s_waitcnt vmcnt(0)
	ds_write_b32 v68, v76
	s_waitcnt lgkmcnt(0)
	; wave barrier
	s_waitcnt lgkmcnt(0)
	s_and_saveexec_b64 s[8:9], s[4:5]
	s_cbranch_execz .LBB96_196
; %bb.187:
	s_andn2_b64 vcc, exec, s[10:11]
	s_cbranch_vccnz .LBB96_189
; %bb.188:
	buffer_load_dword v76, v69, s[0:3], 0 offen
	ds_read_b32 v77, v68
	s_waitcnt vmcnt(0) lgkmcnt(0)
	v_mul_f32_e32 v76, v76, v77
	s_cbranch_execz .LBB96_190
	s_branch .LBB96_191
.LBB96_189:
                                        ; implicit-def: $vgpr76
.LBB96_190:
	ds_read_b32 v76, v68
.LBB96_191:
	s_and_saveexec_b64 s[12:13], s[6:7]
	s_cbranch_execz .LBB96_195
; %bb.192:
	v_mov_b32_e32 v77, 0
	v_add_u32_e32 v77, 52, v77
	v_add_u32_e32 v78, -13, v0
	s_movk_i32 s14, 0xc4
	s_mov_b64 s[6:7], 0
.LBB96_193:                             ; =>This Inner Loop Header: Depth=1
	buffer_load_dword v79, v77, s[0:3], 0 offen
	v_mov_b32_e32 v80, s14
	ds_read_b32 v80, v80
	v_add_u32_e32 v78, -1, v78
	s_add_i32 s14, s14, 4
	v_cmp_eq_u32_e32 vcc, 0, v78
	v_add_u32_e32 v77, 4, v77
	s_or_b64 s[6:7], vcc, s[6:7]
	s_waitcnt vmcnt(0) lgkmcnt(0)
	v_fmac_f32_e32 v76, v79, v80
	s_andn2_b64 exec, exec, s[6:7]
	s_cbranch_execnz .LBB96_193
; %bb.194:
	s_or_b64 exec, exec, s[6:7]
.LBB96_195:
	s_or_b64 exec, exec, s[12:13]
	v_mov_b32_e32 v77, 0
	ds_read_b32 v77, v77 offset:48
	s_waitcnt lgkmcnt(0)
	v_mul_f32_e32 v76, v76, v77
	buffer_store_dword v76, off, s[0:3], 0 offset:48
.LBB96_196:
	s_or_b64 exec, exec, s[8:9]
	buffer_load_dword v76, off, s[0:3], 0 offset:44
	v_cmp_lt_u32_e64 s[6:7], 11, v0
	s_waitcnt vmcnt(0)
	ds_write_b32 v68, v76
	s_waitcnt lgkmcnt(0)
	; wave barrier
	s_waitcnt lgkmcnt(0)
	s_and_saveexec_b64 s[8:9], s[6:7]
	s_cbranch_execz .LBB96_206
; %bb.197:
	s_andn2_b64 vcc, exec, s[10:11]
	s_cbranch_vccnz .LBB96_199
; %bb.198:
	buffer_load_dword v76, v69, s[0:3], 0 offen
	ds_read_b32 v77, v68
	s_waitcnt vmcnt(0) lgkmcnt(0)
	v_mul_f32_e32 v76, v76, v77
	s_cbranch_execz .LBB96_200
	s_branch .LBB96_201
.LBB96_199:
                                        ; implicit-def: $vgpr76
.LBB96_200:
	ds_read_b32 v76, v68
.LBB96_201:
	s_and_saveexec_b64 s[12:13], s[4:5]
	s_cbranch_execz .LBB96_205
; %bb.202:
	v_add_u32_e32 v77, -12, v0
	s_movk_i32 s14, 0xc0
	s_mov_b64 s[4:5], 0
.LBB96_203:                             ; =>This Inner Loop Header: Depth=1
	buffer_load_dword v78, v75, s[0:3], 0 offen
	v_mov_b32_e32 v79, s14
	ds_read_b32 v79, v79
	v_add_u32_e32 v77, -1, v77
	s_add_i32 s14, s14, 4
	v_cmp_eq_u32_e32 vcc, 0, v77
	v_add_u32_e32 v75, 4, v75
	s_or_b64 s[4:5], vcc, s[4:5]
	s_waitcnt vmcnt(0) lgkmcnt(0)
	v_fmac_f32_e32 v76, v78, v79
	s_andn2_b64 exec, exec, s[4:5]
	s_cbranch_execnz .LBB96_203
; %bb.204:
	s_or_b64 exec, exec, s[4:5]
.LBB96_205:
	s_or_b64 exec, exec, s[12:13]
	v_mov_b32_e32 v75, 0
	ds_read_b32 v75, v75 offset:44
	s_waitcnt lgkmcnt(0)
	v_mul_f32_e32 v75, v76, v75
	buffer_store_dword v75, off, s[0:3], 0 offset:44
.LBB96_206:
	s_or_b64 exec, exec, s[8:9]
	buffer_load_dword v75, off, s[0:3], 0 offset:40
	v_cmp_lt_u32_e64 s[4:5], 10, v0
	s_waitcnt vmcnt(0)
	ds_write_b32 v68, v75
	s_waitcnt lgkmcnt(0)
	; wave barrier
	s_waitcnt lgkmcnt(0)
	s_and_saveexec_b64 s[8:9], s[4:5]
	s_cbranch_execz .LBB96_216
; %bb.207:
	s_andn2_b64 vcc, exec, s[10:11]
	s_cbranch_vccnz .LBB96_209
; %bb.208:
	buffer_load_dword v75, v69, s[0:3], 0 offen
	ds_read_b32 v76, v68
	s_waitcnt vmcnt(0) lgkmcnt(0)
	v_mul_f32_e32 v75, v75, v76
	s_cbranch_execz .LBB96_210
	s_branch .LBB96_211
.LBB96_209:
                                        ; implicit-def: $vgpr75
.LBB96_210:
	ds_read_b32 v75, v68
.LBB96_211:
	s_and_saveexec_b64 s[12:13], s[6:7]
	s_cbranch_execz .LBB96_215
; %bb.212:
	v_mov_b32_e32 v76, 0
	v_add_u32_e32 v76, 44, v76
	v_add_u32_e32 v77, -11, v0
	s_movk_i32 s14, 0xbc
	s_mov_b64 s[6:7], 0
.LBB96_213:                             ; =>This Inner Loop Header: Depth=1
	buffer_load_dword v78, v76, s[0:3], 0 offen
	v_mov_b32_e32 v79, s14
	ds_read_b32 v79, v79
	v_add_u32_e32 v77, -1, v77
	s_add_i32 s14, s14, 4
	v_cmp_eq_u32_e32 vcc, 0, v77
	v_add_u32_e32 v76, 4, v76
	s_or_b64 s[6:7], vcc, s[6:7]
	s_waitcnt vmcnt(0) lgkmcnt(0)
	v_fmac_f32_e32 v75, v78, v79
	s_andn2_b64 exec, exec, s[6:7]
	s_cbranch_execnz .LBB96_213
; %bb.214:
	s_or_b64 exec, exec, s[6:7]
.LBB96_215:
	s_or_b64 exec, exec, s[12:13]
	v_mov_b32_e32 v76, 0
	ds_read_b32 v76, v76 offset:40
	s_waitcnt lgkmcnt(0)
	v_mul_f32_e32 v75, v75, v76
	buffer_store_dword v75, off, s[0:3], 0 offset:40
.LBB96_216:
	s_or_b64 exec, exec, s[8:9]
	buffer_load_dword v75, off, s[0:3], 0 offset:36
	v_cmp_lt_u32_e64 s[6:7], 9, v0
	s_waitcnt vmcnt(0)
	ds_write_b32 v68, v75
	s_waitcnt lgkmcnt(0)
	; wave barrier
	s_waitcnt lgkmcnt(0)
	s_and_saveexec_b64 s[8:9], s[6:7]
	s_cbranch_execz .LBB96_226
; %bb.217:
	s_andn2_b64 vcc, exec, s[10:11]
	s_cbranch_vccnz .LBB96_219
; %bb.218:
	buffer_load_dword v75, v69, s[0:3], 0 offen
	ds_read_b32 v76, v68
	s_waitcnt vmcnt(0) lgkmcnt(0)
	v_mul_f32_e32 v75, v75, v76
	s_cbranch_execz .LBB96_220
	s_branch .LBB96_221
.LBB96_219:
                                        ; implicit-def: $vgpr75
.LBB96_220:
	ds_read_b32 v75, v68
.LBB96_221:
	s_and_saveexec_b64 s[12:13], s[4:5]
	s_cbranch_execz .LBB96_225
; %bb.222:
	v_add_u32_e32 v76, -10, v0
	s_movk_i32 s14, 0xb8
	s_mov_b64 s[4:5], 0
.LBB96_223:                             ; =>This Inner Loop Header: Depth=1
	buffer_load_dword v77, v74, s[0:3], 0 offen
	v_mov_b32_e32 v78, s14
	ds_read_b32 v78, v78
	v_add_u32_e32 v76, -1, v76
	s_add_i32 s14, s14, 4
	v_cmp_eq_u32_e32 vcc, 0, v76
	v_add_u32_e32 v74, 4, v74
	s_or_b64 s[4:5], vcc, s[4:5]
	s_waitcnt vmcnt(0) lgkmcnt(0)
	v_fmac_f32_e32 v75, v77, v78
	s_andn2_b64 exec, exec, s[4:5]
	s_cbranch_execnz .LBB96_223
; %bb.224:
	s_or_b64 exec, exec, s[4:5]
.LBB96_225:
	s_or_b64 exec, exec, s[12:13]
	v_mov_b32_e32 v74, 0
	ds_read_b32 v74, v74 offset:36
	s_waitcnt lgkmcnt(0)
	v_mul_f32_e32 v74, v75, v74
	buffer_store_dword v74, off, s[0:3], 0 offset:36
.LBB96_226:
	s_or_b64 exec, exec, s[8:9]
	buffer_load_dword v74, off, s[0:3], 0 offset:32
	v_cmp_lt_u32_e64 s[4:5], 8, v0
	s_waitcnt vmcnt(0)
	ds_write_b32 v68, v74
	s_waitcnt lgkmcnt(0)
	; wave barrier
	s_waitcnt lgkmcnt(0)
	s_and_saveexec_b64 s[8:9], s[4:5]
	s_cbranch_execz .LBB96_236
; %bb.227:
	s_andn2_b64 vcc, exec, s[10:11]
	s_cbranch_vccnz .LBB96_229
; %bb.228:
	buffer_load_dword v74, v69, s[0:3], 0 offen
	ds_read_b32 v75, v68
	s_waitcnt vmcnt(0) lgkmcnt(0)
	v_mul_f32_e32 v74, v74, v75
	s_cbranch_execz .LBB96_230
	s_branch .LBB96_231
.LBB96_229:
                                        ; implicit-def: $vgpr74
.LBB96_230:
	ds_read_b32 v74, v68
.LBB96_231:
	s_and_saveexec_b64 s[12:13], s[6:7]
	s_cbranch_execz .LBB96_235
; %bb.232:
	v_mov_b32_e32 v75, 0
	v_add_u32_e32 v75, 36, v75
	v_add_u32_e32 v76, -9, v0
	s_movk_i32 s14, 0xb4
	s_mov_b64 s[6:7], 0
.LBB96_233:                             ; =>This Inner Loop Header: Depth=1
	buffer_load_dword v77, v75, s[0:3], 0 offen
	v_mov_b32_e32 v78, s14
	ds_read_b32 v78, v78
	v_add_u32_e32 v76, -1, v76
	s_add_i32 s14, s14, 4
	v_cmp_eq_u32_e32 vcc, 0, v76
	v_add_u32_e32 v75, 4, v75
	s_or_b64 s[6:7], vcc, s[6:7]
	s_waitcnt vmcnt(0) lgkmcnt(0)
	v_fmac_f32_e32 v74, v77, v78
	s_andn2_b64 exec, exec, s[6:7]
	s_cbranch_execnz .LBB96_233
; %bb.234:
	s_or_b64 exec, exec, s[6:7]
.LBB96_235:
	s_or_b64 exec, exec, s[12:13]
	v_mov_b32_e32 v75, 0
	ds_read_b32 v75, v75 offset:32
	s_waitcnt lgkmcnt(0)
	v_mul_f32_e32 v74, v74, v75
	buffer_store_dword v74, off, s[0:3], 0 offset:32
.LBB96_236:
	s_or_b64 exec, exec, s[8:9]
	buffer_load_dword v74, off, s[0:3], 0 offset:28
	v_cmp_lt_u32_e64 s[6:7], 7, v0
	s_waitcnt vmcnt(0)
	ds_write_b32 v68, v74
	s_waitcnt lgkmcnt(0)
	; wave barrier
	s_waitcnt lgkmcnt(0)
	s_and_saveexec_b64 s[8:9], s[6:7]
	s_cbranch_execz .LBB96_246
; %bb.237:
	s_andn2_b64 vcc, exec, s[10:11]
	s_cbranch_vccnz .LBB96_239
; %bb.238:
	buffer_load_dword v74, v69, s[0:3], 0 offen
	ds_read_b32 v75, v68
	s_waitcnt vmcnt(0) lgkmcnt(0)
	v_mul_f32_e32 v74, v74, v75
	s_cbranch_execz .LBB96_240
	s_branch .LBB96_241
.LBB96_239:
                                        ; implicit-def: $vgpr74
.LBB96_240:
	ds_read_b32 v74, v68
.LBB96_241:
	s_and_saveexec_b64 s[12:13], s[4:5]
	s_cbranch_execz .LBB96_245
; %bb.242:
	v_add_u32_e32 v75, -8, v0
	s_movk_i32 s14, 0xb0
	s_mov_b64 s[4:5], 0
.LBB96_243:                             ; =>This Inner Loop Header: Depth=1
	buffer_load_dword v76, v73, s[0:3], 0 offen
	v_mov_b32_e32 v77, s14
	ds_read_b32 v77, v77
	v_add_u32_e32 v75, -1, v75
	s_add_i32 s14, s14, 4
	v_cmp_eq_u32_e32 vcc, 0, v75
	v_add_u32_e32 v73, 4, v73
	s_or_b64 s[4:5], vcc, s[4:5]
	s_waitcnt vmcnt(0) lgkmcnt(0)
	v_fmac_f32_e32 v74, v76, v77
	s_andn2_b64 exec, exec, s[4:5]
	s_cbranch_execnz .LBB96_243
; %bb.244:
	s_or_b64 exec, exec, s[4:5]
.LBB96_245:
	s_or_b64 exec, exec, s[12:13]
	v_mov_b32_e32 v73, 0
	ds_read_b32 v73, v73 offset:28
	s_waitcnt lgkmcnt(0)
	v_mul_f32_e32 v73, v74, v73
	buffer_store_dword v73, off, s[0:3], 0 offset:28
.LBB96_246:
	s_or_b64 exec, exec, s[8:9]
	buffer_load_dword v73, off, s[0:3], 0 offset:24
	v_cmp_lt_u32_e64 s[4:5], 6, v0
	s_waitcnt vmcnt(0)
	ds_write_b32 v68, v73
	s_waitcnt lgkmcnt(0)
	; wave barrier
	s_waitcnt lgkmcnt(0)
	s_and_saveexec_b64 s[8:9], s[4:5]
	s_cbranch_execz .LBB96_256
; %bb.247:
	s_andn2_b64 vcc, exec, s[10:11]
	s_cbranch_vccnz .LBB96_249
; %bb.248:
	buffer_load_dword v73, v69, s[0:3], 0 offen
	ds_read_b32 v74, v68
	s_waitcnt vmcnt(0) lgkmcnt(0)
	v_mul_f32_e32 v73, v73, v74
	s_cbranch_execz .LBB96_250
	s_branch .LBB96_251
.LBB96_249:
                                        ; implicit-def: $vgpr73
.LBB96_250:
	ds_read_b32 v73, v68
.LBB96_251:
	s_and_saveexec_b64 s[12:13], s[6:7]
	s_cbranch_execz .LBB96_255
; %bb.252:
	v_mov_b32_e32 v74, 0
	v_add_u32_e32 v74, 28, v74
	v_add_u32_e32 v75, -7, v0
	s_movk_i32 s14, 0xac
	s_mov_b64 s[6:7], 0
.LBB96_253:                             ; =>This Inner Loop Header: Depth=1
	buffer_load_dword v76, v74, s[0:3], 0 offen
	v_mov_b32_e32 v77, s14
	ds_read_b32 v77, v77
	v_add_u32_e32 v75, -1, v75
	s_add_i32 s14, s14, 4
	v_cmp_eq_u32_e32 vcc, 0, v75
	v_add_u32_e32 v74, 4, v74
	s_or_b64 s[6:7], vcc, s[6:7]
	s_waitcnt vmcnt(0) lgkmcnt(0)
	v_fmac_f32_e32 v73, v76, v77
	s_andn2_b64 exec, exec, s[6:7]
	s_cbranch_execnz .LBB96_253
; %bb.254:
	s_or_b64 exec, exec, s[6:7]
.LBB96_255:
	s_or_b64 exec, exec, s[12:13]
	v_mov_b32_e32 v74, 0
	ds_read_b32 v74, v74 offset:24
	s_waitcnt lgkmcnt(0)
	v_mul_f32_e32 v73, v73, v74
	buffer_store_dword v73, off, s[0:3], 0 offset:24
.LBB96_256:
	s_or_b64 exec, exec, s[8:9]
	buffer_load_dword v73, off, s[0:3], 0 offset:20
	v_cmp_lt_u32_e64 s[6:7], 5, v0
	s_waitcnt vmcnt(0)
	ds_write_b32 v68, v73
	s_waitcnt lgkmcnt(0)
	; wave barrier
	s_waitcnt lgkmcnt(0)
	s_and_saveexec_b64 s[8:9], s[6:7]
	s_cbranch_execz .LBB96_266
; %bb.257:
	s_andn2_b64 vcc, exec, s[10:11]
	s_cbranch_vccnz .LBB96_259
; %bb.258:
	buffer_load_dword v73, v69, s[0:3], 0 offen
	ds_read_b32 v74, v68
	s_waitcnt vmcnt(0) lgkmcnt(0)
	v_mul_f32_e32 v73, v73, v74
	s_cbranch_execz .LBB96_260
	s_branch .LBB96_261
.LBB96_259:
                                        ; implicit-def: $vgpr73
.LBB96_260:
	ds_read_b32 v73, v68
.LBB96_261:
	s_and_saveexec_b64 s[12:13], s[4:5]
	s_cbranch_execz .LBB96_265
; %bb.262:
	v_add_u32_e32 v74, -6, v0
	s_movk_i32 s14, 0xa8
	s_mov_b64 s[4:5], 0
.LBB96_263:                             ; =>This Inner Loop Header: Depth=1
	buffer_load_dword v75, v72, s[0:3], 0 offen
	v_mov_b32_e32 v76, s14
	ds_read_b32 v76, v76
	v_add_u32_e32 v74, -1, v74
	s_add_i32 s14, s14, 4
	v_cmp_eq_u32_e32 vcc, 0, v74
	v_add_u32_e32 v72, 4, v72
	s_or_b64 s[4:5], vcc, s[4:5]
	s_waitcnt vmcnt(0) lgkmcnt(0)
	v_fmac_f32_e32 v73, v75, v76
	s_andn2_b64 exec, exec, s[4:5]
	s_cbranch_execnz .LBB96_263
; %bb.264:
	s_or_b64 exec, exec, s[4:5]
.LBB96_265:
	s_or_b64 exec, exec, s[12:13]
	v_mov_b32_e32 v72, 0
	ds_read_b32 v72, v72 offset:20
	s_waitcnt lgkmcnt(0)
	v_mul_f32_e32 v72, v73, v72
	buffer_store_dword v72, off, s[0:3], 0 offset:20
.LBB96_266:
	s_or_b64 exec, exec, s[8:9]
	buffer_load_dword v72, off, s[0:3], 0 offset:16
	v_cmp_lt_u32_e64 s[4:5], 4, v0
	s_waitcnt vmcnt(0)
	ds_write_b32 v68, v72
	s_waitcnt lgkmcnt(0)
	; wave barrier
	s_waitcnt lgkmcnt(0)
	s_and_saveexec_b64 s[8:9], s[4:5]
	s_cbranch_execz .LBB96_276
; %bb.267:
	s_andn2_b64 vcc, exec, s[10:11]
	s_cbranch_vccnz .LBB96_269
; %bb.268:
	buffer_load_dword v72, v69, s[0:3], 0 offen
	ds_read_b32 v73, v68
	s_waitcnt vmcnt(0) lgkmcnt(0)
	v_mul_f32_e32 v72, v72, v73
	s_cbranch_execz .LBB96_270
	s_branch .LBB96_271
.LBB96_269:
                                        ; implicit-def: $vgpr72
.LBB96_270:
	ds_read_b32 v72, v68
.LBB96_271:
	s_and_saveexec_b64 s[12:13], s[6:7]
	s_cbranch_execz .LBB96_275
; %bb.272:
	v_mov_b32_e32 v73, 0
	v_add_u32_e32 v73, 20, v73
	v_add_u32_e32 v74, -5, v0
	s_movk_i32 s14, 0xa4
	s_mov_b64 s[6:7], 0
.LBB96_273:                             ; =>This Inner Loop Header: Depth=1
	buffer_load_dword v75, v73, s[0:3], 0 offen
	v_mov_b32_e32 v76, s14
	ds_read_b32 v76, v76
	v_add_u32_e32 v74, -1, v74
	s_add_i32 s14, s14, 4
	v_cmp_eq_u32_e32 vcc, 0, v74
	v_add_u32_e32 v73, 4, v73
	s_or_b64 s[6:7], vcc, s[6:7]
	s_waitcnt vmcnt(0) lgkmcnt(0)
	v_fmac_f32_e32 v72, v75, v76
	s_andn2_b64 exec, exec, s[6:7]
	s_cbranch_execnz .LBB96_273
; %bb.274:
	s_or_b64 exec, exec, s[6:7]
.LBB96_275:
	s_or_b64 exec, exec, s[12:13]
	v_mov_b32_e32 v73, 0
	ds_read_b32 v73, v73 offset:16
	s_waitcnt lgkmcnt(0)
	v_mul_f32_e32 v72, v72, v73
	buffer_store_dword v72, off, s[0:3], 0 offset:16
.LBB96_276:
	s_or_b64 exec, exec, s[8:9]
	buffer_load_dword v72, off, s[0:3], 0 offset:12
	v_cmp_lt_u32_e64 s[6:7], 3, v0
	s_waitcnt vmcnt(0)
	ds_write_b32 v68, v72
	s_waitcnt lgkmcnt(0)
	; wave barrier
	s_waitcnt lgkmcnt(0)
	s_and_saveexec_b64 s[8:9], s[6:7]
	s_cbranch_execz .LBB96_286
; %bb.277:
	s_andn2_b64 vcc, exec, s[10:11]
	s_cbranch_vccnz .LBB96_279
; %bb.278:
	buffer_load_dword v72, v69, s[0:3], 0 offen
	ds_read_b32 v73, v68
	s_waitcnt vmcnt(0) lgkmcnt(0)
	v_mul_f32_e32 v72, v72, v73
	s_cbranch_execz .LBB96_280
	s_branch .LBB96_281
.LBB96_279:
                                        ; implicit-def: $vgpr72
.LBB96_280:
	ds_read_b32 v72, v68
.LBB96_281:
	s_and_saveexec_b64 s[12:13], s[4:5]
	s_cbranch_execz .LBB96_285
; %bb.282:
	v_add_u32_e32 v73, -4, v0
	s_movk_i32 s14, 0xa0
	s_mov_b64 s[4:5], 0
.LBB96_283:                             ; =>This Inner Loop Header: Depth=1
	buffer_load_dword v74, v71, s[0:3], 0 offen
	v_mov_b32_e32 v75, s14
	ds_read_b32 v75, v75
	v_add_u32_e32 v73, -1, v73
	s_add_i32 s14, s14, 4
	v_cmp_eq_u32_e32 vcc, 0, v73
	v_add_u32_e32 v71, 4, v71
	s_or_b64 s[4:5], vcc, s[4:5]
	s_waitcnt vmcnt(0) lgkmcnt(0)
	v_fmac_f32_e32 v72, v74, v75
	s_andn2_b64 exec, exec, s[4:5]
	s_cbranch_execnz .LBB96_283
; %bb.284:
	s_or_b64 exec, exec, s[4:5]
.LBB96_285:
	s_or_b64 exec, exec, s[12:13]
	v_mov_b32_e32 v71, 0
	ds_read_b32 v71, v71 offset:12
	s_waitcnt lgkmcnt(0)
	v_mul_f32_e32 v71, v72, v71
	buffer_store_dword v71, off, s[0:3], 0 offset:12
.LBB96_286:
	s_or_b64 exec, exec, s[8:9]
	buffer_load_dword v71, off, s[0:3], 0 offset:8
	v_cmp_lt_u32_e64 s[4:5], 2, v0
	s_waitcnt vmcnt(0)
	ds_write_b32 v68, v71
	s_waitcnt lgkmcnt(0)
	; wave barrier
	s_waitcnt lgkmcnt(0)
	s_and_saveexec_b64 s[8:9], s[4:5]
	s_cbranch_execz .LBB96_296
; %bb.287:
	s_andn2_b64 vcc, exec, s[10:11]
	s_cbranch_vccnz .LBB96_289
; %bb.288:
	buffer_load_dword v71, v69, s[0:3], 0 offen
	ds_read_b32 v72, v68
	s_waitcnt vmcnt(0) lgkmcnt(0)
	v_mul_f32_e32 v71, v71, v72
	s_cbranch_execz .LBB96_290
	s_branch .LBB96_291
.LBB96_289:
                                        ; implicit-def: $vgpr71
.LBB96_290:
	ds_read_b32 v71, v68
.LBB96_291:
	s_and_saveexec_b64 s[12:13], s[6:7]
	s_cbranch_execz .LBB96_295
; %bb.292:
	v_mov_b32_e32 v72, 0
	v_or_b32_e32 v72, 12, v72
	v_add_u32_e32 v73, -3, v0
	s_movk_i32 s14, 0x9c
	s_mov_b64 s[6:7], 0
.LBB96_293:                             ; =>This Inner Loop Header: Depth=1
	buffer_load_dword v74, v72, s[0:3], 0 offen
	v_mov_b32_e32 v75, s14
	ds_read_b32 v75, v75
	v_add_u32_e32 v73, -1, v73
	s_add_i32 s14, s14, 4
	v_cmp_eq_u32_e32 vcc, 0, v73
	v_add_u32_e32 v72, 4, v72
	s_or_b64 s[6:7], vcc, s[6:7]
	s_waitcnt vmcnt(0) lgkmcnt(0)
	v_fmac_f32_e32 v71, v74, v75
	s_andn2_b64 exec, exec, s[6:7]
	s_cbranch_execnz .LBB96_293
; %bb.294:
	s_or_b64 exec, exec, s[6:7]
.LBB96_295:
	s_or_b64 exec, exec, s[12:13]
	v_mov_b32_e32 v72, 0
	ds_read_b32 v72, v72 offset:8
	s_waitcnt lgkmcnt(0)
	v_mul_f32_e32 v71, v71, v72
	buffer_store_dword v71, off, s[0:3], 0 offset:8
.LBB96_296:
	s_or_b64 exec, exec, s[8:9]
	buffer_load_dword v71, off, s[0:3], 0 offset:4
	v_cmp_lt_u32_e64 s[6:7], 1, v0
	s_waitcnt vmcnt(0)
	ds_write_b32 v68, v71
	s_waitcnt lgkmcnt(0)
	; wave barrier
	s_waitcnt lgkmcnt(0)
	s_and_saveexec_b64 s[8:9], s[6:7]
	s_cbranch_execz .LBB96_306
; %bb.297:
	s_andn2_b64 vcc, exec, s[10:11]
	s_cbranch_vccnz .LBB96_299
; %bb.298:
	buffer_load_dword v71, v69, s[0:3], 0 offen
	ds_read_b32 v72, v68
	s_waitcnt vmcnt(0) lgkmcnt(0)
	v_mul_f32_e32 v71, v71, v72
	s_cbranch_execz .LBB96_300
	s_branch .LBB96_301
.LBB96_299:
                                        ; implicit-def: $vgpr71
.LBB96_300:
	ds_read_b32 v71, v68
.LBB96_301:
	s_and_saveexec_b64 s[12:13], s[4:5]
	s_cbranch_execz .LBB96_305
; %bb.302:
	v_add_u32_e32 v72, -2, v0
	s_movk_i32 s14, 0x98
	s_mov_b64 s[4:5], 0
.LBB96_303:                             ; =>This Inner Loop Header: Depth=1
	buffer_load_dword v73, v70, s[0:3], 0 offen
	v_mov_b32_e32 v74, s14
	ds_read_b32 v74, v74
	v_add_u32_e32 v72, -1, v72
	s_add_i32 s14, s14, 4
	v_cmp_eq_u32_e32 vcc, 0, v72
	v_add_u32_e32 v70, 4, v70
	s_or_b64 s[4:5], vcc, s[4:5]
	s_waitcnt vmcnt(0) lgkmcnt(0)
	v_fmac_f32_e32 v71, v73, v74
	s_andn2_b64 exec, exec, s[4:5]
	s_cbranch_execnz .LBB96_303
; %bb.304:
	s_or_b64 exec, exec, s[4:5]
.LBB96_305:
	s_or_b64 exec, exec, s[12:13]
	v_mov_b32_e32 v70, 0
	ds_read_b32 v70, v70 offset:4
	s_waitcnt lgkmcnt(0)
	v_mul_f32_e32 v70, v71, v70
	buffer_store_dword v70, off, s[0:3], 0 offset:4
.LBB96_306:
	s_or_b64 exec, exec, s[8:9]
	buffer_load_dword v70, off, s[0:3], 0
	v_cmp_ne_u32_e32 vcc, 0, v0
	s_waitcnt vmcnt(0)
	ds_write_b32 v68, v70
	s_waitcnt lgkmcnt(0)
	; wave barrier
	s_waitcnt lgkmcnt(0)
	s_and_saveexec_b64 s[4:5], vcc
	s_cbranch_execz .LBB96_316
; %bb.307:
	s_andn2_b64 vcc, exec, s[10:11]
	s_cbranch_vccnz .LBB96_309
; %bb.308:
	buffer_load_dword v70, v69, s[0:3], 0 offen
	ds_read_b32 v71, v68
	s_waitcnt vmcnt(0) lgkmcnt(0)
	v_mul_f32_e32 v70, v70, v71
	s_cbranch_execz .LBB96_310
	s_branch .LBB96_311
.LBB96_309:
                                        ; implicit-def: $vgpr70
.LBB96_310:
	ds_read_b32 v70, v68
.LBB96_311:
	s_and_saveexec_b64 s[8:9], s[6:7]
	s_cbranch_execz .LBB96_315
; %bb.312:
	v_mov_b32_e32 v71, 0
	v_or_b32_e32 v71, 4, v71
	v_add_u32_e32 v72, -1, v0
	s_movk_i32 s12, 0x94
	s_mov_b64 s[6:7], 0
.LBB96_313:                             ; =>This Inner Loop Header: Depth=1
	buffer_load_dword v73, v71, s[0:3], 0 offen
	v_mov_b32_e32 v74, s12
	ds_read_b32 v74, v74
	v_add_u32_e32 v72, -1, v72
	s_add_i32 s12, s12, 4
	v_cmp_eq_u32_e32 vcc, 0, v72
	v_add_u32_e32 v71, 4, v71
	s_or_b64 s[6:7], vcc, s[6:7]
	s_waitcnt vmcnt(0) lgkmcnt(0)
	v_fmac_f32_e32 v70, v73, v74
	s_andn2_b64 exec, exec, s[6:7]
	s_cbranch_execnz .LBB96_313
; %bb.314:
	s_or_b64 exec, exec, s[6:7]
.LBB96_315:
	s_or_b64 exec, exec, s[8:9]
	v_mov_b32_e32 v71, 0
	ds_read_b32 v71, v71
	s_waitcnt lgkmcnt(0)
	v_mul_f32_e32 v70, v70, v71
	buffer_store_dword v70, off, s[0:3], 0
.LBB96_316:
	s_or_b64 exec, exec, s[4:5]
	s_mov_b64 s[4:5], 0
.LBB96_317:
	s_and_b64 vcc, exec, s[4:5]
	s_cbranch_vccz .LBB96_631
; %bb.318:
	buffer_load_dword v70, off, s[0:3], 0 offset:4
	v_cmp_eq_u32_e64 s[6:7], 0, v0
	s_waitcnt vmcnt(0)
	ds_write_b32 v68, v70
	s_waitcnt lgkmcnt(0)
	; wave barrier
	s_waitcnt lgkmcnt(0)
	s_and_saveexec_b64 s[4:5], s[6:7]
	s_cbranch_execz .LBB96_324
; %bb.319:
	s_and_b64 vcc, exec, s[10:11]
	s_cbranch_vccz .LBB96_321
; %bb.320:
	buffer_load_dword v70, v69, s[0:3], 0 offen
	ds_read_b32 v71, v68
	s_waitcnt vmcnt(0) lgkmcnt(0)
	v_mul_f32_e32 v70, v70, v71
	s_cbranch_execz .LBB96_322
	s_branch .LBB96_323
.LBB96_321:
                                        ; implicit-def: $vgpr70
.LBB96_322:
	ds_read_b32 v70, v68
.LBB96_323:
	v_mov_b32_e32 v71, 0
	ds_read_b32 v71, v71 offset:4
	s_waitcnt lgkmcnt(0)
	v_mul_f32_e32 v70, v70, v71
	buffer_store_dword v70, off, s[0:3], 0 offset:4
.LBB96_324:
	s_or_b64 exec, exec, s[4:5]
	buffer_load_dword v70, off, s[0:3], 0 offset:8
	v_cndmask_b32_e64 v71, 0, 1, s[10:11]
	v_cmp_gt_u32_e32 vcc, 2, v0
	v_cmp_ne_u32_e64 s[4:5], 1, v71
	s_waitcnt vmcnt(0)
	ds_write_b32 v68, v70
	s_waitcnt lgkmcnt(0)
	; wave barrier
	s_waitcnt lgkmcnt(0)
	s_and_saveexec_b64 s[8:9], vcc
	s_cbranch_execz .LBB96_332
; %bb.325:
	s_and_b64 vcc, exec, s[4:5]
	s_cbranch_vccnz .LBB96_327
; %bb.326:
	buffer_load_dword v70, v69, s[0:3], 0 offen
	ds_read_b32 v71, v68
	s_waitcnt vmcnt(0) lgkmcnt(0)
	v_mul_f32_e32 v70, v70, v71
	s_cbranch_execz .LBB96_328
	s_branch .LBB96_329
.LBB96_327:
                                        ; implicit-def: $vgpr70
.LBB96_328:
	ds_read_b32 v70, v68
.LBB96_329:
	s_and_saveexec_b64 s[10:11], s[6:7]
	s_cbranch_execz .LBB96_331
; %bb.330:
	buffer_load_dword v71, v69, s[0:3], 0 offen offset:4
	ds_read_b32 v72, v68 offset:4
	s_waitcnt vmcnt(0) lgkmcnt(0)
	v_fmac_f32_e32 v70, v71, v72
.LBB96_331:
	s_or_b64 exec, exec, s[10:11]
	v_mov_b32_e32 v71, 0
	ds_read_b32 v71, v71 offset:8
	s_waitcnt lgkmcnt(0)
	v_mul_f32_e32 v70, v70, v71
	buffer_store_dword v70, off, s[0:3], 0 offset:8
.LBB96_332:
	s_or_b64 exec, exec, s[8:9]
	buffer_load_dword v70, off, s[0:3], 0 offset:12
	v_cmp_gt_u32_e32 vcc, 3, v0
	s_waitcnt vmcnt(0)
	ds_write_b32 v68, v70
	s_waitcnt lgkmcnt(0)
	; wave barrier
	s_waitcnt lgkmcnt(0)
	s_and_saveexec_b64 s[8:9], vcc
	s_cbranch_execz .LBB96_340
; %bb.333:
	s_and_b64 vcc, exec, s[4:5]
	s_cbranch_vccnz .LBB96_335
; %bb.334:
	buffer_load_dword v70, v69, s[0:3], 0 offen
	ds_read_b32 v71, v68
	s_waitcnt vmcnt(0) lgkmcnt(0)
	v_mul_f32_e32 v70, v70, v71
	s_cbranch_execz .LBB96_336
	s_branch .LBB96_337
.LBB96_335:
                                        ; implicit-def: $vgpr70
.LBB96_336:
	ds_read_b32 v70, v68
.LBB96_337:
	v_cmp_ne_u32_e32 vcc, 2, v0
	s_and_saveexec_b64 s[10:11], vcc
	s_cbranch_execz .LBB96_339
; %bb.338:
	buffer_load_dword v71, v69, s[0:3], 0 offen offset:4
	buffer_load_dword v72, off, s[0:3], 0 offset:8
	v_mov_b32_e32 v73, 0
	ds_read_b32 v74, v68 offset:4
	ds_read_b32 v73, v73 offset:152
	s_waitcnt vmcnt(1) lgkmcnt(1)
	v_fmac_f32_e32 v70, v71, v74
	s_waitcnt vmcnt(0) lgkmcnt(0)
	v_fma_f32 v71, v72, v73, v70
	v_cndmask_b32_e64 v70, v70, v71, s[6:7]
.LBB96_339:
	s_or_b64 exec, exec, s[10:11]
	v_mov_b32_e32 v71, 0
	ds_read_b32 v71, v71 offset:12
	s_waitcnt lgkmcnt(0)
	v_mul_f32_e32 v70, v70, v71
	buffer_store_dword v70, off, s[0:3], 0 offset:12
.LBB96_340:
	s_or_b64 exec, exec, s[8:9]
	buffer_load_dword v70, off, s[0:3], 0 offset:16
	v_cmp_gt_u32_e32 vcc, 4, v0
	s_waitcnt vmcnt(0)
	ds_write_b32 v68, v70
	s_waitcnt lgkmcnt(0)
	; wave barrier
	s_waitcnt lgkmcnt(0)
	s_and_saveexec_b64 s[6:7], vcc
	s_cbranch_execz .LBB96_350
; %bb.341:
	s_and_b64 vcc, exec, s[4:5]
	s_cbranch_vccnz .LBB96_343
; %bb.342:
	buffer_load_dword v70, v69, s[0:3], 0 offen
	ds_read_b32 v71, v68
	s_waitcnt vmcnt(0) lgkmcnt(0)
	v_mul_f32_e32 v70, v70, v71
	s_cbranch_execz .LBB96_344
	s_branch .LBB96_345
.LBB96_343:
                                        ; implicit-def: $vgpr70
.LBB96_344:
	ds_read_b32 v70, v68
.LBB96_345:
	v_cmp_ne_u32_e32 vcc, 3, v0
	s_and_saveexec_b64 s[8:9], vcc
	s_cbranch_execz .LBB96_349
; %bb.346:
	v_mov_b32_e32 v72, 0
	v_add_u32_e32 v71, 0x94, v1
	v_add3_u32 v72, v1, v72, 4
	s_mov_b64 s[10:11], 0
	v_mov_b32_e32 v73, v0
.LBB96_347:                             ; =>This Inner Loop Header: Depth=1
	buffer_load_dword v74, v72, s[0:3], 0 offen
	ds_read_b32 v75, v71
	v_add_u32_e32 v73, 1, v73
	v_cmp_lt_u32_e32 vcc, 2, v73
	v_add_u32_e32 v71, 4, v71
	v_add_u32_e32 v72, 4, v72
	s_or_b64 s[10:11], vcc, s[10:11]
	s_waitcnt vmcnt(0) lgkmcnt(0)
	v_fmac_f32_e32 v70, v74, v75
	s_andn2_b64 exec, exec, s[10:11]
	s_cbranch_execnz .LBB96_347
; %bb.348:
	s_or_b64 exec, exec, s[10:11]
.LBB96_349:
	s_or_b64 exec, exec, s[8:9]
	v_mov_b32_e32 v71, 0
	ds_read_b32 v71, v71 offset:16
	s_waitcnt lgkmcnt(0)
	v_mul_f32_e32 v70, v70, v71
	buffer_store_dword v70, off, s[0:3], 0 offset:16
.LBB96_350:
	s_or_b64 exec, exec, s[6:7]
	buffer_load_dword v70, off, s[0:3], 0 offset:20
	v_cmp_gt_u32_e32 vcc, 5, v0
	s_waitcnt vmcnt(0)
	ds_write_b32 v68, v70
	s_waitcnt lgkmcnt(0)
	; wave barrier
	s_waitcnt lgkmcnt(0)
	s_and_saveexec_b64 s[6:7], vcc
	s_cbranch_execz .LBB96_360
; %bb.351:
	s_and_b64 vcc, exec, s[4:5]
	s_cbranch_vccnz .LBB96_353
; %bb.352:
	buffer_load_dword v70, v69, s[0:3], 0 offen
	ds_read_b32 v71, v68
	s_waitcnt vmcnt(0) lgkmcnt(0)
	v_mul_f32_e32 v70, v70, v71
	s_cbranch_execz .LBB96_354
	s_branch .LBB96_355
.LBB96_353:
                                        ; implicit-def: $vgpr70
.LBB96_354:
	ds_read_b32 v70, v68
.LBB96_355:
	v_cmp_ne_u32_e32 vcc, 4, v0
	s_and_saveexec_b64 s[8:9], vcc
	s_cbranch_execz .LBB96_359
; %bb.356:
	v_mov_b32_e32 v72, 0
	v_add_u32_e32 v71, 0x94, v1
	v_add3_u32 v72, v1, v72, 4
	s_mov_b64 s[10:11], 0
	v_mov_b32_e32 v73, v0
.LBB96_357:                             ; =>This Inner Loop Header: Depth=1
	buffer_load_dword v74, v72, s[0:3], 0 offen
	ds_read_b32 v75, v71
	v_add_u32_e32 v73, 1, v73
	v_cmp_lt_u32_e32 vcc, 3, v73
	v_add_u32_e32 v71, 4, v71
	v_add_u32_e32 v72, 4, v72
	s_or_b64 s[10:11], vcc, s[10:11]
	s_waitcnt vmcnt(0) lgkmcnt(0)
	v_fmac_f32_e32 v70, v74, v75
	s_andn2_b64 exec, exec, s[10:11]
	s_cbranch_execnz .LBB96_357
; %bb.358:
	s_or_b64 exec, exec, s[10:11]
.LBB96_359:
	s_or_b64 exec, exec, s[8:9]
	v_mov_b32_e32 v71, 0
	ds_read_b32 v71, v71 offset:20
	s_waitcnt lgkmcnt(0)
	v_mul_f32_e32 v70, v70, v71
	buffer_store_dword v70, off, s[0:3], 0 offset:20
.LBB96_360:
	;; [unrolled: 56-line block ×27, first 2 shown]
	s_or_b64 exec, exec, s[6:7]
	buffer_load_dword v70, off, s[0:3], 0 offset:124
	v_cmp_gt_u32_e64 s[6:7], 31, v0
	s_waitcnt vmcnt(0)
	ds_write_b32 v68, v70
	s_waitcnt lgkmcnt(0)
	; wave barrier
	s_waitcnt lgkmcnt(0)
	s_and_saveexec_b64 s[8:9], s[6:7]
	s_cbranch_execz .LBB96_620
; %bb.611:
	s_and_b64 vcc, exec, s[4:5]
	s_cbranch_vccnz .LBB96_613
; %bb.612:
	buffer_load_dword v70, v69, s[0:3], 0 offen
	ds_read_b32 v71, v68
	s_waitcnt vmcnt(0) lgkmcnt(0)
	v_mul_f32_e32 v70, v70, v71
	s_cbranch_execz .LBB96_614
	s_branch .LBB96_615
.LBB96_613:
                                        ; implicit-def: $vgpr70
.LBB96_614:
	ds_read_b32 v70, v68
.LBB96_615:
	v_cmp_ne_u32_e32 vcc, 30, v0
	s_and_saveexec_b64 s[10:11], vcc
	s_cbranch_execz .LBB96_619
; %bb.616:
	v_mov_b32_e32 v72, 0
	v_add_u32_e32 v71, 0x94, v1
	v_add3_u32 v72, v1, v72, 4
	s_mov_b64 s[12:13], 0
	v_mov_b32_e32 v73, v0
.LBB96_617:                             ; =>This Inner Loop Header: Depth=1
	buffer_load_dword v74, v72, s[0:3], 0 offen
	ds_read_b32 v75, v71
	v_add_u32_e32 v73, 1, v73
	v_cmp_lt_u32_e32 vcc, 29, v73
	v_add_u32_e32 v71, 4, v71
	v_add_u32_e32 v72, 4, v72
	s_or_b64 s[12:13], vcc, s[12:13]
	s_waitcnt vmcnt(0) lgkmcnt(0)
	v_fmac_f32_e32 v70, v74, v75
	s_andn2_b64 exec, exec, s[12:13]
	s_cbranch_execnz .LBB96_617
; %bb.618:
	s_or_b64 exec, exec, s[12:13]
.LBB96_619:
	s_or_b64 exec, exec, s[10:11]
	v_mov_b32_e32 v71, 0
	ds_read_b32 v71, v71 offset:124
	s_waitcnt lgkmcnt(0)
	v_mul_f32_e32 v70, v70, v71
	buffer_store_dword v70, off, s[0:3], 0 offset:124
.LBB96_620:
	s_or_b64 exec, exec, s[8:9]
	buffer_load_dword v70, off, s[0:3], 0 offset:128
	v_cmp_ne_u32_e32 vcc, 32, v0
	s_waitcnt vmcnt(0)
	ds_write_b32 v68, v70
	s_waitcnt lgkmcnt(0)
	; wave barrier
	s_waitcnt lgkmcnt(0)
	s_and_saveexec_b64 s[8:9], vcc
	s_cbranch_execz .LBB96_630
; %bb.621:
	s_and_b64 vcc, exec, s[4:5]
	s_cbranch_vccnz .LBB96_623
; %bb.622:
	buffer_load_dword v69, v69, s[0:3], 0 offen
	ds_read_b32 v70, v68
	s_waitcnt vmcnt(0) lgkmcnt(0)
	v_mul_f32_e32 v69, v69, v70
	s_cbranch_execz .LBB96_624
	s_branch .LBB96_625
.LBB96_623:
                                        ; implicit-def: $vgpr69
.LBB96_624:
	ds_read_b32 v69, v68
.LBB96_625:
	s_and_saveexec_b64 s[4:5], s[6:7]
	s_cbranch_execz .LBB96_629
; %bb.626:
	v_mov_b32_e32 v70, 0
	v_add_u32_e32 v68, 0x94, v1
	v_add3_u32 v1, v1, v70, 4
	s_mov_b64 s[6:7], 0
.LBB96_627:                             ; =>This Inner Loop Header: Depth=1
	buffer_load_dword v70, v1, s[0:3], 0 offen
	ds_read_b32 v71, v68
	v_add_u32_e32 v0, 1, v0
	v_cmp_lt_u32_e32 vcc, 30, v0
	v_add_u32_e32 v68, 4, v68
	v_add_u32_e32 v1, 4, v1
	s_or_b64 s[6:7], vcc, s[6:7]
	s_waitcnt vmcnt(0) lgkmcnt(0)
	v_fmac_f32_e32 v69, v70, v71
	s_andn2_b64 exec, exec, s[6:7]
	s_cbranch_execnz .LBB96_627
; %bb.628:
	s_or_b64 exec, exec, s[6:7]
.LBB96_629:
	s_or_b64 exec, exec, s[4:5]
	v_mov_b32_e32 v0, 0
	ds_read_b32 v0, v0 offset:128
	s_waitcnt lgkmcnt(0)
	v_mul_f32_e32 v0, v69, v0
	buffer_store_dword v0, off, s[0:3], 0 offset:128
.LBB96_630:
	s_or_b64 exec, exec, s[8:9]
.LBB96_631:
	buffer_load_dword v0, off, s[0:3], 0
	buffer_load_dword v1, off, s[0:3], 0 offset:4
	buffer_load_dword v68, off, s[0:3], 0 offset:8
	;; [unrolled: 1-line block ×23, first 2 shown]
	s_waitcnt vmcnt(23)
	global_store_dword v[56:57], v0, off
	s_waitcnt vmcnt(23)
	global_store_dword v[60:61], v1, off
	buffer_load_dword v0, off, s[0:3], 0 offset:96
	s_nop 0
	buffer_load_dword v1, off, s[0:3], 0 offset:100
	buffer_load_dword v56, off, s[0:3], 0 offset:104
	;; [unrolled: 1-line block ×7, first 2 shown]
	s_waitcnt vmcnt(31)
	global_store_dword v[2:3], v68, off
	buffer_load_dword v2, off, s[0:3], 0 offset:128
	s_waitcnt vmcnt(32)
	global_store_dword v[4:5], v69, off
	s_waitcnt vmcnt(32)
	global_store_dword v[6:7], v70, off
	;; [unrolled: 2-line block ×30, first 2 shown]
.LBB96_632:
	s_endpgm
	.section	.rodata,"a",@progbits
	.p2align	6, 0x0
	.amdhsa_kernel _ZN9rocsolver6v33100L18trti2_kernel_smallILi33EfPKPfEEv13rocblas_fill_17rocblas_diagonal_T1_iil
		.amdhsa_group_segment_fixed_size 276
		.amdhsa_private_segment_fixed_size 144
		.amdhsa_kernarg_size 32
		.amdhsa_user_sgpr_count 8
		.amdhsa_user_sgpr_private_segment_buffer 1
		.amdhsa_user_sgpr_dispatch_ptr 0
		.amdhsa_user_sgpr_queue_ptr 0
		.amdhsa_user_sgpr_kernarg_segment_ptr 1
		.amdhsa_user_sgpr_dispatch_id 0
		.amdhsa_user_sgpr_flat_scratch_init 1
		.amdhsa_user_sgpr_kernarg_preload_length 0
		.amdhsa_user_sgpr_kernarg_preload_offset 0
		.amdhsa_user_sgpr_private_segment_size 0
		.amdhsa_uses_dynamic_stack 0
		.amdhsa_system_sgpr_private_segment_wavefront_offset 1
		.amdhsa_system_sgpr_workgroup_id_x 1
		.amdhsa_system_sgpr_workgroup_id_y 0
		.amdhsa_system_sgpr_workgroup_id_z 0
		.amdhsa_system_sgpr_workgroup_info 0
		.amdhsa_system_vgpr_workitem_id 0
		.amdhsa_next_free_vgpr 92
		.amdhsa_next_free_sgpr 16
		.amdhsa_accum_offset 92
		.amdhsa_reserve_vcc 1
		.amdhsa_reserve_flat_scratch 0
		.amdhsa_float_round_mode_32 0
		.amdhsa_float_round_mode_16_64 0
		.amdhsa_float_denorm_mode_32 3
		.amdhsa_float_denorm_mode_16_64 3
		.amdhsa_dx10_clamp 1
		.amdhsa_ieee_mode 1
		.amdhsa_fp16_overflow 0
		.amdhsa_tg_split 0
		.amdhsa_exception_fp_ieee_invalid_op 0
		.amdhsa_exception_fp_denorm_src 0
		.amdhsa_exception_fp_ieee_div_zero 0
		.amdhsa_exception_fp_ieee_overflow 0
		.amdhsa_exception_fp_ieee_underflow 0
		.amdhsa_exception_fp_ieee_inexact 0
		.amdhsa_exception_int_div_zero 0
	.end_amdhsa_kernel
	.section	.text._ZN9rocsolver6v33100L18trti2_kernel_smallILi33EfPKPfEEv13rocblas_fill_17rocblas_diagonal_T1_iil,"axG",@progbits,_ZN9rocsolver6v33100L18trti2_kernel_smallILi33EfPKPfEEv13rocblas_fill_17rocblas_diagonal_T1_iil,comdat
.Lfunc_end96:
	.size	_ZN9rocsolver6v33100L18trti2_kernel_smallILi33EfPKPfEEv13rocblas_fill_17rocblas_diagonal_T1_iil, .Lfunc_end96-_ZN9rocsolver6v33100L18trti2_kernel_smallILi33EfPKPfEEv13rocblas_fill_17rocblas_diagonal_T1_iil
                                        ; -- End function
	.section	.AMDGPU.csdata,"",@progbits
; Kernel info:
; codeLenInByte = 15992
; NumSgprs: 20
; NumVgprs: 92
; NumAgprs: 0
; TotalNumVgprs: 92
; ScratchSize: 144
; MemoryBound: 0
; FloatMode: 240
; IeeeMode: 1
; LDSByteSize: 276 bytes/workgroup (compile time only)
; SGPRBlocks: 2
; VGPRBlocks: 11
; NumSGPRsForWavesPerEU: 20
; NumVGPRsForWavesPerEU: 92
; AccumOffset: 92
; Occupancy: 5
; WaveLimiterHint : 1
; COMPUTE_PGM_RSRC2:SCRATCH_EN: 1
; COMPUTE_PGM_RSRC2:USER_SGPR: 8
; COMPUTE_PGM_RSRC2:TRAP_HANDLER: 0
; COMPUTE_PGM_RSRC2:TGID_X_EN: 1
; COMPUTE_PGM_RSRC2:TGID_Y_EN: 0
; COMPUTE_PGM_RSRC2:TGID_Z_EN: 0
; COMPUTE_PGM_RSRC2:TIDIG_COMP_CNT: 0
; COMPUTE_PGM_RSRC3_GFX90A:ACCUM_OFFSET: 22
; COMPUTE_PGM_RSRC3_GFX90A:TG_SPLIT: 0
	.section	.text._ZN9rocsolver6v33100L18trti2_kernel_smallILi34EfPKPfEEv13rocblas_fill_17rocblas_diagonal_T1_iil,"axG",@progbits,_ZN9rocsolver6v33100L18trti2_kernel_smallILi34EfPKPfEEv13rocblas_fill_17rocblas_diagonal_T1_iil,comdat
	.globl	_ZN9rocsolver6v33100L18trti2_kernel_smallILi34EfPKPfEEv13rocblas_fill_17rocblas_diagonal_T1_iil ; -- Begin function _ZN9rocsolver6v33100L18trti2_kernel_smallILi34EfPKPfEEv13rocblas_fill_17rocblas_diagonal_T1_iil
	.p2align	8
	.type	_ZN9rocsolver6v33100L18trti2_kernel_smallILi34EfPKPfEEv13rocblas_fill_17rocblas_diagonal_T1_iil,@function
_ZN9rocsolver6v33100L18trti2_kernel_smallILi34EfPKPfEEv13rocblas_fill_17rocblas_diagonal_T1_iil: ; @_ZN9rocsolver6v33100L18trti2_kernel_smallILi34EfPKPfEEv13rocblas_fill_17rocblas_diagonal_T1_iil
; %bb.0:
	s_add_u32 s0, s0, s9
	s_addc_u32 s1, s1, 0
	v_cmp_gt_u32_e32 vcc, 34, v0
	s_and_saveexec_b64 s[6:7], vcc
	s_cbranch_execz .LBB97_652
; %bb.1:
	s_load_dwordx2 s[6:7], s[4:5], 0x10
	s_load_dwordx4 s[12:15], s[4:5], 0x0
	s_ashr_i32 s9, s8, 31
	s_lshl_b64 s[4:5], s[8:9], 3
	s_waitcnt lgkmcnt(0)
	s_ashr_i32 s9, s6, 31
	s_add_u32 s4, s14, s4
	s_addc_u32 s5, s15, s5
	s_load_dwordx2 s[4:5], s[4:5], 0x0
	s_mov_b32 s8, s6
	s_lshl_b64 s[8:9], s[8:9], 2
	s_waitcnt lgkmcnt(0)
	s_add_u32 s4, s4, s8
	s_addc_u32 s5, s5, s9
	s_add_i32 s6, s7, s7
	v_add_u32_e32 v2, s6, v0
	v_ashrrev_i32_e32 v3, 31, v2
	v_lshlrev_b64 v[4:5], 2, v[2:3]
	v_add_u32_e32 v6, s7, v2
	v_mov_b32_e32 v1, s5
	v_add_co_u32_e32 v4, vcc, s4, v4
	v_ashrrev_i32_e32 v7, 31, v6
	v_addc_co_u32_e32 v5, vcc, v1, v5, vcc
	v_lshlrev_b64 v[2:3], 2, v[6:7]
	v_add_u32_e32 v8, s7, v6
	v_add_co_u32_e32 v2, vcc, s4, v2
	v_ashrrev_i32_e32 v9, 31, v8
	v_addc_co_u32_e32 v3, vcc, v1, v3, vcc
	v_lshlrev_b64 v[6:7], 2, v[8:9]
	v_add_u32_e32 v10, s7, v8
	;; [unrolled: 5-line block ×22, first 2 shown]
	v_add_co_u32_e32 v46, vcc, s4, v46
	v_ashrrev_i32_e32 v51, 31, v50
	v_addc_co_u32_e32 v47, vcc, v1, v47, vcc
	v_lshlrev_b64 v[48:49], 2, v[50:51]
	v_add_co_u32_e32 v48, vcc, s4, v48
	v_addc_co_u32_e32 v49, vcc, v1, v49, vcc
	v_lshlrev_b32_e32 v1, 2, v0
	v_add_u32_e32 v52, s7, v50
	v_mov_b32_e32 v50, s5
	v_add_co_u32_e32 v54, vcc, s4, v1
	s_ashr_i32 s9, s7, 31
	s_mov_b32 s8, s7
	v_addc_co_u32_e32 v55, vcc, 0, v50, vcc
	s_lshl_b64 s[8:9], s[8:9], 2
	v_mov_b32_e32 v50, s9
	v_add_co_u32_e32 v58, vcc, s8, v54
	v_addc_co_u32_e32 v59, vcc, v55, v50, vcc
	global_load_dword v70, v1, s[4:5]
	global_load_dword v71, v[58:59], off
	global_load_dword v72, v[4:5], off
	;; [unrolled: 1-line block ×16, first 2 shown]
	v_ashrrev_i32_e32 v53, 31, v52
	v_lshlrev_b64 v[50:51], 2, v[52:53]
	v_add_u32_e32 v56, s7, v52
	v_mov_b32_e32 v53, s5
	v_add_co_u32_e32 v50, vcc, s4, v50
	v_ashrrev_i32_e32 v57, 31, v56
	v_addc_co_u32_e32 v51, vcc, v53, v51, vcc
	v_lshlrev_b64 v[52:53], 2, v[56:57]
	v_add_u32_e32 v60, s7, v56
	v_mov_b32_e32 v57, s5
	v_add_co_u32_e32 v52, vcc, s4, v52
	v_ashrrev_i32_e32 v61, 31, v60
	v_addc_co_u32_e32 v53, vcc, v57, v53, vcc
	;; [unrolled: 6-line block ×4, first 2 shown]
	v_lshlrev_b64 v[62:63], 2, v[64:65]
	v_mov_b32_e32 v66, s5
	v_add_co_u32_e32 v62, vcc, s4, v62
	v_addc_co_u32_e32 v63, vcc, v66, v63, vcc
	v_add_u32_e32 v66, s7, v64
	v_ashrrev_i32_e32 v67, 31, v66
	v_lshlrev_b64 v[64:65], 2, v[66:67]
	v_mov_b32_e32 v68, s5
	v_add_co_u32_e32 v64, vcc, s4, v64
	v_addc_co_u32_e32 v65, vcc, v68, v65, vcc
	v_add_u32_e32 v68, s7, v66
	v_ashrrev_i32_e32 v69, 31, v68
	v_lshlrev_b64 v[66:67], 2, v[68:69]
	v_add_u32_e32 v68, s7, v68
	v_mov_b32_e32 v87, s5
	v_add_co_u32_e32 v66, vcc, s4, v66
	v_ashrrev_i32_e32 v69, 31, v68
	v_addc_co_u32_e32 v67, vcc, v87, v67, vcc
	v_lshlrev_b64 v[68:69], 2, v[68:69]
	v_add_co_u32_e32 v68, vcc, s4, v68
	v_addc_co_u32_e32 v69, vcc, v87, v69, vcc
	global_load_dword v87, v[68:69], off
	s_waitcnt vmcnt(17)
	buffer_store_dword v70, off, s[0:3], 0
	s_waitcnt vmcnt(17)
	buffer_store_dword v71, off, s[0:3], 0 offset:4
	s_waitcnt vmcnt(17)
	buffer_store_dword v72, off, s[0:3], 0 offset:8
	;; [unrolled: 2-line block ×10, first 2 shown]
	global_load_dword v70, v[32:33], off
	global_load_dword v71, v[34:35], off
	;; [unrolled: 1-line block ×15, first 2 shown]
	s_cmpk_lg_i32 s13, 0x84
	s_waitcnt vmcnt(27)
	buffer_store_dword v86, off, s[0:3], 0 offset:40
	global_load_dword v86, v[64:65], off
	s_nop 0
	buffer_store_dword v81, off, s[0:3], 0 offset:48
	buffer_store_dword v82, off, s[0:3], 0 offset:52
	;; [unrolled: 1-line block ×5, first 2 shown]
	s_waitcnt vmcnt(21)
	buffer_store_dword v70, off, s[0:3], 0 offset:68
	s_waitcnt vmcnt(21)
	buffer_store_dword v71, off, s[0:3], 0 offset:72
	;; [unrolled: 2-line block ×5, first 2 shown]
	buffer_store_dword v74, off, s[0:3], 0 offset:92
	buffer_store_dword v75, off, s[0:3], 0 offset:88
	s_waitcnt vmcnt(20)
	buffer_store_dword v78, off, s[0:3], 0 offset:100
	buffer_store_dword v73, off, s[0:3], 0 offset:96
	s_waitcnt vmcnt(18)
	buffer_store_dword v89, off, s[0:3], 0 offset:108
	s_waitcnt vmcnt(18)
	;; [unrolled: 2-line block ×3, first 2 shown]
	buffer_store_dword v91, off, s[0:3], 0 offset:116
	buffer_store_dword v88, off, s[0:3], 0 offset:112
	s_waitcnt vmcnt(18)
	buffer_store_dword v86, off, s[0:3], 0 offset:124
	buffer_store_dword v80, off, s[0:3], 0 offset:120
	;; [unrolled: 1-line block ×4, first 2 shown]
	s_cselect_b64 s[8:9], -1, 0
	s_cmpk_eq_i32 s13, 0x84
	v_mov_b32_e32 v86, 0
	v_mov_b32_e32 v70, -1.0
	s_cbranch_scc1 .LBB97_3
; %bb.2:
	v_lshl_add_u32 v70, v0, 2, v86
	buffer_load_dword v71, v70, s[0:3], 0 offen
	s_waitcnt vmcnt(0)
	v_div_scale_f32 v72, s[4:5], v71, v71, 1.0
	v_rcp_f32_e32 v73, v72
	v_div_scale_f32 v74, vcc, 1.0, v71, 1.0
	v_fma_f32 v75, -v72, v73, 1.0
	v_fmac_f32_e32 v73, v75, v73
	v_mul_f32_e32 v75, v74, v73
	v_fma_f32 v76, -v72, v75, v74
	v_fmac_f32_e32 v75, v76, v73
	v_fma_f32 v72, -v72, v75, v74
	v_div_fmas_f32 v72, v72, v73, v75
	v_div_fixup_f32 v71, v72, v71, 1.0
	buffer_store_dword v71, v70, s[0:3], 0 offen
	v_xor_b32_e32 v70, 0x80000000, v71
.LBB97_3:
	ds_write_b32 v1, v70
	s_cmpk_eq_i32 s12, 0x79
	v_add_u32_e32 v70, 0x90, v1
	v_add_u32_e32 v71, 0, v1
	s_mov_b64 s[4:5], -1
	s_cbranch_scc1 .LBB97_327
; %bb.4:
	buffer_load_dword v72, off, s[0:3], 0 offset:128
	v_cmp_eq_u32_e64 s[4:5], 33, v0
	s_waitcnt vmcnt(0)
	ds_write_b32 v70, v72
	s_waitcnt lgkmcnt(0)
	; wave barrier
	s_waitcnt lgkmcnt(0)
	s_and_saveexec_b64 s[6:7], s[4:5]
	s_cbranch_execz .LBB97_10
; %bb.5:
	s_and_b64 vcc, exec, s[8:9]
	s_cbranch_vccz .LBB97_7
; %bb.6:
	buffer_load_dword v72, v71, s[0:3], 0 offen
	ds_read_b32 v73, v70
	s_waitcnt vmcnt(0) lgkmcnt(0)
	v_mul_f32_e32 v72, v72, v73
	s_cbranch_execz .LBB97_8
	s_branch .LBB97_9
.LBB97_7:
                                        ; implicit-def: $vgpr72
.LBB97_8:
	ds_read_b32 v72, v70
.LBB97_9:
	v_mov_b32_e32 v73, 0
	ds_read_b32 v73, v73 offset:128
	s_waitcnt lgkmcnt(0)
	v_mul_f32_e32 v72, v72, v73
	buffer_store_dword v72, off, s[0:3], 0 offset:128
.LBB97_10:
	s_or_b64 exec, exec, s[6:7]
	buffer_load_dword v87, off, s[0:3], 0 offset:124
	v_or_b32_e32 v72, 8, v86
	v_add_u32_e32 v73, 16, v86
	v_add_u32_e32 v74, 24, v86
	;; [unrolled: 1-line block ×14, first 2 shown]
	v_cmp_lt_u32_e64 s[6:7], 31, v0
	s_waitcnt vmcnt(0)
	ds_write_b32 v70, v87
	s_waitcnt lgkmcnt(0)
	; wave barrier
	s_waitcnt lgkmcnt(0)
	s_and_saveexec_b64 s[10:11], s[6:7]
	s_cbranch_execz .LBB97_16
; %bb.11:
	s_andn2_b64 vcc, exec, s[8:9]
	s_cbranch_vccnz .LBB97_13
; %bb.12:
	buffer_load_dword v87, v71, s[0:3], 0 offen
	ds_read_b32 v88, v70
	s_waitcnt vmcnt(0) lgkmcnt(0)
	v_mul_f32_e32 v87, v87, v88
	s_cbranch_execz .LBB97_14
	s_branch .LBB97_15
.LBB97_13:
                                        ; implicit-def: $vgpr87
.LBB97_14:
	ds_read_b32 v87, v70
.LBB97_15:
	buffer_load_dword v90, off, s[0:3], 0 offset:128
	v_mov_b32_e32 v88, 0
	ds_read2_b32 v[88:89], v88 offset0:31 offset1:68
	s_waitcnt vmcnt(0) lgkmcnt(0)
	v_fma_f32 v89, v90, v89, v87
	v_cndmask_b32_e64 v87, v87, v89, s[4:5]
	v_mul_f32_e32 v87, v87, v88
	buffer_store_dword v87, off, s[0:3], 0 offset:124
.LBB97_16:
	s_or_b64 exec, exec, s[10:11]
	buffer_load_dword v87, off, s[0:3], 0 offset:120
	v_cmp_lt_u32_e64 s[4:5], 30, v0
	s_waitcnt vmcnt(0)
	ds_write_b32 v70, v87
	s_waitcnt lgkmcnt(0)
	; wave barrier
	s_waitcnt lgkmcnt(0)
	s_and_saveexec_b64 s[10:11], s[4:5]
	s_cbranch_execz .LBB97_26
; %bb.17:
	s_andn2_b64 vcc, exec, s[8:9]
	s_cbranch_vccnz .LBB97_19
; %bb.18:
	buffer_load_dword v87, v71, s[0:3], 0 offen
	ds_read_b32 v88, v70
	s_waitcnt vmcnt(0) lgkmcnt(0)
	v_mul_f32_e32 v87, v87, v88
	s_cbranch_execz .LBB97_20
	s_branch .LBB97_21
.LBB97_19:
                                        ; implicit-def: $vgpr87
.LBB97_20:
	ds_read_b32 v87, v70
.LBB97_21:
	s_and_saveexec_b64 s[12:13], s[6:7]
	s_cbranch_execz .LBB97_25
; %bb.22:
	v_mov_b32_e32 v88, 0
	v_add_u32_e32 v88, 0x7c, v88
	v_subrev_u32_e32 v89, 31, v0
	s_movk_i32 s14, 0x10c
	s_mov_b64 s[6:7], 0
.LBB97_23:                              ; =>This Inner Loop Header: Depth=1
	buffer_load_dword v90, v88, s[0:3], 0 offen
	v_mov_b32_e32 v91, s14
	ds_read_b32 v91, v91
	v_add_u32_e32 v89, -1, v89
	s_add_i32 s14, s14, 4
	v_cmp_eq_u32_e32 vcc, 0, v89
	v_add_u32_e32 v88, 4, v88
	s_or_b64 s[6:7], vcc, s[6:7]
	s_waitcnt vmcnt(0) lgkmcnt(0)
	v_fmac_f32_e32 v87, v90, v91
	s_andn2_b64 exec, exec, s[6:7]
	s_cbranch_execnz .LBB97_23
; %bb.24:
	s_or_b64 exec, exec, s[6:7]
.LBB97_25:
	s_or_b64 exec, exec, s[12:13]
	v_mov_b32_e32 v88, 0
	ds_read_b32 v88, v88 offset:120
	s_waitcnt lgkmcnt(0)
	v_mul_f32_e32 v87, v87, v88
	buffer_store_dword v87, off, s[0:3], 0 offset:120
.LBB97_26:
	s_or_b64 exec, exec, s[10:11]
	buffer_load_dword v87, off, s[0:3], 0 offset:116
	v_cmp_lt_u32_e64 s[6:7], 29, v0
	s_waitcnt vmcnt(0)
	ds_write_b32 v70, v87
	s_waitcnt lgkmcnt(0)
	; wave barrier
	s_waitcnt lgkmcnt(0)
	s_and_saveexec_b64 s[10:11], s[6:7]
	s_cbranch_execz .LBB97_36
; %bb.27:
	s_andn2_b64 vcc, exec, s[8:9]
	s_cbranch_vccnz .LBB97_29
; %bb.28:
	buffer_load_dword v87, v71, s[0:3], 0 offen
	ds_read_b32 v88, v70
	s_waitcnt vmcnt(0) lgkmcnt(0)
	v_mul_f32_e32 v87, v87, v88
	s_cbranch_execz .LBB97_30
	s_branch .LBB97_31
.LBB97_29:
                                        ; implicit-def: $vgpr87
.LBB97_30:
	ds_read_b32 v87, v70
.LBB97_31:
	s_and_saveexec_b64 s[12:13], s[4:5]
	s_cbranch_execz .LBB97_35
; %bb.32:
	v_subrev_u32_e32 v88, 30, v0
	s_movk_i32 s14, 0x108
	s_mov_b64 s[4:5], 0
.LBB97_33:                              ; =>This Inner Loop Header: Depth=1
	buffer_load_dword v89, v86, s[0:3], 0 offen
	v_mov_b32_e32 v90, s14
	ds_read_b32 v90, v90
	v_add_u32_e32 v88, -1, v88
	s_add_i32 s14, s14, 4
	v_cmp_eq_u32_e32 vcc, 0, v88
	v_add_u32_e32 v86, 4, v86
	s_or_b64 s[4:5], vcc, s[4:5]
	s_waitcnt vmcnt(0) lgkmcnt(0)
	v_fmac_f32_e32 v87, v89, v90
	s_andn2_b64 exec, exec, s[4:5]
	s_cbranch_execnz .LBB97_33
; %bb.34:
	s_or_b64 exec, exec, s[4:5]
.LBB97_35:
	s_or_b64 exec, exec, s[12:13]
	v_mov_b32_e32 v86, 0
	ds_read_b32 v86, v86 offset:116
	s_waitcnt lgkmcnt(0)
	v_mul_f32_e32 v86, v87, v86
	buffer_store_dword v86, off, s[0:3], 0 offset:116
.LBB97_36:
	s_or_b64 exec, exec, s[10:11]
	buffer_load_dword v86, off, s[0:3], 0 offset:112
	v_cmp_lt_u32_e64 s[4:5], 28, v0
	s_waitcnt vmcnt(0)
	ds_write_b32 v70, v86
	s_waitcnt lgkmcnt(0)
	; wave barrier
	s_waitcnt lgkmcnt(0)
	s_and_saveexec_b64 s[10:11], s[4:5]
	s_cbranch_execz .LBB97_46
; %bb.37:
	s_andn2_b64 vcc, exec, s[8:9]
	s_cbranch_vccnz .LBB97_39
; %bb.38:
	buffer_load_dword v86, v71, s[0:3], 0 offen
	ds_read_b32 v87, v70
	s_waitcnt vmcnt(0) lgkmcnt(0)
	v_mul_f32_e32 v86, v86, v87
	s_cbranch_execz .LBB97_40
	s_branch .LBB97_41
.LBB97_39:
                                        ; implicit-def: $vgpr86
.LBB97_40:
	ds_read_b32 v86, v70
.LBB97_41:
	s_and_saveexec_b64 s[12:13], s[6:7]
	s_cbranch_execz .LBB97_45
; %bb.42:
	v_mov_b32_e32 v87, 0
	v_add_u32_e32 v87, 0x74, v87
	v_subrev_u32_e32 v88, 29, v0
	s_movk_i32 s14, 0x104
	s_mov_b64 s[6:7], 0
.LBB97_43:                              ; =>This Inner Loop Header: Depth=1
	buffer_load_dword v89, v87, s[0:3], 0 offen
	v_mov_b32_e32 v90, s14
	ds_read_b32 v90, v90
	v_add_u32_e32 v88, -1, v88
	s_add_i32 s14, s14, 4
	v_cmp_eq_u32_e32 vcc, 0, v88
	v_add_u32_e32 v87, 4, v87
	s_or_b64 s[6:7], vcc, s[6:7]
	s_waitcnt vmcnt(0) lgkmcnt(0)
	v_fmac_f32_e32 v86, v89, v90
	s_andn2_b64 exec, exec, s[6:7]
	s_cbranch_execnz .LBB97_43
; %bb.44:
	s_or_b64 exec, exec, s[6:7]
.LBB97_45:
	s_or_b64 exec, exec, s[12:13]
	v_mov_b32_e32 v87, 0
	ds_read_b32 v87, v87 offset:112
	s_waitcnt lgkmcnt(0)
	v_mul_f32_e32 v86, v86, v87
	buffer_store_dword v86, off, s[0:3], 0 offset:112
.LBB97_46:
	s_or_b64 exec, exec, s[10:11]
	buffer_load_dword v86, off, s[0:3], 0 offset:108
	v_cmp_lt_u32_e64 s[6:7], 27, v0
	s_waitcnt vmcnt(0)
	ds_write_b32 v70, v86
	s_waitcnt lgkmcnt(0)
	; wave barrier
	s_waitcnt lgkmcnt(0)
	s_and_saveexec_b64 s[10:11], s[6:7]
	s_cbranch_execz .LBB97_56
; %bb.47:
	s_andn2_b64 vcc, exec, s[8:9]
	s_cbranch_vccnz .LBB97_49
; %bb.48:
	buffer_load_dword v86, v71, s[0:3], 0 offen
	ds_read_b32 v87, v70
	s_waitcnt vmcnt(0) lgkmcnt(0)
	v_mul_f32_e32 v86, v86, v87
	s_cbranch_execz .LBB97_50
	s_branch .LBB97_51
.LBB97_49:
                                        ; implicit-def: $vgpr86
.LBB97_50:
	ds_read_b32 v86, v70
.LBB97_51:
	s_and_saveexec_b64 s[12:13], s[4:5]
	s_cbranch_execz .LBB97_55
; %bb.52:
	v_subrev_u32_e32 v87, 28, v0
	s_movk_i32 s14, 0x100
	s_mov_b64 s[4:5], 0
.LBB97_53:                              ; =>This Inner Loop Header: Depth=1
	buffer_load_dword v88, v85, s[0:3], 0 offen
	v_mov_b32_e32 v89, s14
	ds_read_b32 v89, v89
	v_add_u32_e32 v87, -1, v87
	s_add_i32 s14, s14, 4
	v_cmp_eq_u32_e32 vcc, 0, v87
	v_add_u32_e32 v85, 4, v85
	s_or_b64 s[4:5], vcc, s[4:5]
	s_waitcnt vmcnt(0) lgkmcnt(0)
	v_fmac_f32_e32 v86, v88, v89
	s_andn2_b64 exec, exec, s[4:5]
	s_cbranch_execnz .LBB97_53
; %bb.54:
	s_or_b64 exec, exec, s[4:5]
.LBB97_55:
	s_or_b64 exec, exec, s[12:13]
	v_mov_b32_e32 v85, 0
	ds_read_b32 v85, v85 offset:108
	s_waitcnt lgkmcnt(0)
	v_mul_f32_e32 v85, v86, v85
	buffer_store_dword v85, off, s[0:3], 0 offset:108
.LBB97_56:
	s_or_b64 exec, exec, s[10:11]
	buffer_load_dword v85, off, s[0:3], 0 offset:104
	v_cmp_lt_u32_e64 s[4:5], 26, v0
	s_waitcnt vmcnt(0)
	ds_write_b32 v70, v85
	s_waitcnt lgkmcnt(0)
	; wave barrier
	s_waitcnt lgkmcnt(0)
	s_and_saveexec_b64 s[10:11], s[4:5]
	s_cbranch_execz .LBB97_66
; %bb.57:
	s_andn2_b64 vcc, exec, s[8:9]
	s_cbranch_vccnz .LBB97_59
; %bb.58:
	buffer_load_dword v85, v71, s[0:3], 0 offen
	ds_read_b32 v86, v70
	s_waitcnt vmcnt(0) lgkmcnt(0)
	v_mul_f32_e32 v85, v85, v86
	s_cbranch_execz .LBB97_60
	s_branch .LBB97_61
.LBB97_59:
                                        ; implicit-def: $vgpr85
.LBB97_60:
	ds_read_b32 v85, v70
.LBB97_61:
	s_and_saveexec_b64 s[12:13], s[6:7]
	s_cbranch_execz .LBB97_65
; %bb.62:
	v_mov_b32_e32 v86, 0
	v_add_u32_e32 v86, 0x6c, v86
	v_subrev_u32_e32 v87, 27, v0
	s_movk_i32 s14, 0xfc
	s_mov_b64 s[6:7], 0
.LBB97_63:                              ; =>This Inner Loop Header: Depth=1
	buffer_load_dword v88, v86, s[0:3], 0 offen
	v_mov_b32_e32 v89, s14
	ds_read_b32 v89, v89
	v_add_u32_e32 v87, -1, v87
	s_add_i32 s14, s14, 4
	v_cmp_eq_u32_e32 vcc, 0, v87
	v_add_u32_e32 v86, 4, v86
	s_or_b64 s[6:7], vcc, s[6:7]
	s_waitcnt vmcnt(0) lgkmcnt(0)
	v_fmac_f32_e32 v85, v88, v89
	s_andn2_b64 exec, exec, s[6:7]
	s_cbranch_execnz .LBB97_63
; %bb.64:
	s_or_b64 exec, exec, s[6:7]
.LBB97_65:
	s_or_b64 exec, exec, s[12:13]
	v_mov_b32_e32 v86, 0
	ds_read_b32 v86, v86 offset:104
	s_waitcnt lgkmcnt(0)
	v_mul_f32_e32 v85, v85, v86
	buffer_store_dword v85, off, s[0:3], 0 offset:104
.LBB97_66:
	s_or_b64 exec, exec, s[10:11]
	buffer_load_dword v85, off, s[0:3], 0 offset:100
	v_cmp_lt_u32_e64 s[6:7], 25, v0
	s_waitcnt vmcnt(0)
	ds_write_b32 v70, v85
	s_waitcnt lgkmcnt(0)
	; wave barrier
	s_waitcnt lgkmcnt(0)
	s_and_saveexec_b64 s[10:11], s[6:7]
	s_cbranch_execz .LBB97_76
; %bb.67:
	s_andn2_b64 vcc, exec, s[8:9]
	s_cbranch_vccnz .LBB97_69
; %bb.68:
	buffer_load_dword v85, v71, s[0:3], 0 offen
	ds_read_b32 v86, v70
	s_waitcnt vmcnt(0) lgkmcnt(0)
	v_mul_f32_e32 v85, v85, v86
	s_cbranch_execz .LBB97_70
	s_branch .LBB97_71
.LBB97_69:
                                        ; implicit-def: $vgpr85
.LBB97_70:
	ds_read_b32 v85, v70
.LBB97_71:
	s_and_saveexec_b64 s[12:13], s[4:5]
	s_cbranch_execz .LBB97_75
; %bb.72:
	v_subrev_u32_e32 v86, 26, v0
	s_movk_i32 s14, 0xf8
	s_mov_b64 s[4:5], 0
.LBB97_73:                              ; =>This Inner Loop Header: Depth=1
	buffer_load_dword v87, v84, s[0:3], 0 offen
	v_mov_b32_e32 v88, s14
	ds_read_b32 v88, v88
	v_add_u32_e32 v86, -1, v86
	s_add_i32 s14, s14, 4
	v_cmp_eq_u32_e32 vcc, 0, v86
	v_add_u32_e32 v84, 4, v84
	s_or_b64 s[4:5], vcc, s[4:5]
	s_waitcnt vmcnt(0) lgkmcnt(0)
	v_fmac_f32_e32 v85, v87, v88
	s_andn2_b64 exec, exec, s[4:5]
	s_cbranch_execnz .LBB97_73
; %bb.74:
	s_or_b64 exec, exec, s[4:5]
.LBB97_75:
	s_or_b64 exec, exec, s[12:13]
	v_mov_b32_e32 v84, 0
	ds_read_b32 v84, v84 offset:100
	s_waitcnt lgkmcnt(0)
	v_mul_f32_e32 v84, v85, v84
	buffer_store_dword v84, off, s[0:3], 0 offset:100
.LBB97_76:
	s_or_b64 exec, exec, s[10:11]
	buffer_load_dword v84, off, s[0:3], 0 offset:96
	v_cmp_lt_u32_e64 s[4:5], 24, v0
	s_waitcnt vmcnt(0)
	ds_write_b32 v70, v84
	s_waitcnt lgkmcnt(0)
	; wave barrier
	s_waitcnt lgkmcnt(0)
	s_and_saveexec_b64 s[10:11], s[4:5]
	s_cbranch_execz .LBB97_86
; %bb.77:
	s_andn2_b64 vcc, exec, s[8:9]
	s_cbranch_vccnz .LBB97_79
; %bb.78:
	buffer_load_dword v84, v71, s[0:3], 0 offen
	ds_read_b32 v85, v70
	s_waitcnt vmcnt(0) lgkmcnt(0)
	v_mul_f32_e32 v84, v84, v85
	s_cbranch_execz .LBB97_80
	s_branch .LBB97_81
.LBB97_79:
                                        ; implicit-def: $vgpr84
.LBB97_80:
	ds_read_b32 v84, v70
.LBB97_81:
	s_and_saveexec_b64 s[12:13], s[6:7]
	s_cbranch_execz .LBB97_85
; %bb.82:
	v_mov_b32_e32 v85, 0
	v_add_u32_e32 v85, 0x64, v85
	v_subrev_u32_e32 v86, 25, v0
	s_movk_i32 s14, 0xf4
	s_mov_b64 s[6:7], 0
.LBB97_83:                              ; =>This Inner Loop Header: Depth=1
	buffer_load_dword v87, v85, s[0:3], 0 offen
	v_mov_b32_e32 v88, s14
	ds_read_b32 v88, v88
	v_add_u32_e32 v86, -1, v86
	s_add_i32 s14, s14, 4
	v_cmp_eq_u32_e32 vcc, 0, v86
	v_add_u32_e32 v85, 4, v85
	s_or_b64 s[6:7], vcc, s[6:7]
	s_waitcnt vmcnt(0) lgkmcnt(0)
	v_fmac_f32_e32 v84, v87, v88
	s_andn2_b64 exec, exec, s[6:7]
	s_cbranch_execnz .LBB97_83
; %bb.84:
	s_or_b64 exec, exec, s[6:7]
.LBB97_85:
	s_or_b64 exec, exec, s[12:13]
	v_mov_b32_e32 v85, 0
	ds_read_b32 v85, v85 offset:96
	s_waitcnt lgkmcnt(0)
	v_mul_f32_e32 v84, v84, v85
	buffer_store_dword v84, off, s[0:3], 0 offset:96
.LBB97_86:
	s_or_b64 exec, exec, s[10:11]
	buffer_load_dword v84, off, s[0:3], 0 offset:92
	v_cmp_lt_u32_e64 s[6:7], 23, v0
	s_waitcnt vmcnt(0)
	ds_write_b32 v70, v84
	s_waitcnt lgkmcnt(0)
	; wave barrier
	s_waitcnt lgkmcnt(0)
	s_and_saveexec_b64 s[10:11], s[6:7]
	s_cbranch_execz .LBB97_96
; %bb.87:
	s_andn2_b64 vcc, exec, s[8:9]
	s_cbranch_vccnz .LBB97_89
; %bb.88:
	buffer_load_dword v84, v71, s[0:3], 0 offen
	ds_read_b32 v85, v70
	s_waitcnt vmcnt(0) lgkmcnt(0)
	v_mul_f32_e32 v84, v84, v85
	s_cbranch_execz .LBB97_90
	s_branch .LBB97_91
.LBB97_89:
                                        ; implicit-def: $vgpr84
.LBB97_90:
	ds_read_b32 v84, v70
.LBB97_91:
	s_and_saveexec_b64 s[12:13], s[4:5]
	s_cbranch_execz .LBB97_95
; %bb.92:
	v_subrev_u32_e32 v85, 24, v0
	s_movk_i32 s14, 0xf0
	s_mov_b64 s[4:5], 0
.LBB97_93:                              ; =>This Inner Loop Header: Depth=1
	buffer_load_dword v86, v83, s[0:3], 0 offen
	v_mov_b32_e32 v87, s14
	ds_read_b32 v87, v87
	v_add_u32_e32 v85, -1, v85
	s_add_i32 s14, s14, 4
	v_cmp_eq_u32_e32 vcc, 0, v85
	v_add_u32_e32 v83, 4, v83
	s_or_b64 s[4:5], vcc, s[4:5]
	s_waitcnt vmcnt(0) lgkmcnt(0)
	v_fmac_f32_e32 v84, v86, v87
	s_andn2_b64 exec, exec, s[4:5]
	s_cbranch_execnz .LBB97_93
; %bb.94:
	s_or_b64 exec, exec, s[4:5]
.LBB97_95:
	s_or_b64 exec, exec, s[12:13]
	v_mov_b32_e32 v83, 0
	ds_read_b32 v83, v83 offset:92
	s_waitcnt lgkmcnt(0)
	v_mul_f32_e32 v83, v84, v83
	buffer_store_dword v83, off, s[0:3], 0 offset:92
.LBB97_96:
	s_or_b64 exec, exec, s[10:11]
	buffer_load_dword v83, off, s[0:3], 0 offset:88
	v_cmp_lt_u32_e64 s[4:5], 22, v0
	s_waitcnt vmcnt(0)
	ds_write_b32 v70, v83
	s_waitcnt lgkmcnt(0)
	; wave barrier
	s_waitcnt lgkmcnt(0)
	s_and_saveexec_b64 s[10:11], s[4:5]
	s_cbranch_execz .LBB97_106
; %bb.97:
	s_andn2_b64 vcc, exec, s[8:9]
	s_cbranch_vccnz .LBB97_99
; %bb.98:
	buffer_load_dword v83, v71, s[0:3], 0 offen
	ds_read_b32 v84, v70
	s_waitcnt vmcnt(0) lgkmcnt(0)
	v_mul_f32_e32 v83, v83, v84
	s_cbranch_execz .LBB97_100
	s_branch .LBB97_101
.LBB97_99:
                                        ; implicit-def: $vgpr83
.LBB97_100:
	ds_read_b32 v83, v70
.LBB97_101:
	s_and_saveexec_b64 s[12:13], s[6:7]
	s_cbranch_execz .LBB97_105
; %bb.102:
	v_mov_b32_e32 v84, 0
	v_add_u32_e32 v84, 0x5c, v84
	v_subrev_u32_e32 v85, 23, v0
	s_movk_i32 s14, 0xec
	s_mov_b64 s[6:7], 0
.LBB97_103:                             ; =>This Inner Loop Header: Depth=1
	buffer_load_dword v86, v84, s[0:3], 0 offen
	v_mov_b32_e32 v87, s14
	ds_read_b32 v87, v87
	v_add_u32_e32 v85, -1, v85
	s_add_i32 s14, s14, 4
	v_cmp_eq_u32_e32 vcc, 0, v85
	v_add_u32_e32 v84, 4, v84
	s_or_b64 s[6:7], vcc, s[6:7]
	s_waitcnt vmcnt(0) lgkmcnt(0)
	v_fmac_f32_e32 v83, v86, v87
	s_andn2_b64 exec, exec, s[6:7]
	s_cbranch_execnz .LBB97_103
; %bb.104:
	s_or_b64 exec, exec, s[6:7]
.LBB97_105:
	s_or_b64 exec, exec, s[12:13]
	v_mov_b32_e32 v84, 0
	ds_read_b32 v84, v84 offset:88
	s_waitcnt lgkmcnt(0)
	v_mul_f32_e32 v83, v83, v84
	buffer_store_dword v83, off, s[0:3], 0 offset:88
.LBB97_106:
	s_or_b64 exec, exec, s[10:11]
	buffer_load_dword v83, off, s[0:3], 0 offset:84
	v_cmp_lt_u32_e64 s[6:7], 21, v0
	s_waitcnt vmcnt(0)
	ds_write_b32 v70, v83
	s_waitcnt lgkmcnt(0)
	; wave barrier
	s_waitcnt lgkmcnt(0)
	s_and_saveexec_b64 s[10:11], s[6:7]
	s_cbranch_execz .LBB97_116
; %bb.107:
	s_andn2_b64 vcc, exec, s[8:9]
	s_cbranch_vccnz .LBB97_109
; %bb.108:
	buffer_load_dword v83, v71, s[0:3], 0 offen
	ds_read_b32 v84, v70
	s_waitcnt vmcnt(0) lgkmcnt(0)
	v_mul_f32_e32 v83, v83, v84
	s_cbranch_execz .LBB97_110
	s_branch .LBB97_111
.LBB97_109:
                                        ; implicit-def: $vgpr83
.LBB97_110:
	ds_read_b32 v83, v70
.LBB97_111:
	s_and_saveexec_b64 s[12:13], s[4:5]
	s_cbranch_execz .LBB97_115
; %bb.112:
	v_subrev_u32_e32 v84, 22, v0
	s_movk_i32 s14, 0xe8
	s_mov_b64 s[4:5], 0
.LBB97_113:                             ; =>This Inner Loop Header: Depth=1
	buffer_load_dword v85, v82, s[0:3], 0 offen
	v_mov_b32_e32 v86, s14
	ds_read_b32 v86, v86
	v_add_u32_e32 v84, -1, v84
	s_add_i32 s14, s14, 4
	v_cmp_eq_u32_e32 vcc, 0, v84
	v_add_u32_e32 v82, 4, v82
	s_or_b64 s[4:5], vcc, s[4:5]
	s_waitcnt vmcnt(0) lgkmcnt(0)
	v_fmac_f32_e32 v83, v85, v86
	s_andn2_b64 exec, exec, s[4:5]
	s_cbranch_execnz .LBB97_113
; %bb.114:
	s_or_b64 exec, exec, s[4:5]
.LBB97_115:
	s_or_b64 exec, exec, s[12:13]
	v_mov_b32_e32 v82, 0
	ds_read_b32 v82, v82 offset:84
	s_waitcnt lgkmcnt(0)
	v_mul_f32_e32 v82, v83, v82
	buffer_store_dword v82, off, s[0:3], 0 offset:84
.LBB97_116:
	s_or_b64 exec, exec, s[10:11]
	buffer_load_dword v82, off, s[0:3], 0 offset:80
	v_cmp_lt_u32_e64 s[4:5], 20, v0
	s_waitcnt vmcnt(0)
	ds_write_b32 v70, v82
	s_waitcnt lgkmcnt(0)
	; wave barrier
	s_waitcnt lgkmcnt(0)
	s_and_saveexec_b64 s[10:11], s[4:5]
	s_cbranch_execz .LBB97_126
; %bb.117:
	s_andn2_b64 vcc, exec, s[8:9]
	s_cbranch_vccnz .LBB97_119
; %bb.118:
	buffer_load_dword v82, v71, s[0:3], 0 offen
	ds_read_b32 v83, v70
	s_waitcnt vmcnt(0) lgkmcnt(0)
	v_mul_f32_e32 v82, v82, v83
	s_cbranch_execz .LBB97_120
	s_branch .LBB97_121
.LBB97_119:
                                        ; implicit-def: $vgpr82
.LBB97_120:
	ds_read_b32 v82, v70
.LBB97_121:
	s_and_saveexec_b64 s[12:13], s[6:7]
	s_cbranch_execz .LBB97_125
; %bb.122:
	v_mov_b32_e32 v83, 0
	v_add_u32_e32 v83, 0x54, v83
	v_subrev_u32_e32 v84, 21, v0
	s_movk_i32 s14, 0xe4
	s_mov_b64 s[6:7], 0
.LBB97_123:                             ; =>This Inner Loop Header: Depth=1
	buffer_load_dword v85, v83, s[0:3], 0 offen
	v_mov_b32_e32 v86, s14
	ds_read_b32 v86, v86
	v_add_u32_e32 v84, -1, v84
	s_add_i32 s14, s14, 4
	v_cmp_eq_u32_e32 vcc, 0, v84
	v_add_u32_e32 v83, 4, v83
	s_or_b64 s[6:7], vcc, s[6:7]
	s_waitcnt vmcnt(0) lgkmcnt(0)
	v_fmac_f32_e32 v82, v85, v86
	s_andn2_b64 exec, exec, s[6:7]
	s_cbranch_execnz .LBB97_123
; %bb.124:
	s_or_b64 exec, exec, s[6:7]
.LBB97_125:
	s_or_b64 exec, exec, s[12:13]
	v_mov_b32_e32 v83, 0
	ds_read_b32 v83, v83 offset:80
	s_waitcnt lgkmcnt(0)
	v_mul_f32_e32 v82, v82, v83
	buffer_store_dword v82, off, s[0:3], 0 offset:80
.LBB97_126:
	s_or_b64 exec, exec, s[10:11]
	buffer_load_dword v82, off, s[0:3], 0 offset:76
	v_cmp_lt_u32_e64 s[6:7], 19, v0
	s_waitcnt vmcnt(0)
	ds_write_b32 v70, v82
	s_waitcnt lgkmcnt(0)
	; wave barrier
	s_waitcnt lgkmcnt(0)
	s_and_saveexec_b64 s[10:11], s[6:7]
	s_cbranch_execz .LBB97_136
; %bb.127:
	s_andn2_b64 vcc, exec, s[8:9]
	s_cbranch_vccnz .LBB97_129
; %bb.128:
	buffer_load_dword v82, v71, s[0:3], 0 offen
	ds_read_b32 v83, v70
	s_waitcnt vmcnt(0) lgkmcnt(0)
	v_mul_f32_e32 v82, v82, v83
	s_cbranch_execz .LBB97_130
	s_branch .LBB97_131
.LBB97_129:
                                        ; implicit-def: $vgpr82
.LBB97_130:
	ds_read_b32 v82, v70
.LBB97_131:
	s_and_saveexec_b64 s[12:13], s[4:5]
	s_cbranch_execz .LBB97_135
; %bb.132:
	v_subrev_u32_e32 v83, 20, v0
	s_movk_i32 s14, 0xe0
	s_mov_b64 s[4:5], 0
.LBB97_133:                             ; =>This Inner Loop Header: Depth=1
	buffer_load_dword v84, v81, s[0:3], 0 offen
	v_mov_b32_e32 v85, s14
	ds_read_b32 v85, v85
	v_add_u32_e32 v83, -1, v83
	s_add_i32 s14, s14, 4
	v_cmp_eq_u32_e32 vcc, 0, v83
	v_add_u32_e32 v81, 4, v81
	s_or_b64 s[4:5], vcc, s[4:5]
	s_waitcnt vmcnt(0) lgkmcnt(0)
	v_fmac_f32_e32 v82, v84, v85
	s_andn2_b64 exec, exec, s[4:5]
	s_cbranch_execnz .LBB97_133
; %bb.134:
	s_or_b64 exec, exec, s[4:5]
.LBB97_135:
	s_or_b64 exec, exec, s[12:13]
	v_mov_b32_e32 v81, 0
	ds_read_b32 v81, v81 offset:76
	s_waitcnt lgkmcnt(0)
	v_mul_f32_e32 v81, v82, v81
	buffer_store_dword v81, off, s[0:3], 0 offset:76
.LBB97_136:
	s_or_b64 exec, exec, s[10:11]
	buffer_load_dword v81, off, s[0:3], 0 offset:72
	v_cmp_lt_u32_e64 s[4:5], 18, v0
	s_waitcnt vmcnt(0)
	ds_write_b32 v70, v81
	s_waitcnt lgkmcnt(0)
	; wave barrier
	s_waitcnt lgkmcnt(0)
	s_and_saveexec_b64 s[10:11], s[4:5]
	s_cbranch_execz .LBB97_146
; %bb.137:
	s_andn2_b64 vcc, exec, s[8:9]
	s_cbranch_vccnz .LBB97_139
; %bb.138:
	buffer_load_dword v81, v71, s[0:3], 0 offen
	ds_read_b32 v82, v70
	s_waitcnt vmcnt(0) lgkmcnt(0)
	v_mul_f32_e32 v81, v81, v82
	s_cbranch_execz .LBB97_140
	s_branch .LBB97_141
.LBB97_139:
                                        ; implicit-def: $vgpr81
.LBB97_140:
	ds_read_b32 v81, v70
.LBB97_141:
	s_and_saveexec_b64 s[12:13], s[6:7]
	s_cbranch_execz .LBB97_145
; %bb.142:
	v_mov_b32_e32 v82, 0
	v_add_u32_e32 v82, 0x4c, v82
	v_subrev_u32_e32 v83, 19, v0
	s_movk_i32 s14, 0xdc
	s_mov_b64 s[6:7], 0
.LBB97_143:                             ; =>This Inner Loop Header: Depth=1
	buffer_load_dword v84, v82, s[0:3], 0 offen
	v_mov_b32_e32 v85, s14
	ds_read_b32 v85, v85
	v_add_u32_e32 v83, -1, v83
	s_add_i32 s14, s14, 4
	v_cmp_eq_u32_e32 vcc, 0, v83
	v_add_u32_e32 v82, 4, v82
	s_or_b64 s[6:7], vcc, s[6:7]
	s_waitcnt vmcnt(0) lgkmcnt(0)
	v_fmac_f32_e32 v81, v84, v85
	s_andn2_b64 exec, exec, s[6:7]
	s_cbranch_execnz .LBB97_143
; %bb.144:
	s_or_b64 exec, exec, s[6:7]
.LBB97_145:
	s_or_b64 exec, exec, s[12:13]
	v_mov_b32_e32 v82, 0
	ds_read_b32 v82, v82 offset:72
	s_waitcnt lgkmcnt(0)
	v_mul_f32_e32 v81, v81, v82
	buffer_store_dword v81, off, s[0:3], 0 offset:72
.LBB97_146:
	s_or_b64 exec, exec, s[10:11]
	buffer_load_dword v81, off, s[0:3], 0 offset:68
	v_cmp_lt_u32_e64 s[6:7], 17, v0
	s_waitcnt vmcnt(0)
	ds_write_b32 v70, v81
	s_waitcnt lgkmcnt(0)
	; wave barrier
	s_waitcnt lgkmcnt(0)
	s_and_saveexec_b64 s[10:11], s[6:7]
	s_cbranch_execz .LBB97_156
; %bb.147:
	s_andn2_b64 vcc, exec, s[8:9]
	s_cbranch_vccnz .LBB97_149
; %bb.148:
	buffer_load_dword v81, v71, s[0:3], 0 offen
	ds_read_b32 v82, v70
	s_waitcnt vmcnt(0) lgkmcnt(0)
	v_mul_f32_e32 v81, v81, v82
	s_cbranch_execz .LBB97_150
	s_branch .LBB97_151
.LBB97_149:
                                        ; implicit-def: $vgpr81
.LBB97_150:
	ds_read_b32 v81, v70
.LBB97_151:
	s_and_saveexec_b64 s[12:13], s[4:5]
	s_cbranch_execz .LBB97_155
; %bb.152:
	v_subrev_u32_e32 v82, 18, v0
	s_movk_i32 s14, 0xd8
	s_mov_b64 s[4:5], 0
.LBB97_153:                             ; =>This Inner Loop Header: Depth=1
	buffer_load_dword v83, v80, s[0:3], 0 offen
	v_mov_b32_e32 v84, s14
	ds_read_b32 v84, v84
	v_add_u32_e32 v82, -1, v82
	s_add_i32 s14, s14, 4
	v_cmp_eq_u32_e32 vcc, 0, v82
	v_add_u32_e32 v80, 4, v80
	s_or_b64 s[4:5], vcc, s[4:5]
	s_waitcnt vmcnt(0) lgkmcnt(0)
	v_fmac_f32_e32 v81, v83, v84
	s_andn2_b64 exec, exec, s[4:5]
	s_cbranch_execnz .LBB97_153
; %bb.154:
	s_or_b64 exec, exec, s[4:5]
.LBB97_155:
	s_or_b64 exec, exec, s[12:13]
	v_mov_b32_e32 v80, 0
	ds_read_b32 v80, v80 offset:68
	s_waitcnt lgkmcnt(0)
	v_mul_f32_e32 v80, v81, v80
	buffer_store_dword v80, off, s[0:3], 0 offset:68
.LBB97_156:
	s_or_b64 exec, exec, s[10:11]
	buffer_load_dword v80, off, s[0:3], 0 offset:64
	v_cmp_lt_u32_e64 s[4:5], 16, v0
	s_waitcnt vmcnt(0)
	ds_write_b32 v70, v80
	s_waitcnt lgkmcnt(0)
	; wave barrier
	s_waitcnt lgkmcnt(0)
	s_and_saveexec_b64 s[10:11], s[4:5]
	s_cbranch_execz .LBB97_166
; %bb.157:
	s_andn2_b64 vcc, exec, s[8:9]
	s_cbranch_vccnz .LBB97_159
; %bb.158:
	buffer_load_dword v80, v71, s[0:3], 0 offen
	ds_read_b32 v81, v70
	s_waitcnt vmcnt(0) lgkmcnt(0)
	v_mul_f32_e32 v80, v80, v81
	s_cbranch_execz .LBB97_160
	s_branch .LBB97_161
.LBB97_159:
                                        ; implicit-def: $vgpr80
.LBB97_160:
	ds_read_b32 v80, v70
.LBB97_161:
	s_and_saveexec_b64 s[12:13], s[6:7]
	s_cbranch_execz .LBB97_165
; %bb.162:
	v_mov_b32_e32 v81, 0
	v_add_u32_e32 v81, 0x44, v81
	v_subrev_u32_e32 v82, 17, v0
	s_movk_i32 s14, 0xd4
	s_mov_b64 s[6:7], 0
.LBB97_163:                             ; =>This Inner Loop Header: Depth=1
	buffer_load_dword v83, v81, s[0:3], 0 offen
	v_mov_b32_e32 v84, s14
	ds_read_b32 v84, v84
	v_add_u32_e32 v82, -1, v82
	s_add_i32 s14, s14, 4
	v_cmp_eq_u32_e32 vcc, 0, v82
	v_add_u32_e32 v81, 4, v81
	s_or_b64 s[6:7], vcc, s[6:7]
	s_waitcnt vmcnt(0) lgkmcnt(0)
	v_fmac_f32_e32 v80, v83, v84
	s_andn2_b64 exec, exec, s[6:7]
	s_cbranch_execnz .LBB97_163
; %bb.164:
	s_or_b64 exec, exec, s[6:7]
.LBB97_165:
	s_or_b64 exec, exec, s[12:13]
	v_mov_b32_e32 v81, 0
	ds_read_b32 v81, v81 offset:64
	s_waitcnt lgkmcnt(0)
	v_mul_f32_e32 v80, v80, v81
	buffer_store_dword v80, off, s[0:3], 0 offset:64
.LBB97_166:
	s_or_b64 exec, exec, s[10:11]
	buffer_load_dword v80, off, s[0:3], 0 offset:60
	v_cmp_lt_u32_e64 s[6:7], 15, v0
	s_waitcnt vmcnt(0)
	ds_write_b32 v70, v80
	s_waitcnt lgkmcnt(0)
	; wave barrier
	s_waitcnt lgkmcnt(0)
	s_and_saveexec_b64 s[10:11], s[6:7]
	s_cbranch_execz .LBB97_176
; %bb.167:
	s_andn2_b64 vcc, exec, s[8:9]
	s_cbranch_vccnz .LBB97_169
; %bb.168:
	buffer_load_dword v80, v71, s[0:3], 0 offen
	ds_read_b32 v81, v70
	s_waitcnt vmcnt(0) lgkmcnt(0)
	v_mul_f32_e32 v80, v80, v81
	s_cbranch_execz .LBB97_170
	s_branch .LBB97_171
.LBB97_169:
                                        ; implicit-def: $vgpr80
.LBB97_170:
	ds_read_b32 v80, v70
.LBB97_171:
	s_and_saveexec_b64 s[12:13], s[4:5]
	s_cbranch_execz .LBB97_175
; %bb.172:
	v_add_u32_e32 v81, -16, v0
	s_movk_i32 s14, 0xd0
	s_mov_b64 s[4:5], 0
.LBB97_173:                             ; =>This Inner Loop Header: Depth=1
	buffer_load_dword v82, v79, s[0:3], 0 offen
	v_mov_b32_e32 v83, s14
	ds_read_b32 v83, v83
	v_add_u32_e32 v81, -1, v81
	s_add_i32 s14, s14, 4
	v_cmp_eq_u32_e32 vcc, 0, v81
	v_add_u32_e32 v79, 4, v79
	s_or_b64 s[4:5], vcc, s[4:5]
	s_waitcnt vmcnt(0) lgkmcnt(0)
	v_fmac_f32_e32 v80, v82, v83
	s_andn2_b64 exec, exec, s[4:5]
	s_cbranch_execnz .LBB97_173
; %bb.174:
	s_or_b64 exec, exec, s[4:5]
.LBB97_175:
	s_or_b64 exec, exec, s[12:13]
	v_mov_b32_e32 v79, 0
	ds_read_b32 v79, v79 offset:60
	s_waitcnt lgkmcnt(0)
	v_mul_f32_e32 v79, v80, v79
	buffer_store_dword v79, off, s[0:3], 0 offset:60
.LBB97_176:
	s_or_b64 exec, exec, s[10:11]
	buffer_load_dword v79, off, s[0:3], 0 offset:56
	v_cmp_lt_u32_e64 s[4:5], 14, v0
	s_waitcnt vmcnt(0)
	ds_write_b32 v70, v79
	s_waitcnt lgkmcnt(0)
	; wave barrier
	s_waitcnt lgkmcnt(0)
	s_and_saveexec_b64 s[10:11], s[4:5]
	s_cbranch_execz .LBB97_186
; %bb.177:
	s_andn2_b64 vcc, exec, s[8:9]
	s_cbranch_vccnz .LBB97_179
; %bb.178:
	buffer_load_dword v79, v71, s[0:3], 0 offen
	ds_read_b32 v80, v70
	s_waitcnt vmcnt(0) lgkmcnt(0)
	v_mul_f32_e32 v79, v79, v80
	s_cbranch_execz .LBB97_180
	s_branch .LBB97_181
.LBB97_179:
                                        ; implicit-def: $vgpr79
.LBB97_180:
	ds_read_b32 v79, v70
.LBB97_181:
	s_and_saveexec_b64 s[12:13], s[6:7]
	s_cbranch_execz .LBB97_185
; %bb.182:
	v_mov_b32_e32 v80, 0
	v_add_u32_e32 v80, 60, v80
	v_add_u32_e32 v81, -15, v0
	s_movk_i32 s14, 0xcc
	s_mov_b64 s[6:7], 0
.LBB97_183:                             ; =>This Inner Loop Header: Depth=1
	buffer_load_dword v82, v80, s[0:3], 0 offen
	v_mov_b32_e32 v83, s14
	ds_read_b32 v83, v83
	v_add_u32_e32 v81, -1, v81
	s_add_i32 s14, s14, 4
	v_cmp_eq_u32_e32 vcc, 0, v81
	v_add_u32_e32 v80, 4, v80
	s_or_b64 s[6:7], vcc, s[6:7]
	s_waitcnt vmcnt(0) lgkmcnt(0)
	v_fmac_f32_e32 v79, v82, v83
	s_andn2_b64 exec, exec, s[6:7]
	s_cbranch_execnz .LBB97_183
; %bb.184:
	s_or_b64 exec, exec, s[6:7]
.LBB97_185:
	s_or_b64 exec, exec, s[12:13]
	v_mov_b32_e32 v80, 0
	ds_read_b32 v80, v80 offset:56
	s_waitcnt lgkmcnt(0)
	v_mul_f32_e32 v79, v79, v80
	buffer_store_dword v79, off, s[0:3], 0 offset:56
.LBB97_186:
	s_or_b64 exec, exec, s[10:11]
	buffer_load_dword v79, off, s[0:3], 0 offset:52
	v_cmp_lt_u32_e64 s[6:7], 13, v0
	s_waitcnt vmcnt(0)
	ds_write_b32 v70, v79
	s_waitcnt lgkmcnt(0)
	; wave barrier
	s_waitcnt lgkmcnt(0)
	s_and_saveexec_b64 s[10:11], s[6:7]
	s_cbranch_execz .LBB97_196
; %bb.187:
	s_andn2_b64 vcc, exec, s[8:9]
	s_cbranch_vccnz .LBB97_189
; %bb.188:
	buffer_load_dword v79, v71, s[0:3], 0 offen
	ds_read_b32 v80, v70
	s_waitcnt vmcnt(0) lgkmcnt(0)
	v_mul_f32_e32 v79, v79, v80
	s_cbranch_execz .LBB97_190
	s_branch .LBB97_191
.LBB97_189:
                                        ; implicit-def: $vgpr79
.LBB97_190:
	ds_read_b32 v79, v70
.LBB97_191:
	s_and_saveexec_b64 s[12:13], s[4:5]
	s_cbranch_execz .LBB97_195
; %bb.192:
	v_add_u32_e32 v80, -14, v0
	s_movk_i32 s14, 0xc8
	s_mov_b64 s[4:5], 0
.LBB97_193:                             ; =>This Inner Loop Header: Depth=1
	buffer_load_dword v81, v78, s[0:3], 0 offen
	v_mov_b32_e32 v82, s14
	ds_read_b32 v82, v82
	v_add_u32_e32 v80, -1, v80
	s_add_i32 s14, s14, 4
	v_cmp_eq_u32_e32 vcc, 0, v80
	v_add_u32_e32 v78, 4, v78
	s_or_b64 s[4:5], vcc, s[4:5]
	s_waitcnt vmcnt(0) lgkmcnt(0)
	v_fmac_f32_e32 v79, v81, v82
	s_andn2_b64 exec, exec, s[4:5]
	s_cbranch_execnz .LBB97_193
; %bb.194:
	s_or_b64 exec, exec, s[4:5]
.LBB97_195:
	s_or_b64 exec, exec, s[12:13]
	v_mov_b32_e32 v78, 0
	ds_read_b32 v78, v78 offset:52
	s_waitcnt lgkmcnt(0)
	v_mul_f32_e32 v78, v79, v78
	buffer_store_dword v78, off, s[0:3], 0 offset:52
.LBB97_196:
	s_or_b64 exec, exec, s[10:11]
	buffer_load_dword v78, off, s[0:3], 0 offset:48
	v_cmp_lt_u32_e64 s[4:5], 12, v0
	s_waitcnt vmcnt(0)
	ds_write_b32 v70, v78
	s_waitcnt lgkmcnt(0)
	; wave barrier
	s_waitcnt lgkmcnt(0)
	s_and_saveexec_b64 s[10:11], s[4:5]
	s_cbranch_execz .LBB97_206
; %bb.197:
	s_andn2_b64 vcc, exec, s[8:9]
	s_cbranch_vccnz .LBB97_199
; %bb.198:
	buffer_load_dword v78, v71, s[0:3], 0 offen
	ds_read_b32 v79, v70
	s_waitcnt vmcnt(0) lgkmcnt(0)
	v_mul_f32_e32 v78, v78, v79
	s_cbranch_execz .LBB97_200
	s_branch .LBB97_201
.LBB97_199:
                                        ; implicit-def: $vgpr78
.LBB97_200:
	ds_read_b32 v78, v70
.LBB97_201:
	s_and_saveexec_b64 s[12:13], s[6:7]
	s_cbranch_execz .LBB97_205
; %bb.202:
	v_mov_b32_e32 v79, 0
	v_add_u32_e32 v79, 52, v79
	v_add_u32_e32 v80, -13, v0
	s_movk_i32 s14, 0xc4
	s_mov_b64 s[6:7], 0
.LBB97_203:                             ; =>This Inner Loop Header: Depth=1
	buffer_load_dword v81, v79, s[0:3], 0 offen
	v_mov_b32_e32 v82, s14
	ds_read_b32 v82, v82
	v_add_u32_e32 v80, -1, v80
	s_add_i32 s14, s14, 4
	v_cmp_eq_u32_e32 vcc, 0, v80
	v_add_u32_e32 v79, 4, v79
	s_or_b64 s[6:7], vcc, s[6:7]
	s_waitcnt vmcnt(0) lgkmcnt(0)
	v_fmac_f32_e32 v78, v81, v82
	s_andn2_b64 exec, exec, s[6:7]
	s_cbranch_execnz .LBB97_203
; %bb.204:
	s_or_b64 exec, exec, s[6:7]
.LBB97_205:
	s_or_b64 exec, exec, s[12:13]
	v_mov_b32_e32 v79, 0
	ds_read_b32 v79, v79 offset:48
	s_waitcnt lgkmcnt(0)
	v_mul_f32_e32 v78, v78, v79
	buffer_store_dword v78, off, s[0:3], 0 offset:48
.LBB97_206:
	s_or_b64 exec, exec, s[10:11]
	buffer_load_dword v78, off, s[0:3], 0 offset:44
	v_cmp_lt_u32_e64 s[6:7], 11, v0
	s_waitcnt vmcnt(0)
	ds_write_b32 v70, v78
	s_waitcnt lgkmcnt(0)
	; wave barrier
	s_waitcnt lgkmcnt(0)
	s_and_saveexec_b64 s[10:11], s[6:7]
	s_cbranch_execz .LBB97_216
; %bb.207:
	s_andn2_b64 vcc, exec, s[8:9]
	s_cbranch_vccnz .LBB97_209
; %bb.208:
	buffer_load_dword v78, v71, s[0:3], 0 offen
	ds_read_b32 v79, v70
	s_waitcnt vmcnt(0) lgkmcnt(0)
	v_mul_f32_e32 v78, v78, v79
	s_cbranch_execz .LBB97_210
	s_branch .LBB97_211
.LBB97_209:
                                        ; implicit-def: $vgpr78
.LBB97_210:
	ds_read_b32 v78, v70
.LBB97_211:
	s_and_saveexec_b64 s[12:13], s[4:5]
	s_cbranch_execz .LBB97_215
; %bb.212:
	v_add_u32_e32 v79, -12, v0
	s_movk_i32 s14, 0xc0
	s_mov_b64 s[4:5], 0
.LBB97_213:                             ; =>This Inner Loop Header: Depth=1
	buffer_load_dword v80, v77, s[0:3], 0 offen
	v_mov_b32_e32 v81, s14
	ds_read_b32 v81, v81
	v_add_u32_e32 v79, -1, v79
	s_add_i32 s14, s14, 4
	v_cmp_eq_u32_e32 vcc, 0, v79
	v_add_u32_e32 v77, 4, v77
	s_or_b64 s[4:5], vcc, s[4:5]
	s_waitcnt vmcnt(0) lgkmcnt(0)
	v_fmac_f32_e32 v78, v80, v81
	s_andn2_b64 exec, exec, s[4:5]
	s_cbranch_execnz .LBB97_213
; %bb.214:
	s_or_b64 exec, exec, s[4:5]
.LBB97_215:
	s_or_b64 exec, exec, s[12:13]
	v_mov_b32_e32 v77, 0
	ds_read_b32 v77, v77 offset:44
	s_waitcnt lgkmcnt(0)
	v_mul_f32_e32 v77, v78, v77
	buffer_store_dword v77, off, s[0:3], 0 offset:44
.LBB97_216:
	s_or_b64 exec, exec, s[10:11]
	buffer_load_dword v77, off, s[0:3], 0 offset:40
	v_cmp_lt_u32_e64 s[4:5], 10, v0
	s_waitcnt vmcnt(0)
	ds_write_b32 v70, v77
	s_waitcnt lgkmcnt(0)
	; wave barrier
	s_waitcnt lgkmcnt(0)
	s_and_saveexec_b64 s[10:11], s[4:5]
	s_cbranch_execz .LBB97_226
; %bb.217:
	s_andn2_b64 vcc, exec, s[8:9]
	s_cbranch_vccnz .LBB97_219
; %bb.218:
	buffer_load_dword v77, v71, s[0:3], 0 offen
	ds_read_b32 v78, v70
	s_waitcnt vmcnt(0) lgkmcnt(0)
	v_mul_f32_e32 v77, v77, v78
	s_cbranch_execz .LBB97_220
	s_branch .LBB97_221
.LBB97_219:
                                        ; implicit-def: $vgpr77
.LBB97_220:
	ds_read_b32 v77, v70
.LBB97_221:
	s_and_saveexec_b64 s[12:13], s[6:7]
	s_cbranch_execz .LBB97_225
; %bb.222:
	v_mov_b32_e32 v78, 0
	v_add_u32_e32 v78, 44, v78
	v_add_u32_e32 v79, -11, v0
	s_movk_i32 s14, 0xbc
	s_mov_b64 s[6:7], 0
.LBB97_223:                             ; =>This Inner Loop Header: Depth=1
	buffer_load_dword v80, v78, s[0:3], 0 offen
	v_mov_b32_e32 v81, s14
	ds_read_b32 v81, v81
	v_add_u32_e32 v79, -1, v79
	s_add_i32 s14, s14, 4
	v_cmp_eq_u32_e32 vcc, 0, v79
	v_add_u32_e32 v78, 4, v78
	s_or_b64 s[6:7], vcc, s[6:7]
	s_waitcnt vmcnt(0) lgkmcnt(0)
	v_fmac_f32_e32 v77, v80, v81
	s_andn2_b64 exec, exec, s[6:7]
	s_cbranch_execnz .LBB97_223
; %bb.224:
	s_or_b64 exec, exec, s[6:7]
.LBB97_225:
	s_or_b64 exec, exec, s[12:13]
	v_mov_b32_e32 v78, 0
	ds_read_b32 v78, v78 offset:40
	s_waitcnt lgkmcnt(0)
	v_mul_f32_e32 v77, v77, v78
	buffer_store_dword v77, off, s[0:3], 0 offset:40
.LBB97_226:
	s_or_b64 exec, exec, s[10:11]
	buffer_load_dword v77, off, s[0:3], 0 offset:36
	v_cmp_lt_u32_e64 s[6:7], 9, v0
	s_waitcnt vmcnt(0)
	ds_write_b32 v70, v77
	s_waitcnt lgkmcnt(0)
	; wave barrier
	s_waitcnt lgkmcnt(0)
	s_and_saveexec_b64 s[10:11], s[6:7]
	s_cbranch_execz .LBB97_236
; %bb.227:
	s_andn2_b64 vcc, exec, s[8:9]
	s_cbranch_vccnz .LBB97_229
; %bb.228:
	buffer_load_dword v77, v71, s[0:3], 0 offen
	ds_read_b32 v78, v70
	s_waitcnt vmcnt(0) lgkmcnt(0)
	v_mul_f32_e32 v77, v77, v78
	s_cbranch_execz .LBB97_230
	s_branch .LBB97_231
.LBB97_229:
                                        ; implicit-def: $vgpr77
.LBB97_230:
	ds_read_b32 v77, v70
.LBB97_231:
	s_and_saveexec_b64 s[12:13], s[4:5]
	s_cbranch_execz .LBB97_235
; %bb.232:
	v_add_u32_e32 v78, -10, v0
	s_movk_i32 s14, 0xb8
	s_mov_b64 s[4:5], 0
.LBB97_233:                             ; =>This Inner Loop Header: Depth=1
	buffer_load_dword v79, v76, s[0:3], 0 offen
	v_mov_b32_e32 v80, s14
	ds_read_b32 v80, v80
	v_add_u32_e32 v78, -1, v78
	s_add_i32 s14, s14, 4
	v_cmp_eq_u32_e32 vcc, 0, v78
	v_add_u32_e32 v76, 4, v76
	s_or_b64 s[4:5], vcc, s[4:5]
	s_waitcnt vmcnt(0) lgkmcnt(0)
	v_fmac_f32_e32 v77, v79, v80
	s_andn2_b64 exec, exec, s[4:5]
	s_cbranch_execnz .LBB97_233
; %bb.234:
	s_or_b64 exec, exec, s[4:5]
.LBB97_235:
	s_or_b64 exec, exec, s[12:13]
	v_mov_b32_e32 v76, 0
	ds_read_b32 v76, v76 offset:36
	s_waitcnt lgkmcnt(0)
	v_mul_f32_e32 v76, v77, v76
	buffer_store_dword v76, off, s[0:3], 0 offset:36
.LBB97_236:
	s_or_b64 exec, exec, s[10:11]
	buffer_load_dword v76, off, s[0:3], 0 offset:32
	v_cmp_lt_u32_e64 s[4:5], 8, v0
	s_waitcnt vmcnt(0)
	ds_write_b32 v70, v76
	s_waitcnt lgkmcnt(0)
	; wave barrier
	s_waitcnt lgkmcnt(0)
	s_and_saveexec_b64 s[10:11], s[4:5]
	s_cbranch_execz .LBB97_246
; %bb.237:
	s_andn2_b64 vcc, exec, s[8:9]
	s_cbranch_vccnz .LBB97_239
; %bb.238:
	buffer_load_dword v76, v71, s[0:3], 0 offen
	ds_read_b32 v77, v70
	s_waitcnt vmcnt(0) lgkmcnt(0)
	v_mul_f32_e32 v76, v76, v77
	s_cbranch_execz .LBB97_240
	s_branch .LBB97_241
.LBB97_239:
                                        ; implicit-def: $vgpr76
.LBB97_240:
	ds_read_b32 v76, v70
.LBB97_241:
	s_and_saveexec_b64 s[12:13], s[6:7]
	s_cbranch_execz .LBB97_245
; %bb.242:
	v_mov_b32_e32 v77, 0
	v_add_u32_e32 v77, 36, v77
	v_add_u32_e32 v78, -9, v0
	s_movk_i32 s14, 0xb4
	s_mov_b64 s[6:7], 0
.LBB97_243:                             ; =>This Inner Loop Header: Depth=1
	buffer_load_dword v79, v77, s[0:3], 0 offen
	v_mov_b32_e32 v80, s14
	ds_read_b32 v80, v80
	v_add_u32_e32 v78, -1, v78
	s_add_i32 s14, s14, 4
	v_cmp_eq_u32_e32 vcc, 0, v78
	v_add_u32_e32 v77, 4, v77
	s_or_b64 s[6:7], vcc, s[6:7]
	s_waitcnt vmcnt(0) lgkmcnt(0)
	v_fmac_f32_e32 v76, v79, v80
	s_andn2_b64 exec, exec, s[6:7]
	s_cbranch_execnz .LBB97_243
; %bb.244:
	s_or_b64 exec, exec, s[6:7]
.LBB97_245:
	s_or_b64 exec, exec, s[12:13]
	v_mov_b32_e32 v77, 0
	ds_read_b32 v77, v77 offset:32
	s_waitcnt lgkmcnt(0)
	v_mul_f32_e32 v76, v76, v77
	buffer_store_dword v76, off, s[0:3], 0 offset:32
.LBB97_246:
	s_or_b64 exec, exec, s[10:11]
	buffer_load_dword v76, off, s[0:3], 0 offset:28
	v_cmp_lt_u32_e64 s[6:7], 7, v0
	s_waitcnt vmcnt(0)
	ds_write_b32 v70, v76
	s_waitcnt lgkmcnt(0)
	; wave barrier
	s_waitcnt lgkmcnt(0)
	s_and_saveexec_b64 s[10:11], s[6:7]
	s_cbranch_execz .LBB97_256
; %bb.247:
	s_andn2_b64 vcc, exec, s[8:9]
	s_cbranch_vccnz .LBB97_249
; %bb.248:
	buffer_load_dword v76, v71, s[0:3], 0 offen
	ds_read_b32 v77, v70
	s_waitcnt vmcnt(0) lgkmcnt(0)
	v_mul_f32_e32 v76, v76, v77
	s_cbranch_execz .LBB97_250
	s_branch .LBB97_251
.LBB97_249:
                                        ; implicit-def: $vgpr76
.LBB97_250:
	ds_read_b32 v76, v70
.LBB97_251:
	s_and_saveexec_b64 s[12:13], s[4:5]
	s_cbranch_execz .LBB97_255
; %bb.252:
	v_add_u32_e32 v77, -8, v0
	s_movk_i32 s14, 0xb0
	s_mov_b64 s[4:5], 0
.LBB97_253:                             ; =>This Inner Loop Header: Depth=1
	buffer_load_dword v78, v75, s[0:3], 0 offen
	v_mov_b32_e32 v79, s14
	ds_read_b32 v79, v79
	v_add_u32_e32 v77, -1, v77
	s_add_i32 s14, s14, 4
	v_cmp_eq_u32_e32 vcc, 0, v77
	v_add_u32_e32 v75, 4, v75
	s_or_b64 s[4:5], vcc, s[4:5]
	s_waitcnt vmcnt(0) lgkmcnt(0)
	v_fmac_f32_e32 v76, v78, v79
	s_andn2_b64 exec, exec, s[4:5]
	s_cbranch_execnz .LBB97_253
; %bb.254:
	s_or_b64 exec, exec, s[4:5]
.LBB97_255:
	s_or_b64 exec, exec, s[12:13]
	v_mov_b32_e32 v75, 0
	ds_read_b32 v75, v75 offset:28
	s_waitcnt lgkmcnt(0)
	v_mul_f32_e32 v75, v76, v75
	buffer_store_dword v75, off, s[0:3], 0 offset:28
.LBB97_256:
	s_or_b64 exec, exec, s[10:11]
	buffer_load_dword v75, off, s[0:3], 0 offset:24
	v_cmp_lt_u32_e64 s[4:5], 6, v0
	s_waitcnt vmcnt(0)
	ds_write_b32 v70, v75
	s_waitcnt lgkmcnt(0)
	; wave barrier
	s_waitcnt lgkmcnt(0)
	s_and_saveexec_b64 s[10:11], s[4:5]
	s_cbranch_execz .LBB97_266
; %bb.257:
	s_andn2_b64 vcc, exec, s[8:9]
	s_cbranch_vccnz .LBB97_259
; %bb.258:
	buffer_load_dword v75, v71, s[0:3], 0 offen
	ds_read_b32 v76, v70
	s_waitcnt vmcnt(0) lgkmcnt(0)
	v_mul_f32_e32 v75, v75, v76
	s_cbranch_execz .LBB97_260
	s_branch .LBB97_261
.LBB97_259:
                                        ; implicit-def: $vgpr75
.LBB97_260:
	ds_read_b32 v75, v70
.LBB97_261:
	s_and_saveexec_b64 s[12:13], s[6:7]
	s_cbranch_execz .LBB97_265
; %bb.262:
	v_mov_b32_e32 v76, 0
	v_add_u32_e32 v76, 28, v76
	v_add_u32_e32 v77, -7, v0
	s_movk_i32 s14, 0xac
	s_mov_b64 s[6:7], 0
.LBB97_263:                             ; =>This Inner Loop Header: Depth=1
	buffer_load_dword v78, v76, s[0:3], 0 offen
	v_mov_b32_e32 v79, s14
	ds_read_b32 v79, v79
	v_add_u32_e32 v77, -1, v77
	s_add_i32 s14, s14, 4
	v_cmp_eq_u32_e32 vcc, 0, v77
	v_add_u32_e32 v76, 4, v76
	s_or_b64 s[6:7], vcc, s[6:7]
	s_waitcnt vmcnt(0) lgkmcnt(0)
	v_fmac_f32_e32 v75, v78, v79
	s_andn2_b64 exec, exec, s[6:7]
	s_cbranch_execnz .LBB97_263
; %bb.264:
	s_or_b64 exec, exec, s[6:7]
.LBB97_265:
	s_or_b64 exec, exec, s[12:13]
	v_mov_b32_e32 v76, 0
	ds_read_b32 v76, v76 offset:24
	s_waitcnt lgkmcnt(0)
	v_mul_f32_e32 v75, v75, v76
	buffer_store_dword v75, off, s[0:3], 0 offset:24
.LBB97_266:
	s_or_b64 exec, exec, s[10:11]
	buffer_load_dword v75, off, s[0:3], 0 offset:20
	v_cmp_lt_u32_e64 s[6:7], 5, v0
	s_waitcnt vmcnt(0)
	ds_write_b32 v70, v75
	s_waitcnt lgkmcnt(0)
	; wave barrier
	s_waitcnt lgkmcnt(0)
	s_and_saveexec_b64 s[10:11], s[6:7]
	s_cbranch_execz .LBB97_276
; %bb.267:
	s_andn2_b64 vcc, exec, s[8:9]
	s_cbranch_vccnz .LBB97_269
; %bb.268:
	buffer_load_dword v75, v71, s[0:3], 0 offen
	ds_read_b32 v76, v70
	s_waitcnt vmcnt(0) lgkmcnt(0)
	v_mul_f32_e32 v75, v75, v76
	s_cbranch_execz .LBB97_270
	s_branch .LBB97_271
.LBB97_269:
                                        ; implicit-def: $vgpr75
.LBB97_270:
	ds_read_b32 v75, v70
.LBB97_271:
	s_and_saveexec_b64 s[12:13], s[4:5]
	s_cbranch_execz .LBB97_275
; %bb.272:
	v_add_u32_e32 v76, -6, v0
	s_movk_i32 s14, 0xa8
	s_mov_b64 s[4:5], 0
.LBB97_273:                             ; =>This Inner Loop Header: Depth=1
	buffer_load_dword v77, v74, s[0:3], 0 offen
	v_mov_b32_e32 v78, s14
	ds_read_b32 v78, v78
	v_add_u32_e32 v76, -1, v76
	s_add_i32 s14, s14, 4
	v_cmp_eq_u32_e32 vcc, 0, v76
	v_add_u32_e32 v74, 4, v74
	s_or_b64 s[4:5], vcc, s[4:5]
	s_waitcnt vmcnt(0) lgkmcnt(0)
	v_fmac_f32_e32 v75, v77, v78
	s_andn2_b64 exec, exec, s[4:5]
	s_cbranch_execnz .LBB97_273
; %bb.274:
	s_or_b64 exec, exec, s[4:5]
.LBB97_275:
	s_or_b64 exec, exec, s[12:13]
	v_mov_b32_e32 v74, 0
	ds_read_b32 v74, v74 offset:20
	s_waitcnt lgkmcnt(0)
	v_mul_f32_e32 v74, v75, v74
	buffer_store_dword v74, off, s[0:3], 0 offset:20
.LBB97_276:
	s_or_b64 exec, exec, s[10:11]
	buffer_load_dword v74, off, s[0:3], 0 offset:16
	v_cmp_lt_u32_e64 s[4:5], 4, v0
	s_waitcnt vmcnt(0)
	ds_write_b32 v70, v74
	s_waitcnt lgkmcnt(0)
	; wave barrier
	s_waitcnt lgkmcnt(0)
	s_and_saveexec_b64 s[10:11], s[4:5]
	s_cbranch_execz .LBB97_286
; %bb.277:
	s_andn2_b64 vcc, exec, s[8:9]
	s_cbranch_vccnz .LBB97_279
; %bb.278:
	buffer_load_dword v74, v71, s[0:3], 0 offen
	ds_read_b32 v75, v70
	s_waitcnt vmcnt(0) lgkmcnt(0)
	v_mul_f32_e32 v74, v74, v75
	s_cbranch_execz .LBB97_280
	s_branch .LBB97_281
.LBB97_279:
                                        ; implicit-def: $vgpr74
.LBB97_280:
	ds_read_b32 v74, v70
.LBB97_281:
	s_and_saveexec_b64 s[12:13], s[6:7]
	s_cbranch_execz .LBB97_285
; %bb.282:
	v_mov_b32_e32 v75, 0
	v_add_u32_e32 v75, 20, v75
	v_add_u32_e32 v76, -5, v0
	s_movk_i32 s14, 0xa4
	s_mov_b64 s[6:7], 0
.LBB97_283:                             ; =>This Inner Loop Header: Depth=1
	buffer_load_dword v77, v75, s[0:3], 0 offen
	v_mov_b32_e32 v78, s14
	ds_read_b32 v78, v78
	v_add_u32_e32 v76, -1, v76
	s_add_i32 s14, s14, 4
	v_cmp_eq_u32_e32 vcc, 0, v76
	v_add_u32_e32 v75, 4, v75
	s_or_b64 s[6:7], vcc, s[6:7]
	s_waitcnt vmcnt(0) lgkmcnt(0)
	v_fmac_f32_e32 v74, v77, v78
	s_andn2_b64 exec, exec, s[6:7]
	s_cbranch_execnz .LBB97_283
; %bb.284:
	s_or_b64 exec, exec, s[6:7]
.LBB97_285:
	s_or_b64 exec, exec, s[12:13]
	v_mov_b32_e32 v75, 0
	ds_read_b32 v75, v75 offset:16
	s_waitcnt lgkmcnt(0)
	v_mul_f32_e32 v74, v74, v75
	buffer_store_dword v74, off, s[0:3], 0 offset:16
.LBB97_286:
	s_or_b64 exec, exec, s[10:11]
	buffer_load_dword v74, off, s[0:3], 0 offset:12
	v_cmp_lt_u32_e64 s[6:7], 3, v0
	s_waitcnt vmcnt(0)
	ds_write_b32 v70, v74
	s_waitcnt lgkmcnt(0)
	; wave barrier
	s_waitcnt lgkmcnt(0)
	s_and_saveexec_b64 s[10:11], s[6:7]
	s_cbranch_execz .LBB97_296
; %bb.287:
	s_andn2_b64 vcc, exec, s[8:9]
	s_cbranch_vccnz .LBB97_289
; %bb.288:
	buffer_load_dword v74, v71, s[0:3], 0 offen
	ds_read_b32 v75, v70
	s_waitcnt vmcnt(0) lgkmcnt(0)
	v_mul_f32_e32 v74, v74, v75
	s_cbranch_execz .LBB97_290
	s_branch .LBB97_291
.LBB97_289:
                                        ; implicit-def: $vgpr74
.LBB97_290:
	ds_read_b32 v74, v70
.LBB97_291:
	s_and_saveexec_b64 s[12:13], s[4:5]
	s_cbranch_execz .LBB97_295
; %bb.292:
	v_add_u32_e32 v75, -4, v0
	s_movk_i32 s14, 0xa0
	s_mov_b64 s[4:5], 0
.LBB97_293:                             ; =>This Inner Loop Header: Depth=1
	buffer_load_dword v76, v73, s[0:3], 0 offen
	v_mov_b32_e32 v77, s14
	ds_read_b32 v77, v77
	v_add_u32_e32 v75, -1, v75
	s_add_i32 s14, s14, 4
	v_cmp_eq_u32_e32 vcc, 0, v75
	v_add_u32_e32 v73, 4, v73
	s_or_b64 s[4:5], vcc, s[4:5]
	s_waitcnt vmcnt(0) lgkmcnt(0)
	v_fmac_f32_e32 v74, v76, v77
	s_andn2_b64 exec, exec, s[4:5]
	s_cbranch_execnz .LBB97_293
; %bb.294:
	s_or_b64 exec, exec, s[4:5]
.LBB97_295:
	s_or_b64 exec, exec, s[12:13]
	v_mov_b32_e32 v73, 0
	ds_read_b32 v73, v73 offset:12
	s_waitcnt lgkmcnt(0)
	v_mul_f32_e32 v73, v74, v73
	buffer_store_dword v73, off, s[0:3], 0 offset:12
.LBB97_296:
	s_or_b64 exec, exec, s[10:11]
	buffer_load_dword v73, off, s[0:3], 0 offset:8
	v_cmp_lt_u32_e64 s[4:5], 2, v0
	s_waitcnt vmcnt(0)
	ds_write_b32 v70, v73
	s_waitcnt lgkmcnt(0)
	; wave barrier
	s_waitcnt lgkmcnt(0)
	s_and_saveexec_b64 s[10:11], s[4:5]
	s_cbranch_execz .LBB97_306
; %bb.297:
	s_andn2_b64 vcc, exec, s[8:9]
	s_cbranch_vccnz .LBB97_299
; %bb.298:
	buffer_load_dword v73, v71, s[0:3], 0 offen
	ds_read_b32 v74, v70
	s_waitcnt vmcnt(0) lgkmcnt(0)
	v_mul_f32_e32 v73, v73, v74
	s_cbranch_execz .LBB97_300
	s_branch .LBB97_301
.LBB97_299:
                                        ; implicit-def: $vgpr73
.LBB97_300:
	ds_read_b32 v73, v70
.LBB97_301:
	s_and_saveexec_b64 s[12:13], s[6:7]
	s_cbranch_execz .LBB97_305
; %bb.302:
	v_mov_b32_e32 v74, 0
	v_or_b32_e32 v74, 12, v74
	v_add_u32_e32 v75, -3, v0
	s_movk_i32 s14, 0x9c
	s_mov_b64 s[6:7], 0
.LBB97_303:                             ; =>This Inner Loop Header: Depth=1
	buffer_load_dword v76, v74, s[0:3], 0 offen
	v_mov_b32_e32 v77, s14
	ds_read_b32 v77, v77
	v_add_u32_e32 v75, -1, v75
	s_add_i32 s14, s14, 4
	v_cmp_eq_u32_e32 vcc, 0, v75
	v_add_u32_e32 v74, 4, v74
	s_or_b64 s[6:7], vcc, s[6:7]
	s_waitcnt vmcnt(0) lgkmcnt(0)
	v_fmac_f32_e32 v73, v76, v77
	s_andn2_b64 exec, exec, s[6:7]
	s_cbranch_execnz .LBB97_303
; %bb.304:
	s_or_b64 exec, exec, s[6:7]
.LBB97_305:
	s_or_b64 exec, exec, s[12:13]
	v_mov_b32_e32 v74, 0
	ds_read_b32 v74, v74 offset:8
	s_waitcnt lgkmcnt(0)
	v_mul_f32_e32 v73, v73, v74
	buffer_store_dword v73, off, s[0:3], 0 offset:8
.LBB97_306:
	s_or_b64 exec, exec, s[10:11]
	buffer_load_dword v73, off, s[0:3], 0 offset:4
	v_cmp_lt_u32_e64 s[6:7], 1, v0
	s_waitcnt vmcnt(0)
	ds_write_b32 v70, v73
	s_waitcnt lgkmcnt(0)
	; wave barrier
	s_waitcnt lgkmcnt(0)
	s_and_saveexec_b64 s[10:11], s[6:7]
	s_cbranch_execz .LBB97_316
; %bb.307:
	s_andn2_b64 vcc, exec, s[8:9]
	s_cbranch_vccnz .LBB97_309
; %bb.308:
	buffer_load_dword v73, v71, s[0:3], 0 offen
	ds_read_b32 v74, v70
	s_waitcnt vmcnt(0) lgkmcnt(0)
	v_mul_f32_e32 v73, v73, v74
	s_cbranch_execz .LBB97_310
	s_branch .LBB97_311
.LBB97_309:
                                        ; implicit-def: $vgpr73
.LBB97_310:
	ds_read_b32 v73, v70
.LBB97_311:
	s_and_saveexec_b64 s[12:13], s[4:5]
	s_cbranch_execz .LBB97_315
; %bb.312:
	v_add_u32_e32 v74, -2, v0
	s_movk_i32 s14, 0x98
	s_mov_b64 s[4:5], 0
.LBB97_313:                             ; =>This Inner Loop Header: Depth=1
	buffer_load_dword v75, v72, s[0:3], 0 offen
	v_mov_b32_e32 v76, s14
	ds_read_b32 v76, v76
	v_add_u32_e32 v74, -1, v74
	s_add_i32 s14, s14, 4
	v_cmp_eq_u32_e32 vcc, 0, v74
	v_add_u32_e32 v72, 4, v72
	s_or_b64 s[4:5], vcc, s[4:5]
	s_waitcnt vmcnt(0) lgkmcnt(0)
	v_fmac_f32_e32 v73, v75, v76
	s_andn2_b64 exec, exec, s[4:5]
	s_cbranch_execnz .LBB97_313
; %bb.314:
	s_or_b64 exec, exec, s[4:5]
.LBB97_315:
	s_or_b64 exec, exec, s[12:13]
	v_mov_b32_e32 v72, 0
	ds_read_b32 v72, v72 offset:4
	s_waitcnt lgkmcnt(0)
	v_mul_f32_e32 v72, v73, v72
	buffer_store_dword v72, off, s[0:3], 0 offset:4
.LBB97_316:
	s_or_b64 exec, exec, s[10:11]
	buffer_load_dword v72, off, s[0:3], 0
	v_cmp_ne_u32_e32 vcc, 0, v0
	s_waitcnt vmcnt(0)
	ds_write_b32 v70, v72
	s_waitcnt lgkmcnt(0)
	; wave barrier
	s_waitcnt lgkmcnt(0)
	s_and_saveexec_b64 s[4:5], vcc
	s_cbranch_execz .LBB97_326
; %bb.317:
	s_andn2_b64 vcc, exec, s[8:9]
	s_cbranch_vccnz .LBB97_319
; %bb.318:
	buffer_load_dword v72, v71, s[0:3], 0 offen
	ds_read_b32 v73, v70
	s_waitcnt vmcnt(0) lgkmcnt(0)
	v_mul_f32_e32 v72, v72, v73
	s_cbranch_execz .LBB97_320
	s_branch .LBB97_321
.LBB97_319:
                                        ; implicit-def: $vgpr72
.LBB97_320:
	ds_read_b32 v72, v70
.LBB97_321:
	s_and_saveexec_b64 s[10:11], s[6:7]
	s_cbranch_execz .LBB97_325
; %bb.322:
	v_mov_b32_e32 v73, 0
	v_or_b32_e32 v73, 4, v73
	v_add_u32_e32 v74, -1, v0
	s_movk_i32 s12, 0x94
	s_mov_b64 s[6:7], 0
.LBB97_323:                             ; =>This Inner Loop Header: Depth=1
	buffer_load_dword v75, v73, s[0:3], 0 offen
	v_mov_b32_e32 v76, s12
	ds_read_b32 v76, v76
	v_add_u32_e32 v74, -1, v74
	s_add_i32 s12, s12, 4
	v_cmp_eq_u32_e32 vcc, 0, v74
	v_add_u32_e32 v73, 4, v73
	s_or_b64 s[6:7], vcc, s[6:7]
	s_waitcnt vmcnt(0) lgkmcnt(0)
	v_fmac_f32_e32 v72, v75, v76
	s_andn2_b64 exec, exec, s[6:7]
	s_cbranch_execnz .LBB97_323
; %bb.324:
	s_or_b64 exec, exec, s[6:7]
.LBB97_325:
	s_or_b64 exec, exec, s[10:11]
	v_mov_b32_e32 v73, 0
	ds_read_b32 v73, v73
	s_waitcnt lgkmcnt(0)
	v_mul_f32_e32 v72, v72, v73
	buffer_store_dword v72, off, s[0:3], 0
.LBB97_326:
	s_or_b64 exec, exec, s[4:5]
	s_mov_b64 s[4:5], 0
.LBB97_327:
	s_and_b64 vcc, exec, s[4:5]
	s_cbranch_vccz .LBB97_651
; %bb.328:
	buffer_load_dword v72, off, s[0:3], 0 offset:4
	v_cmp_eq_u32_e64 s[6:7], 0, v0
	s_waitcnt vmcnt(0)
	ds_write_b32 v70, v72
	s_waitcnt lgkmcnt(0)
	; wave barrier
	s_waitcnt lgkmcnt(0)
	s_and_saveexec_b64 s[4:5], s[6:7]
	s_cbranch_execz .LBB97_334
; %bb.329:
	s_and_b64 vcc, exec, s[8:9]
	s_cbranch_vccz .LBB97_331
; %bb.330:
	buffer_load_dword v72, v71, s[0:3], 0 offen
	ds_read_b32 v73, v70
	s_waitcnt vmcnt(0) lgkmcnt(0)
	v_mul_f32_e32 v72, v72, v73
	s_cbranch_execz .LBB97_332
	s_branch .LBB97_333
.LBB97_331:
                                        ; implicit-def: $vgpr72
.LBB97_332:
	ds_read_b32 v72, v70
.LBB97_333:
	v_mov_b32_e32 v73, 0
	ds_read_b32 v73, v73 offset:4
	s_waitcnt lgkmcnt(0)
	v_mul_f32_e32 v72, v72, v73
	buffer_store_dword v72, off, s[0:3], 0 offset:4
.LBB97_334:
	s_or_b64 exec, exec, s[4:5]
	buffer_load_dword v72, off, s[0:3], 0 offset:8
	v_cndmask_b32_e64 v73, 0, 1, s[8:9]
	v_cmp_gt_u32_e32 vcc, 2, v0
	v_cmp_ne_u32_e64 s[4:5], 1, v73
	s_waitcnt vmcnt(0)
	ds_write_b32 v70, v72
	s_waitcnt lgkmcnt(0)
	; wave barrier
	s_waitcnt lgkmcnt(0)
	s_and_saveexec_b64 s[8:9], vcc
	s_cbranch_execz .LBB97_342
; %bb.335:
	s_and_b64 vcc, exec, s[4:5]
	s_cbranch_vccnz .LBB97_337
; %bb.336:
	buffer_load_dword v72, v71, s[0:3], 0 offen
	ds_read_b32 v73, v70
	s_waitcnt vmcnt(0) lgkmcnt(0)
	v_mul_f32_e32 v72, v72, v73
	s_cbranch_execz .LBB97_338
	s_branch .LBB97_339
.LBB97_337:
                                        ; implicit-def: $vgpr72
.LBB97_338:
	ds_read_b32 v72, v70
.LBB97_339:
	s_and_saveexec_b64 s[10:11], s[6:7]
	s_cbranch_execz .LBB97_341
; %bb.340:
	buffer_load_dword v73, v71, s[0:3], 0 offen offset:4
	ds_read_b32 v74, v70 offset:4
	s_waitcnt vmcnt(0) lgkmcnt(0)
	v_fmac_f32_e32 v72, v73, v74
.LBB97_341:
	s_or_b64 exec, exec, s[10:11]
	v_mov_b32_e32 v73, 0
	ds_read_b32 v73, v73 offset:8
	s_waitcnt lgkmcnt(0)
	v_mul_f32_e32 v72, v72, v73
	buffer_store_dword v72, off, s[0:3], 0 offset:8
.LBB97_342:
	s_or_b64 exec, exec, s[8:9]
	buffer_load_dword v72, off, s[0:3], 0 offset:12
	v_cmp_gt_u32_e32 vcc, 3, v0
	s_waitcnt vmcnt(0)
	ds_write_b32 v70, v72
	s_waitcnt lgkmcnt(0)
	; wave barrier
	s_waitcnt lgkmcnt(0)
	s_and_saveexec_b64 s[8:9], vcc
	s_cbranch_execz .LBB97_350
; %bb.343:
	s_and_b64 vcc, exec, s[4:5]
	s_cbranch_vccnz .LBB97_345
; %bb.344:
	buffer_load_dword v72, v71, s[0:3], 0 offen
	ds_read_b32 v73, v70
	s_waitcnt vmcnt(0) lgkmcnt(0)
	v_mul_f32_e32 v72, v72, v73
	s_cbranch_execz .LBB97_346
	s_branch .LBB97_347
.LBB97_345:
                                        ; implicit-def: $vgpr72
.LBB97_346:
	ds_read_b32 v72, v70
.LBB97_347:
	v_cmp_ne_u32_e32 vcc, 2, v0
	s_and_saveexec_b64 s[10:11], vcc
	s_cbranch_execz .LBB97_349
; %bb.348:
	buffer_load_dword v73, v71, s[0:3], 0 offen offset:4
	buffer_load_dword v74, off, s[0:3], 0 offset:8
	v_mov_b32_e32 v75, 0
	ds_read_b32 v76, v70 offset:4
	ds_read_b32 v75, v75 offset:152
	s_waitcnt vmcnt(1) lgkmcnt(1)
	v_fmac_f32_e32 v72, v73, v76
	s_waitcnt vmcnt(0) lgkmcnt(0)
	v_fma_f32 v73, v74, v75, v72
	v_cndmask_b32_e64 v72, v72, v73, s[6:7]
.LBB97_349:
	s_or_b64 exec, exec, s[10:11]
	v_mov_b32_e32 v73, 0
	ds_read_b32 v73, v73 offset:12
	s_waitcnt lgkmcnt(0)
	v_mul_f32_e32 v72, v72, v73
	buffer_store_dword v72, off, s[0:3], 0 offset:12
.LBB97_350:
	s_or_b64 exec, exec, s[8:9]
	buffer_load_dword v72, off, s[0:3], 0 offset:16
	v_cmp_gt_u32_e32 vcc, 4, v0
	s_waitcnt vmcnt(0)
	ds_write_b32 v70, v72
	s_waitcnt lgkmcnt(0)
	; wave barrier
	s_waitcnt lgkmcnt(0)
	s_and_saveexec_b64 s[6:7], vcc
	s_cbranch_execz .LBB97_360
; %bb.351:
	s_and_b64 vcc, exec, s[4:5]
	s_cbranch_vccnz .LBB97_353
; %bb.352:
	buffer_load_dword v72, v71, s[0:3], 0 offen
	ds_read_b32 v73, v70
	s_waitcnt vmcnt(0) lgkmcnt(0)
	v_mul_f32_e32 v72, v72, v73
	s_cbranch_execz .LBB97_354
	s_branch .LBB97_355
.LBB97_353:
                                        ; implicit-def: $vgpr72
.LBB97_354:
	ds_read_b32 v72, v70
.LBB97_355:
	v_cmp_ne_u32_e32 vcc, 3, v0
	s_and_saveexec_b64 s[8:9], vcc
	s_cbranch_execz .LBB97_359
; %bb.356:
	v_mov_b32_e32 v74, 0
	v_add_u32_e32 v73, 0x94, v1
	v_add3_u32 v74, v1, v74, 4
	s_mov_b64 s[10:11], 0
	v_mov_b32_e32 v75, v0
.LBB97_357:                             ; =>This Inner Loop Header: Depth=1
	buffer_load_dword v76, v74, s[0:3], 0 offen
	ds_read_b32 v77, v73
	v_add_u32_e32 v75, 1, v75
	v_cmp_lt_u32_e32 vcc, 2, v75
	v_add_u32_e32 v73, 4, v73
	v_add_u32_e32 v74, 4, v74
	s_or_b64 s[10:11], vcc, s[10:11]
	s_waitcnt vmcnt(0) lgkmcnt(0)
	v_fmac_f32_e32 v72, v76, v77
	s_andn2_b64 exec, exec, s[10:11]
	s_cbranch_execnz .LBB97_357
; %bb.358:
	s_or_b64 exec, exec, s[10:11]
.LBB97_359:
	s_or_b64 exec, exec, s[8:9]
	v_mov_b32_e32 v73, 0
	ds_read_b32 v73, v73 offset:16
	s_waitcnt lgkmcnt(0)
	v_mul_f32_e32 v72, v72, v73
	buffer_store_dword v72, off, s[0:3], 0 offset:16
.LBB97_360:
	s_or_b64 exec, exec, s[6:7]
	buffer_load_dword v72, off, s[0:3], 0 offset:20
	v_cmp_gt_u32_e32 vcc, 5, v0
	s_waitcnt vmcnt(0)
	ds_write_b32 v70, v72
	s_waitcnt lgkmcnt(0)
	; wave barrier
	s_waitcnt lgkmcnt(0)
	s_and_saveexec_b64 s[6:7], vcc
	s_cbranch_execz .LBB97_370
; %bb.361:
	s_and_b64 vcc, exec, s[4:5]
	s_cbranch_vccnz .LBB97_363
; %bb.362:
	buffer_load_dword v72, v71, s[0:3], 0 offen
	ds_read_b32 v73, v70
	s_waitcnt vmcnt(0) lgkmcnt(0)
	v_mul_f32_e32 v72, v72, v73
	s_cbranch_execz .LBB97_364
	s_branch .LBB97_365
.LBB97_363:
                                        ; implicit-def: $vgpr72
.LBB97_364:
	ds_read_b32 v72, v70
.LBB97_365:
	v_cmp_ne_u32_e32 vcc, 4, v0
	s_and_saveexec_b64 s[8:9], vcc
	s_cbranch_execz .LBB97_369
; %bb.366:
	v_mov_b32_e32 v74, 0
	v_add_u32_e32 v73, 0x94, v1
	v_add3_u32 v74, v1, v74, 4
	s_mov_b64 s[10:11], 0
	v_mov_b32_e32 v75, v0
.LBB97_367:                             ; =>This Inner Loop Header: Depth=1
	buffer_load_dword v76, v74, s[0:3], 0 offen
	ds_read_b32 v77, v73
	v_add_u32_e32 v75, 1, v75
	v_cmp_lt_u32_e32 vcc, 3, v75
	v_add_u32_e32 v73, 4, v73
	v_add_u32_e32 v74, 4, v74
	s_or_b64 s[10:11], vcc, s[10:11]
	s_waitcnt vmcnt(0) lgkmcnt(0)
	v_fmac_f32_e32 v72, v76, v77
	s_andn2_b64 exec, exec, s[10:11]
	s_cbranch_execnz .LBB97_367
; %bb.368:
	s_or_b64 exec, exec, s[10:11]
.LBB97_369:
	s_or_b64 exec, exec, s[8:9]
	v_mov_b32_e32 v73, 0
	ds_read_b32 v73, v73 offset:20
	s_waitcnt lgkmcnt(0)
	v_mul_f32_e32 v72, v72, v73
	buffer_store_dword v72, off, s[0:3], 0 offset:20
.LBB97_370:
	;; [unrolled: 56-line block ×28, first 2 shown]
	s_or_b64 exec, exec, s[6:7]
	buffer_load_dword v72, off, s[0:3], 0 offset:128
	v_cmp_gt_u32_e64 s[6:7], 32, v0
	s_waitcnt vmcnt(0)
	ds_write_b32 v70, v72
	s_waitcnt lgkmcnt(0)
	; wave barrier
	s_waitcnt lgkmcnt(0)
	s_and_saveexec_b64 s[8:9], s[6:7]
	s_cbranch_execz .LBB97_640
; %bb.631:
	s_and_b64 vcc, exec, s[4:5]
	s_cbranch_vccnz .LBB97_633
; %bb.632:
	buffer_load_dword v72, v71, s[0:3], 0 offen
	ds_read_b32 v73, v70
	s_waitcnt vmcnt(0) lgkmcnt(0)
	v_mul_f32_e32 v72, v72, v73
	s_cbranch_execz .LBB97_634
	s_branch .LBB97_635
.LBB97_633:
                                        ; implicit-def: $vgpr72
.LBB97_634:
	ds_read_b32 v72, v70
.LBB97_635:
	v_cmp_ne_u32_e32 vcc, 31, v0
	s_and_saveexec_b64 s[10:11], vcc
	s_cbranch_execz .LBB97_639
; %bb.636:
	v_mov_b32_e32 v74, 0
	v_add_u32_e32 v73, 0x94, v1
	v_add3_u32 v74, v1, v74, 4
	s_mov_b64 s[12:13], 0
	v_mov_b32_e32 v75, v0
.LBB97_637:                             ; =>This Inner Loop Header: Depth=1
	buffer_load_dword v76, v74, s[0:3], 0 offen
	ds_read_b32 v77, v73
	v_add_u32_e32 v75, 1, v75
	v_cmp_lt_u32_e32 vcc, 30, v75
	v_add_u32_e32 v73, 4, v73
	v_add_u32_e32 v74, 4, v74
	s_or_b64 s[12:13], vcc, s[12:13]
	s_waitcnt vmcnt(0) lgkmcnt(0)
	v_fmac_f32_e32 v72, v76, v77
	s_andn2_b64 exec, exec, s[12:13]
	s_cbranch_execnz .LBB97_637
; %bb.638:
	s_or_b64 exec, exec, s[12:13]
.LBB97_639:
	s_or_b64 exec, exec, s[10:11]
	v_mov_b32_e32 v73, 0
	ds_read_b32 v73, v73 offset:128
	s_waitcnt lgkmcnt(0)
	v_mul_f32_e32 v72, v72, v73
	buffer_store_dword v72, off, s[0:3], 0 offset:128
.LBB97_640:
	s_or_b64 exec, exec, s[8:9]
	buffer_load_dword v72, off, s[0:3], 0 offset:132
	v_cmp_ne_u32_e32 vcc, 33, v0
	s_waitcnt vmcnt(0)
	ds_write_b32 v70, v72
	s_waitcnt lgkmcnt(0)
	; wave barrier
	s_waitcnt lgkmcnt(0)
	s_and_saveexec_b64 s[8:9], vcc
	s_cbranch_execz .LBB97_650
; %bb.641:
	s_and_b64 vcc, exec, s[4:5]
	s_cbranch_vccnz .LBB97_643
; %bb.642:
	buffer_load_dword v71, v71, s[0:3], 0 offen
	ds_read_b32 v72, v70
	s_waitcnt vmcnt(0) lgkmcnt(0)
	v_mul_f32_e32 v71, v71, v72
	s_cbranch_execz .LBB97_644
	s_branch .LBB97_645
.LBB97_643:
                                        ; implicit-def: $vgpr71
.LBB97_644:
	ds_read_b32 v71, v70
.LBB97_645:
	s_and_saveexec_b64 s[4:5], s[6:7]
	s_cbranch_execz .LBB97_649
; %bb.646:
	v_mov_b32_e32 v72, 0
	v_add_u32_e32 v70, 0x94, v1
	v_add3_u32 v1, v1, v72, 4
	s_mov_b64 s[6:7], 0
.LBB97_647:                             ; =>This Inner Loop Header: Depth=1
	buffer_load_dword v72, v1, s[0:3], 0 offen
	ds_read_b32 v73, v70
	v_add_u32_e32 v0, 1, v0
	v_cmp_lt_u32_e32 vcc, 31, v0
	v_add_u32_e32 v70, 4, v70
	v_add_u32_e32 v1, 4, v1
	s_or_b64 s[6:7], vcc, s[6:7]
	s_waitcnt vmcnt(0) lgkmcnt(0)
	v_fmac_f32_e32 v71, v72, v73
	s_andn2_b64 exec, exec, s[6:7]
	s_cbranch_execnz .LBB97_647
; %bb.648:
	s_or_b64 exec, exec, s[6:7]
.LBB97_649:
	s_or_b64 exec, exec, s[4:5]
	v_mov_b32_e32 v0, 0
	ds_read_b32 v0, v0 offset:132
	s_waitcnt lgkmcnt(0)
	v_mul_f32_e32 v0, v71, v0
	buffer_store_dword v0, off, s[0:3], 0 offset:132
.LBB97_650:
	s_or_b64 exec, exec, s[8:9]
.LBB97_651:
	buffer_load_dword v0, off, s[0:3], 0
	buffer_load_dword v1, off, s[0:3], 0 offset:4
	buffer_load_dword v70, off, s[0:3], 0 offset:8
	;; [unrolled: 1-line block ×23, first 2 shown]
	s_waitcnt vmcnt(23)
	global_store_dword v[54:55], v0, off
	s_waitcnt vmcnt(23)
	global_store_dword v[58:59], v1, off
	;; [unrolled: 2-line block ×3, first 2 shown]
	buffer_load_dword v0, off, s[0:3], 0 offset:96
	buffer_load_dword v1, off, s[0:3], 0 offset:100
	s_nop 0
	buffer_load_dword v4, off, s[0:3], 0 offset:104
	buffer_load_dword v5, off, s[0:3], 0 offset:108
	;; [unrolled: 1-line block ×6, first 2 shown]
	s_waitcnt vmcnt(31)
	global_store_dword v[2:3], v71, off
	buffer_load_dword v2, off, s[0:3], 0 offset:128
	s_nop 0
	buffer_load_dword v3, off, s[0:3], 0 offset:132
	s_waitcnt vmcnt(33)
	global_store_dword v[6:7], v72, off
	s_waitcnt vmcnt(33)
	global_store_dword v[8:9], v73, off
	;; [unrolled: 2-line block ×30, first 2 shown]
.LBB97_652:
	s_endpgm
	.section	.rodata,"a",@progbits
	.p2align	6, 0x0
	.amdhsa_kernel _ZN9rocsolver6v33100L18trti2_kernel_smallILi34EfPKPfEEv13rocblas_fill_17rocblas_diagonal_T1_iil
		.amdhsa_group_segment_fixed_size 280
		.amdhsa_private_segment_fixed_size 144
		.amdhsa_kernarg_size 32
		.amdhsa_user_sgpr_count 8
		.amdhsa_user_sgpr_private_segment_buffer 1
		.amdhsa_user_sgpr_dispatch_ptr 0
		.amdhsa_user_sgpr_queue_ptr 0
		.amdhsa_user_sgpr_kernarg_segment_ptr 1
		.amdhsa_user_sgpr_dispatch_id 0
		.amdhsa_user_sgpr_flat_scratch_init 1
		.amdhsa_user_sgpr_kernarg_preload_length 0
		.amdhsa_user_sgpr_kernarg_preload_offset 0
		.amdhsa_user_sgpr_private_segment_size 0
		.amdhsa_uses_dynamic_stack 0
		.amdhsa_system_sgpr_private_segment_wavefront_offset 1
		.amdhsa_system_sgpr_workgroup_id_x 1
		.amdhsa_system_sgpr_workgroup_id_y 0
		.amdhsa_system_sgpr_workgroup_id_z 0
		.amdhsa_system_sgpr_workgroup_info 0
		.amdhsa_system_vgpr_workitem_id 0
		.amdhsa_next_free_vgpr 92
		.amdhsa_next_free_sgpr 16
		.amdhsa_accum_offset 92
		.amdhsa_reserve_vcc 1
		.amdhsa_reserve_flat_scratch 0
		.amdhsa_float_round_mode_32 0
		.amdhsa_float_round_mode_16_64 0
		.amdhsa_float_denorm_mode_32 3
		.amdhsa_float_denorm_mode_16_64 3
		.amdhsa_dx10_clamp 1
		.amdhsa_ieee_mode 1
		.amdhsa_fp16_overflow 0
		.amdhsa_tg_split 0
		.amdhsa_exception_fp_ieee_invalid_op 0
		.amdhsa_exception_fp_denorm_src 0
		.amdhsa_exception_fp_ieee_div_zero 0
		.amdhsa_exception_fp_ieee_overflow 0
		.amdhsa_exception_fp_ieee_underflow 0
		.amdhsa_exception_fp_ieee_inexact 0
		.amdhsa_exception_int_div_zero 0
	.end_amdhsa_kernel
	.section	.text._ZN9rocsolver6v33100L18trti2_kernel_smallILi34EfPKPfEEv13rocblas_fill_17rocblas_diagonal_T1_iil,"axG",@progbits,_ZN9rocsolver6v33100L18trti2_kernel_smallILi34EfPKPfEEv13rocblas_fill_17rocblas_diagonal_T1_iil,comdat
.Lfunc_end97:
	.size	_ZN9rocsolver6v33100L18trti2_kernel_smallILi34EfPKPfEEv13rocblas_fill_17rocblas_diagonal_T1_iil, .Lfunc_end97-_ZN9rocsolver6v33100L18trti2_kernel_smallILi34EfPKPfEEv13rocblas_fill_17rocblas_diagonal_T1_iil
                                        ; -- End function
	.section	.AMDGPU.csdata,"",@progbits
; Kernel info:
; codeLenInByte = 16492
; NumSgprs: 20
; NumVgprs: 92
; NumAgprs: 0
; TotalNumVgprs: 92
; ScratchSize: 144
; MemoryBound: 0
; FloatMode: 240
; IeeeMode: 1
; LDSByteSize: 280 bytes/workgroup (compile time only)
; SGPRBlocks: 2
; VGPRBlocks: 11
; NumSGPRsForWavesPerEU: 20
; NumVGPRsForWavesPerEU: 92
; AccumOffset: 92
; Occupancy: 5
; WaveLimiterHint : 1
; COMPUTE_PGM_RSRC2:SCRATCH_EN: 1
; COMPUTE_PGM_RSRC2:USER_SGPR: 8
; COMPUTE_PGM_RSRC2:TRAP_HANDLER: 0
; COMPUTE_PGM_RSRC2:TGID_X_EN: 1
; COMPUTE_PGM_RSRC2:TGID_Y_EN: 0
; COMPUTE_PGM_RSRC2:TGID_Z_EN: 0
; COMPUTE_PGM_RSRC2:TIDIG_COMP_CNT: 0
; COMPUTE_PGM_RSRC3_GFX90A:ACCUM_OFFSET: 22
; COMPUTE_PGM_RSRC3_GFX90A:TG_SPLIT: 0
	.section	.text._ZN9rocsolver6v33100L18trti2_kernel_smallILi35EfPKPfEEv13rocblas_fill_17rocblas_diagonal_T1_iil,"axG",@progbits,_ZN9rocsolver6v33100L18trti2_kernel_smallILi35EfPKPfEEv13rocblas_fill_17rocblas_diagonal_T1_iil,comdat
	.globl	_ZN9rocsolver6v33100L18trti2_kernel_smallILi35EfPKPfEEv13rocblas_fill_17rocblas_diagonal_T1_iil ; -- Begin function _ZN9rocsolver6v33100L18trti2_kernel_smallILi35EfPKPfEEv13rocblas_fill_17rocblas_diagonal_T1_iil
	.p2align	8
	.type	_ZN9rocsolver6v33100L18trti2_kernel_smallILi35EfPKPfEEv13rocblas_fill_17rocblas_diagonal_T1_iil,@function
_ZN9rocsolver6v33100L18trti2_kernel_smallILi35EfPKPfEEv13rocblas_fill_17rocblas_diagonal_T1_iil: ; @_ZN9rocsolver6v33100L18trti2_kernel_smallILi35EfPKPfEEv13rocblas_fill_17rocblas_diagonal_T1_iil
; %bb.0:
	s_add_u32 s0, s0, s9
	s_addc_u32 s1, s1, 0
	v_cmp_gt_u32_e32 vcc, 35, v0
	s_and_saveexec_b64 s[6:7], vcc
	s_cbranch_execz .LBB98_672
; %bb.1:
	s_load_dwordx2 s[6:7], s[4:5], 0x10
	s_load_dwordx4 s[12:15], s[4:5], 0x0
	s_ashr_i32 s9, s8, 31
	s_lshl_b64 s[4:5], s[8:9], 3
	s_waitcnt lgkmcnt(0)
	s_ashr_i32 s9, s6, 31
	s_add_u32 s4, s14, s4
	s_addc_u32 s5, s15, s5
	s_load_dwordx2 s[4:5], s[4:5], 0x0
	s_mov_b32 s8, s6
	s_lshl_b64 s[8:9], s[8:9], 2
	s_waitcnt lgkmcnt(0)
	s_add_u32 s4, s4, s8
	s_addc_u32 s5, s5, s9
	s_add_i32 s6, s7, s7
	v_add_u32_e32 v4, s6, v0
	v_ashrrev_i32_e32 v5, 31, v4
	v_lshlrev_b64 v[2:3], 2, v[4:5]
	v_add_u32_e32 v4, s7, v4
	v_mov_b32_e32 v1, s5
	v_add_co_u32_e32 v2, vcc, s4, v2
	v_ashrrev_i32_e32 v5, 31, v4
	v_addc_co_u32_e32 v3, vcc, v1, v3, vcc
	v_lshlrev_b64 v[6:7], 2, v[4:5]
	v_add_u32_e32 v8, s7, v4
	v_add_co_u32_e32 v6, vcc, s4, v6
	v_ashrrev_i32_e32 v9, 31, v8
	v_addc_co_u32_e32 v7, vcc, v1, v7, vcc
	v_lshlrev_b64 v[4:5], 2, v[8:9]
	v_add_u32_e32 v10, s7, v8
	;; [unrolled: 5-line block ×22, first 2 shown]
	v_add_co_u32_e32 v46, vcc, s4, v46
	v_ashrrev_i32_e32 v51, 31, v50
	v_addc_co_u32_e32 v47, vcc, v1, v47, vcc
	v_lshlrev_b64 v[48:49], 2, v[50:51]
	v_add_co_u32_e32 v48, vcc, s4, v48
	v_addc_co_u32_e32 v49, vcc, v1, v49, vcc
	v_lshlrev_b32_e32 v1, 2, v0
	v_add_u32_e32 v54, s7, v50
	v_mov_b32_e32 v50, s5
	v_add_co_u32_e32 v56, vcc, s4, v1
	s_ashr_i32 s9, s7, 31
	s_mov_b32 s8, s7
	v_addc_co_u32_e32 v57, vcc, 0, v50, vcc
	s_lshl_b64 s[8:9], s[8:9], 2
	v_mov_b32_e32 v51, s9
	v_add_co_u32_e32 v50, vcc, s8, v56
	v_addc_co_u32_e32 v51, vcc, v57, v51, vcc
	global_load_dword v72, v1, s[4:5]
	global_load_dword v73, v[50:51], off
	global_load_dword v74, v[2:3], off
	;; [unrolled: 1-line block ×16, first 2 shown]
	v_ashrrev_i32_e32 v55, 31, v54
	v_lshlrev_b64 v[52:53], 2, v[54:55]
	v_add_u32_e32 v58, s7, v54
	v_mov_b32_e32 v55, s5
	v_add_co_u32_e32 v52, vcc, s4, v52
	v_ashrrev_i32_e32 v59, 31, v58
	v_addc_co_u32_e32 v53, vcc, v55, v53, vcc
	v_lshlrev_b64 v[54:55], 2, v[58:59]
	v_add_u32_e32 v60, s7, v58
	v_mov_b32_e32 v59, s5
	v_add_co_u32_e32 v54, vcc, s4, v54
	v_ashrrev_i32_e32 v61, 31, v60
	v_addc_co_u32_e32 v55, vcc, v59, v55, vcc
	;; [unrolled: 6-line block ×4, first 2 shown]
	v_lshlrev_b64 v[62:63], 2, v[64:65]
	v_mov_b32_e32 v66, s5
	v_add_co_u32_e32 v62, vcc, s4, v62
	v_addc_co_u32_e32 v63, vcc, v66, v63, vcc
	v_add_u32_e32 v66, s7, v64
	v_ashrrev_i32_e32 v67, 31, v66
	v_lshlrev_b64 v[64:65], 2, v[66:67]
	v_mov_b32_e32 v68, s5
	v_add_co_u32_e32 v64, vcc, s4, v64
	v_addc_co_u32_e32 v65, vcc, v68, v65, vcc
	v_add_u32_e32 v68, s7, v66
	v_ashrrev_i32_e32 v69, 31, v68
	;; [unrolled: 6-line block ×3, first 2 shown]
	v_lshlrev_b64 v[68:69], 2, v[70:71]
	v_add_u32_e32 v70, s7, v70
	v_mov_b32_e32 v89, s5
	v_add_co_u32_e32 v68, vcc, s4, v68
	v_ashrrev_i32_e32 v71, 31, v70
	v_addc_co_u32_e32 v69, vcc, v89, v69, vcc
	v_lshlrev_b64 v[70:71], 2, v[70:71]
	v_add_co_u32_e32 v70, vcc, s4, v70
	v_addc_co_u32_e32 v71, vcc, v89, v71, vcc
	global_load_dword v89, v[70:71], off
	s_waitcnt vmcnt(17)
	buffer_store_dword v72, off, s[0:3], 0
	s_waitcnt vmcnt(17)
	buffer_store_dword v73, off, s[0:3], 0 offset:4
	s_waitcnt vmcnt(17)
	buffer_store_dword v74, off, s[0:3], 0 offset:8
	;; [unrolled: 2-line block ×11, first 2 shown]
	buffer_store_dword v82, off, s[0:3], 0 offset:48
	global_load_dword v72, v[32:33], off
	global_load_dword v73, v[34:35], off
	global_load_dword v74, v[36:37], off
	global_load_dword v75, v[46:47], off
	global_load_dword v76, v[44:45], off
	global_load_dword v77, v[42:43], off
	global_load_dword v78, v[40:41], off
	global_load_dword v79, v[38:39], off
	global_load_dword v80, v[48:49], off
	global_load_dword v81, v[66:67], off
	global_load_dword v82, v[62:63], off
	global_load_dword v87, v[58:59], off
	global_load_dword v88, v[54:55], off
	global_load_dword v90, v[52:53], off
	global_load_dword v91, v[60:61], off
	s_cmpk_lg_i32 s13, 0x84
	buffer_store_dword v83, off, s[0:3], 0 offset:52
	global_load_dword v83, v[64:65], off
	s_cselect_b64 s[10:11], -1, 0
	buffer_store_dword v84, off, s[0:3], 0 offset:56
	global_load_dword v84, v[68:69], off
	s_nop 0
	buffer_store_dword v85, off, s[0:3], 0 offset:60
	buffer_store_dword v86, off, s[0:3], 0 offset:64
	s_waitcnt vmcnt(20)
	buffer_store_dword v72, off, s[0:3], 0 offset:68
	s_waitcnt vmcnt(20)
	;; [unrolled: 2-line block ×5, first 2 shown]
	buffer_store_dword v79, off, s[0:3], 0 offset:80
	buffer_store_dword v76, off, s[0:3], 0 offset:92
	buffer_store_dword v77, off, s[0:3], 0 offset:88
	s_waitcnt vmcnt(19)
	buffer_store_dword v80, off, s[0:3], 0 offset:100
	buffer_store_dword v75, off, s[0:3], 0 offset:96
	s_waitcnt vmcnt(17)
	buffer_store_dword v88, off, s[0:3], 0 offset:108
	s_waitcnt vmcnt(17)
	;; [unrolled: 2-line block ×3, first 2 shown]
	buffer_store_dword v91, off, s[0:3], 0 offset:116
	buffer_store_dword v87, off, s[0:3], 0 offset:112
	s_waitcnt vmcnt(17)
	buffer_store_dword v83, off, s[0:3], 0 offset:124
	buffer_store_dword v82, off, s[0:3], 0 offset:120
	s_waitcnt vmcnt(17)
	buffer_store_dword v84, off, s[0:3], 0 offset:132
	buffer_store_dword v81, off, s[0:3], 0 offset:128
	;; [unrolled: 1-line block ×3, first 2 shown]
	s_cmpk_eq_i32 s13, 0x84
	v_mov_b32_e32 v89, 0
	v_mov_b32_e32 v72, -1.0
	s_cbranch_scc1 .LBB98_3
; %bb.2:
	v_lshl_add_u32 v72, v0, 2, v89
	buffer_load_dword v73, v72, s[0:3], 0 offen
	s_waitcnt vmcnt(0)
	v_div_scale_f32 v74, s[4:5], v73, v73, 1.0
	v_rcp_f32_e32 v75, v74
	v_div_scale_f32 v76, vcc, 1.0, v73, 1.0
	v_fma_f32 v77, -v74, v75, 1.0
	v_fmac_f32_e32 v75, v77, v75
	v_mul_f32_e32 v77, v76, v75
	v_fma_f32 v78, -v74, v77, v76
	v_fmac_f32_e32 v77, v78, v75
	v_fma_f32 v74, -v74, v77, v76
	v_div_fmas_f32 v74, v74, v75, v77
	v_div_fixup_f32 v73, v74, v73, 1.0
	buffer_store_dword v73, v72, s[0:3], 0 offen
	v_xor_b32_e32 v72, 0x80000000, v73
.LBB98_3:
	ds_write_b32 v1, v72
	s_cmpk_eq_i32 s12, 0x79
	v_add_u32_e32 v72, 0x90, v1
	v_add_u32_e32 v73, 0, v1
	s_mov_b64 s[4:5], -1
	s_cbranch_scc1 .LBB98_337
; %bb.4:
	buffer_load_dword v74, off, s[0:3], 0 offset:132
	v_cmp_eq_u32_e64 s[4:5], 34, v0
	s_waitcnt vmcnt(0)
	ds_write_b32 v72, v74
	s_waitcnt lgkmcnt(0)
	; wave barrier
	s_waitcnt lgkmcnt(0)
	s_and_saveexec_b64 s[6:7], s[4:5]
	s_cbranch_execz .LBB98_10
; %bb.5:
	s_and_b64 vcc, exec, s[10:11]
	s_cbranch_vccz .LBB98_7
; %bb.6:
	buffer_load_dword v74, v73, s[0:3], 0 offen
	ds_read_b32 v75, v72
	s_waitcnt vmcnt(0) lgkmcnt(0)
	v_mul_f32_e32 v74, v74, v75
	s_cbranch_execz .LBB98_8
	s_branch .LBB98_9
.LBB98_7:
                                        ; implicit-def: $vgpr74
.LBB98_8:
	ds_read_b32 v74, v72
.LBB98_9:
	v_mov_b32_e32 v75, 0
	ds_read_b32 v75, v75 offset:132
	s_waitcnt lgkmcnt(0)
	v_mul_f32_e32 v74, v74, v75
	buffer_store_dword v74, off, s[0:3], 0 offset:132
.LBB98_10:
	s_or_b64 exec, exec, s[6:7]
	buffer_load_dword v90, off, s[0:3], 0 offset:128
	v_or_b32_e32 v74, 8, v89
	v_add_u32_e32 v75, 16, v89
	v_add_u32_e32 v76, 24, v89
	;; [unrolled: 1-line block ×15, first 2 shown]
	v_cmp_lt_u32_e64 s[8:9], 32, v0
	s_waitcnt vmcnt(0)
	ds_write_b32 v72, v90
	s_waitcnt lgkmcnt(0)
	; wave barrier
	s_waitcnt lgkmcnt(0)
	s_and_saveexec_b64 s[6:7], s[8:9]
	s_cbranch_execz .LBB98_16
; %bb.11:
	s_andn2_b64 vcc, exec, s[10:11]
	s_cbranch_vccnz .LBB98_13
; %bb.12:
	buffer_load_dword v90, v73, s[0:3], 0 offen
	ds_read_b32 v91, v72
	s_waitcnt vmcnt(0) lgkmcnt(0)
	v_mul_f32_e32 v90, v90, v91
	s_cbranch_execz .LBB98_14
	s_branch .LBB98_15
.LBB98_13:
                                        ; implicit-def: $vgpr90
.LBB98_14:
	ds_read_b32 v90, v72
.LBB98_15:
	buffer_load_dword v91, off, s[0:3], 0 offset:132
	v_mov_b32_e32 v92, 0
	ds_read2_b32 v[92:93], v92 offset0:32 offset1:69
	s_waitcnt vmcnt(0) lgkmcnt(0)
	v_fma_f32 v91, v91, v93, v90
	v_cndmask_b32_e64 v90, v90, v91, s[4:5]
	v_mul_f32_e32 v90, v90, v92
	buffer_store_dword v90, off, s[0:3], 0 offset:128
.LBB98_16:
	s_or_b64 exec, exec, s[6:7]
	buffer_load_dword v90, off, s[0:3], 0 offset:124
	v_cmp_lt_u32_e64 s[6:7], 31, v0
	s_waitcnt vmcnt(0)
	ds_write_b32 v72, v90
	s_waitcnt lgkmcnt(0)
	; wave barrier
	s_waitcnt lgkmcnt(0)
	s_and_saveexec_b64 s[4:5], s[6:7]
	s_cbranch_execz .LBB98_26
; %bb.17:
	s_andn2_b64 vcc, exec, s[10:11]
	s_cbranch_vccnz .LBB98_19
; %bb.18:
	buffer_load_dword v90, v73, s[0:3], 0 offen
	ds_read_b32 v91, v72
	s_waitcnt vmcnt(0) lgkmcnt(0)
	v_mul_f32_e32 v90, v90, v91
	s_cbranch_execz .LBB98_20
	s_branch .LBB98_21
.LBB98_19:
                                        ; implicit-def: $vgpr90
.LBB98_20:
	ds_read_b32 v90, v72
.LBB98_21:
	s_and_saveexec_b64 s[12:13], s[8:9]
	s_cbranch_execz .LBB98_25
; %bb.22:
	v_subrev_u32_e32 v91, 32, v0
	s_movk_i32 s14, 0x110
	s_mov_b64 s[8:9], 0
.LBB98_23:                              ; =>This Inner Loop Header: Depth=1
	buffer_load_dword v92, v89, s[0:3], 0 offen
	v_mov_b32_e32 v93, s14
	ds_read_b32 v93, v93
	v_add_u32_e32 v91, -1, v91
	s_add_i32 s14, s14, 4
	v_cmp_eq_u32_e32 vcc, 0, v91
	v_add_u32_e32 v89, 4, v89
	s_or_b64 s[8:9], vcc, s[8:9]
	s_waitcnt vmcnt(0) lgkmcnt(0)
	v_fmac_f32_e32 v90, v92, v93
	s_andn2_b64 exec, exec, s[8:9]
	s_cbranch_execnz .LBB98_23
; %bb.24:
	s_or_b64 exec, exec, s[8:9]
.LBB98_25:
	s_or_b64 exec, exec, s[12:13]
	v_mov_b32_e32 v89, 0
	ds_read_b32 v89, v89 offset:124
	s_waitcnt lgkmcnt(0)
	v_mul_f32_e32 v89, v90, v89
	buffer_store_dword v89, off, s[0:3], 0 offset:124
.LBB98_26:
	s_or_b64 exec, exec, s[4:5]
	buffer_load_dword v89, off, s[0:3], 0 offset:120
	v_cmp_lt_u32_e64 s[4:5], 30, v0
	s_waitcnt vmcnt(0)
	ds_write_b32 v72, v89
	s_waitcnt lgkmcnt(0)
	; wave barrier
	s_waitcnt lgkmcnt(0)
	s_and_saveexec_b64 s[8:9], s[4:5]
	s_cbranch_execz .LBB98_36
; %bb.27:
	s_andn2_b64 vcc, exec, s[10:11]
	s_cbranch_vccnz .LBB98_29
; %bb.28:
	buffer_load_dword v89, v73, s[0:3], 0 offen
	ds_read_b32 v90, v72
	s_waitcnt vmcnt(0) lgkmcnt(0)
	v_mul_f32_e32 v89, v89, v90
	s_cbranch_execz .LBB98_30
	s_branch .LBB98_31
.LBB98_29:
                                        ; implicit-def: $vgpr89
.LBB98_30:
	ds_read_b32 v89, v72
.LBB98_31:
	s_and_saveexec_b64 s[12:13], s[6:7]
	s_cbranch_execz .LBB98_35
; %bb.32:
	v_mov_b32_e32 v90, 0
	v_add_u32_e32 v90, 0x7c, v90
	v_subrev_u32_e32 v91, 31, v0
	s_movk_i32 s14, 0x10c
	s_mov_b64 s[6:7], 0
.LBB98_33:                              ; =>This Inner Loop Header: Depth=1
	buffer_load_dword v92, v90, s[0:3], 0 offen
	v_mov_b32_e32 v93, s14
	ds_read_b32 v93, v93
	v_add_u32_e32 v91, -1, v91
	s_add_i32 s14, s14, 4
	v_cmp_eq_u32_e32 vcc, 0, v91
	v_add_u32_e32 v90, 4, v90
	s_or_b64 s[6:7], vcc, s[6:7]
	s_waitcnt vmcnt(0) lgkmcnt(0)
	v_fmac_f32_e32 v89, v92, v93
	s_andn2_b64 exec, exec, s[6:7]
	s_cbranch_execnz .LBB98_33
; %bb.34:
	s_or_b64 exec, exec, s[6:7]
.LBB98_35:
	s_or_b64 exec, exec, s[12:13]
	v_mov_b32_e32 v90, 0
	ds_read_b32 v90, v90 offset:120
	s_waitcnt lgkmcnt(0)
	v_mul_f32_e32 v89, v89, v90
	buffer_store_dword v89, off, s[0:3], 0 offset:120
.LBB98_36:
	s_or_b64 exec, exec, s[8:9]
	buffer_load_dword v89, off, s[0:3], 0 offset:116
	v_cmp_lt_u32_e64 s[6:7], 29, v0
	s_waitcnt vmcnt(0)
	ds_write_b32 v72, v89
	s_waitcnt lgkmcnt(0)
	; wave barrier
	s_waitcnt lgkmcnt(0)
	s_and_saveexec_b64 s[8:9], s[6:7]
	s_cbranch_execz .LBB98_46
; %bb.37:
	s_andn2_b64 vcc, exec, s[10:11]
	s_cbranch_vccnz .LBB98_39
; %bb.38:
	buffer_load_dword v89, v73, s[0:3], 0 offen
	ds_read_b32 v90, v72
	s_waitcnt vmcnt(0) lgkmcnt(0)
	v_mul_f32_e32 v89, v89, v90
	s_cbranch_execz .LBB98_40
	s_branch .LBB98_41
.LBB98_39:
                                        ; implicit-def: $vgpr89
.LBB98_40:
	ds_read_b32 v89, v72
.LBB98_41:
	s_and_saveexec_b64 s[12:13], s[4:5]
	s_cbranch_execz .LBB98_45
; %bb.42:
	v_subrev_u32_e32 v90, 30, v0
	s_movk_i32 s14, 0x108
	s_mov_b64 s[4:5], 0
.LBB98_43:                              ; =>This Inner Loop Header: Depth=1
	buffer_load_dword v91, v88, s[0:3], 0 offen
	v_mov_b32_e32 v92, s14
	ds_read_b32 v92, v92
	v_add_u32_e32 v90, -1, v90
	s_add_i32 s14, s14, 4
	v_cmp_eq_u32_e32 vcc, 0, v90
	v_add_u32_e32 v88, 4, v88
	s_or_b64 s[4:5], vcc, s[4:5]
	s_waitcnt vmcnt(0) lgkmcnt(0)
	v_fmac_f32_e32 v89, v91, v92
	s_andn2_b64 exec, exec, s[4:5]
	s_cbranch_execnz .LBB98_43
; %bb.44:
	s_or_b64 exec, exec, s[4:5]
.LBB98_45:
	s_or_b64 exec, exec, s[12:13]
	v_mov_b32_e32 v88, 0
	ds_read_b32 v88, v88 offset:116
	s_waitcnt lgkmcnt(0)
	v_mul_f32_e32 v88, v89, v88
	buffer_store_dword v88, off, s[0:3], 0 offset:116
.LBB98_46:
	s_or_b64 exec, exec, s[8:9]
	buffer_load_dword v88, off, s[0:3], 0 offset:112
	v_cmp_lt_u32_e64 s[4:5], 28, v0
	s_waitcnt vmcnt(0)
	ds_write_b32 v72, v88
	s_waitcnt lgkmcnt(0)
	; wave barrier
	s_waitcnt lgkmcnt(0)
	s_and_saveexec_b64 s[8:9], s[4:5]
	s_cbranch_execz .LBB98_56
; %bb.47:
	s_andn2_b64 vcc, exec, s[10:11]
	s_cbranch_vccnz .LBB98_49
; %bb.48:
	buffer_load_dword v88, v73, s[0:3], 0 offen
	ds_read_b32 v89, v72
	s_waitcnt vmcnt(0) lgkmcnt(0)
	v_mul_f32_e32 v88, v88, v89
	s_cbranch_execz .LBB98_50
	s_branch .LBB98_51
.LBB98_49:
                                        ; implicit-def: $vgpr88
.LBB98_50:
	ds_read_b32 v88, v72
.LBB98_51:
	s_and_saveexec_b64 s[12:13], s[6:7]
	s_cbranch_execz .LBB98_55
; %bb.52:
	v_mov_b32_e32 v89, 0
	v_add_u32_e32 v89, 0x74, v89
	v_subrev_u32_e32 v90, 29, v0
	s_movk_i32 s14, 0x104
	s_mov_b64 s[6:7], 0
.LBB98_53:                              ; =>This Inner Loop Header: Depth=1
	buffer_load_dword v91, v89, s[0:3], 0 offen
	v_mov_b32_e32 v92, s14
	ds_read_b32 v92, v92
	v_add_u32_e32 v90, -1, v90
	s_add_i32 s14, s14, 4
	v_cmp_eq_u32_e32 vcc, 0, v90
	v_add_u32_e32 v89, 4, v89
	s_or_b64 s[6:7], vcc, s[6:7]
	s_waitcnt vmcnt(0) lgkmcnt(0)
	v_fmac_f32_e32 v88, v91, v92
	s_andn2_b64 exec, exec, s[6:7]
	s_cbranch_execnz .LBB98_53
; %bb.54:
	s_or_b64 exec, exec, s[6:7]
.LBB98_55:
	s_or_b64 exec, exec, s[12:13]
	v_mov_b32_e32 v89, 0
	ds_read_b32 v89, v89 offset:112
	s_waitcnt lgkmcnt(0)
	v_mul_f32_e32 v88, v88, v89
	buffer_store_dword v88, off, s[0:3], 0 offset:112
.LBB98_56:
	s_or_b64 exec, exec, s[8:9]
	buffer_load_dword v88, off, s[0:3], 0 offset:108
	v_cmp_lt_u32_e64 s[6:7], 27, v0
	s_waitcnt vmcnt(0)
	ds_write_b32 v72, v88
	s_waitcnt lgkmcnt(0)
	; wave barrier
	s_waitcnt lgkmcnt(0)
	s_and_saveexec_b64 s[8:9], s[6:7]
	s_cbranch_execz .LBB98_66
; %bb.57:
	s_andn2_b64 vcc, exec, s[10:11]
	s_cbranch_vccnz .LBB98_59
; %bb.58:
	buffer_load_dword v88, v73, s[0:3], 0 offen
	ds_read_b32 v89, v72
	s_waitcnt vmcnt(0) lgkmcnt(0)
	v_mul_f32_e32 v88, v88, v89
	s_cbranch_execz .LBB98_60
	s_branch .LBB98_61
.LBB98_59:
                                        ; implicit-def: $vgpr88
.LBB98_60:
	ds_read_b32 v88, v72
.LBB98_61:
	s_and_saveexec_b64 s[12:13], s[4:5]
	s_cbranch_execz .LBB98_65
; %bb.62:
	v_subrev_u32_e32 v89, 28, v0
	s_movk_i32 s14, 0x100
	s_mov_b64 s[4:5], 0
.LBB98_63:                              ; =>This Inner Loop Header: Depth=1
	buffer_load_dword v90, v87, s[0:3], 0 offen
	v_mov_b32_e32 v91, s14
	ds_read_b32 v91, v91
	v_add_u32_e32 v89, -1, v89
	s_add_i32 s14, s14, 4
	v_cmp_eq_u32_e32 vcc, 0, v89
	v_add_u32_e32 v87, 4, v87
	s_or_b64 s[4:5], vcc, s[4:5]
	s_waitcnt vmcnt(0) lgkmcnt(0)
	v_fmac_f32_e32 v88, v90, v91
	s_andn2_b64 exec, exec, s[4:5]
	s_cbranch_execnz .LBB98_63
; %bb.64:
	s_or_b64 exec, exec, s[4:5]
.LBB98_65:
	s_or_b64 exec, exec, s[12:13]
	v_mov_b32_e32 v87, 0
	ds_read_b32 v87, v87 offset:108
	s_waitcnt lgkmcnt(0)
	v_mul_f32_e32 v87, v88, v87
	buffer_store_dword v87, off, s[0:3], 0 offset:108
.LBB98_66:
	s_or_b64 exec, exec, s[8:9]
	buffer_load_dword v87, off, s[0:3], 0 offset:104
	v_cmp_lt_u32_e64 s[4:5], 26, v0
	s_waitcnt vmcnt(0)
	ds_write_b32 v72, v87
	s_waitcnt lgkmcnt(0)
	; wave barrier
	s_waitcnt lgkmcnt(0)
	s_and_saveexec_b64 s[8:9], s[4:5]
	s_cbranch_execz .LBB98_76
; %bb.67:
	s_andn2_b64 vcc, exec, s[10:11]
	s_cbranch_vccnz .LBB98_69
; %bb.68:
	buffer_load_dword v87, v73, s[0:3], 0 offen
	ds_read_b32 v88, v72
	s_waitcnt vmcnt(0) lgkmcnt(0)
	v_mul_f32_e32 v87, v87, v88
	s_cbranch_execz .LBB98_70
	s_branch .LBB98_71
.LBB98_69:
                                        ; implicit-def: $vgpr87
.LBB98_70:
	ds_read_b32 v87, v72
.LBB98_71:
	s_and_saveexec_b64 s[12:13], s[6:7]
	s_cbranch_execz .LBB98_75
; %bb.72:
	v_mov_b32_e32 v88, 0
	v_add_u32_e32 v88, 0x6c, v88
	v_subrev_u32_e32 v89, 27, v0
	s_movk_i32 s14, 0xfc
	s_mov_b64 s[6:7], 0
.LBB98_73:                              ; =>This Inner Loop Header: Depth=1
	buffer_load_dword v90, v88, s[0:3], 0 offen
	v_mov_b32_e32 v91, s14
	ds_read_b32 v91, v91
	v_add_u32_e32 v89, -1, v89
	s_add_i32 s14, s14, 4
	v_cmp_eq_u32_e32 vcc, 0, v89
	v_add_u32_e32 v88, 4, v88
	s_or_b64 s[6:7], vcc, s[6:7]
	s_waitcnt vmcnt(0) lgkmcnt(0)
	v_fmac_f32_e32 v87, v90, v91
	s_andn2_b64 exec, exec, s[6:7]
	s_cbranch_execnz .LBB98_73
; %bb.74:
	s_or_b64 exec, exec, s[6:7]
.LBB98_75:
	s_or_b64 exec, exec, s[12:13]
	v_mov_b32_e32 v88, 0
	ds_read_b32 v88, v88 offset:104
	s_waitcnt lgkmcnt(0)
	v_mul_f32_e32 v87, v87, v88
	buffer_store_dword v87, off, s[0:3], 0 offset:104
.LBB98_76:
	s_or_b64 exec, exec, s[8:9]
	buffer_load_dword v87, off, s[0:3], 0 offset:100
	v_cmp_lt_u32_e64 s[6:7], 25, v0
	s_waitcnt vmcnt(0)
	ds_write_b32 v72, v87
	s_waitcnt lgkmcnt(0)
	; wave barrier
	s_waitcnt lgkmcnt(0)
	s_and_saveexec_b64 s[8:9], s[6:7]
	s_cbranch_execz .LBB98_86
; %bb.77:
	s_andn2_b64 vcc, exec, s[10:11]
	s_cbranch_vccnz .LBB98_79
; %bb.78:
	buffer_load_dword v87, v73, s[0:3], 0 offen
	ds_read_b32 v88, v72
	s_waitcnt vmcnt(0) lgkmcnt(0)
	v_mul_f32_e32 v87, v87, v88
	s_cbranch_execz .LBB98_80
	s_branch .LBB98_81
.LBB98_79:
                                        ; implicit-def: $vgpr87
.LBB98_80:
	ds_read_b32 v87, v72
.LBB98_81:
	s_and_saveexec_b64 s[12:13], s[4:5]
	s_cbranch_execz .LBB98_85
; %bb.82:
	v_subrev_u32_e32 v88, 26, v0
	s_movk_i32 s14, 0xf8
	s_mov_b64 s[4:5], 0
.LBB98_83:                              ; =>This Inner Loop Header: Depth=1
	buffer_load_dword v89, v86, s[0:3], 0 offen
	v_mov_b32_e32 v90, s14
	ds_read_b32 v90, v90
	v_add_u32_e32 v88, -1, v88
	s_add_i32 s14, s14, 4
	v_cmp_eq_u32_e32 vcc, 0, v88
	v_add_u32_e32 v86, 4, v86
	s_or_b64 s[4:5], vcc, s[4:5]
	s_waitcnt vmcnt(0) lgkmcnt(0)
	v_fmac_f32_e32 v87, v89, v90
	s_andn2_b64 exec, exec, s[4:5]
	s_cbranch_execnz .LBB98_83
; %bb.84:
	s_or_b64 exec, exec, s[4:5]
.LBB98_85:
	s_or_b64 exec, exec, s[12:13]
	v_mov_b32_e32 v86, 0
	ds_read_b32 v86, v86 offset:100
	s_waitcnt lgkmcnt(0)
	v_mul_f32_e32 v86, v87, v86
	buffer_store_dword v86, off, s[0:3], 0 offset:100
.LBB98_86:
	s_or_b64 exec, exec, s[8:9]
	buffer_load_dword v86, off, s[0:3], 0 offset:96
	v_cmp_lt_u32_e64 s[4:5], 24, v0
	s_waitcnt vmcnt(0)
	ds_write_b32 v72, v86
	s_waitcnt lgkmcnt(0)
	; wave barrier
	s_waitcnt lgkmcnt(0)
	s_and_saveexec_b64 s[8:9], s[4:5]
	s_cbranch_execz .LBB98_96
; %bb.87:
	s_andn2_b64 vcc, exec, s[10:11]
	s_cbranch_vccnz .LBB98_89
; %bb.88:
	buffer_load_dword v86, v73, s[0:3], 0 offen
	ds_read_b32 v87, v72
	s_waitcnt vmcnt(0) lgkmcnt(0)
	v_mul_f32_e32 v86, v86, v87
	s_cbranch_execz .LBB98_90
	s_branch .LBB98_91
.LBB98_89:
                                        ; implicit-def: $vgpr86
.LBB98_90:
	ds_read_b32 v86, v72
.LBB98_91:
	s_and_saveexec_b64 s[12:13], s[6:7]
	s_cbranch_execz .LBB98_95
; %bb.92:
	v_mov_b32_e32 v87, 0
	v_add_u32_e32 v87, 0x64, v87
	v_subrev_u32_e32 v88, 25, v0
	s_movk_i32 s14, 0xf4
	s_mov_b64 s[6:7], 0
.LBB98_93:                              ; =>This Inner Loop Header: Depth=1
	buffer_load_dword v89, v87, s[0:3], 0 offen
	v_mov_b32_e32 v90, s14
	ds_read_b32 v90, v90
	v_add_u32_e32 v88, -1, v88
	s_add_i32 s14, s14, 4
	v_cmp_eq_u32_e32 vcc, 0, v88
	v_add_u32_e32 v87, 4, v87
	s_or_b64 s[6:7], vcc, s[6:7]
	s_waitcnt vmcnt(0) lgkmcnt(0)
	v_fmac_f32_e32 v86, v89, v90
	s_andn2_b64 exec, exec, s[6:7]
	s_cbranch_execnz .LBB98_93
; %bb.94:
	s_or_b64 exec, exec, s[6:7]
.LBB98_95:
	s_or_b64 exec, exec, s[12:13]
	v_mov_b32_e32 v87, 0
	ds_read_b32 v87, v87 offset:96
	s_waitcnt lgkmcnt(0)
	v_mul_f32_e32 v86, v86, v87
	buffer_store_dword v86, off, s[0:3], 0 offset:96
.LBB98_96:
	s_or_b64 exec, exec, s[8:9]
	buffer_load_dword v86, off, s[0:3], 0 offset:92
	v_cmp_lt_u32_e64 s[6:7], 23, v0
	s_waitcnt vmcnt(0)
	ds_write_b32 v72, v86
	s_waitcnt lgkmcnt(0)
	; wave barrier
	s_waitcnt lgkmcnt(0)
	s_and_saveexec_b64 s[8:9], s[6:7]
	s_cbranch_execz .LBB98_106
; %bb.97:
	s_andn2_b64 vcc, exec, s[10:11]
	s_cbranch_vccnz .LBB98_99
; %bb.98:
	buffer_load_dword v86, v73, s[0:3], 0 offen
	ds_read_b32 v87, v72
	s_waitcnt vmcnt(0) lgkmcnt(0)
	v_mul_f32_e32 v86, v86, v87
	s_cbranch_execz .LBB98_100
	s_branch .LBB98_101
.LBB98_99:
                                        ; implicit-def: $vgpr86
.LBB98_100:
	ds_read_b32 v86, v72
.LBB98_101:
	s_and_saveexec_b64 s[12:13], s[4:5]
	s_cbranch_execz .LBB98_105
; %bb.102:
	v_subrev_u32_e32 v87, 24, v0
	s_movk_i32 s14, 0xf0
	s_mov_b64 s[4:5], 0
.LBB98_103:                             ; =>This Inner Loop Header: Depth=1
	buffer_load_dword v88, v85, s[0:3], 0 offen
	v_mov_b32_e32 v89, s14
	ds_read_b32 v89, v89
	v_add_u32_e32 v87, -1, v87
	s_add_i32 s14, s14, 4
	v_cmp_eq_u32_e32 vcc, 0, v87
	v_add_u32_e32 v85, 4, v85
	s_or_b64 s[4:5], vcc, s[4:5]
	s_waitcnt vmcnt(0) lgkmcnt(0)
	v_fmac_f32_e32 v86, v88, v89
	s_andn2_b64 exec, exec, s[4:5]
	s_cbranch_execnz .LBB98_103
; %bb.104:
	s_or_b64 exec, exec, s[4:5]
.LBB98_105:
	s_or_b64 exec, exec, s[12:13]
	v_mov_b32_e32 v85, 0
	ds_read_b32 v85, v85 offset:92
	s_waitcnt lgkmcnt(0)
	v_mul_f32_e32 v85, v86, v85
	buffer_store_dword v85, off, s[0:3], 0 offset:92
.LBB98_106:
	s_or_b64 exec, exec, s[8:9]
	buffer_load_dword v85, off, s[0:3], 0 offset:88
	v_cmp_lt_u32_e64 s[4:5], 22, v0
	s_waitcnt vmcnt(0)
	ds_write_b32 v72, v85
	s_waitcnt lgkmcnt(0)
	; wave barrier
	s_waitcnt lgkmcnt(0)
	s_and_saveexec_b64 s[8:9], s[4:5]
	s_cbranch_execz .LBB98_116
; %bb.107:
	s_andn2_b64 vcc, exec, s[10:11]
	s_cbranch_vccnz .LBB98_109
; %bb.108:
	buffer_load_dword v85, v73, s[0:3], 0 offen
	ds_read_b32 v86, v72
	s_waitcnt vmcnt(0) lgkmcnt(0)
	v_mul_f32_e32 v85, v85, v86
	s_cbranch_execz .LBB98_110
	s_branch .LBB98_111
.LBB98_109:
                                        ; implicit-def: $vgpr85
.LBB98_110:
	ds_read_b32 v85, v72
.LBB98_111:
	s_and_saveexec_b64 s[12:13], s[6:7]
	s_cbranch_execz .LBB98_115
; %bb.112:
	v_mov_b32_e32 v86, 0
	v_add_u32_e32 v86, 0x5c, v86
	v_subrev_u32_e32 v87, 23, v0
	s_movk_i32 s14, 0xec
	s_mov_b64 s[6:7], 0
.LBB98_113:                             ; =>This Inner Loop Header: Depth=1
	buffer_load_dword v88, v86, s[0:3], 0 offen
	v_mov_b32_e32 v89, s14
	ds_read_b32 v89, v89
	v_add_u32_e32 v87, -1, v87
	s_add_i32 s14, s14, 4
	v_cmp_eq_u32_e32 vcc, 0, v87
	v_add_u32_e32 v86, 4, v86
	s_or_b64 s[6:7], vcc, s[6:7]
	s_waitcnt vmcnt(0) lgkmcnt(0)
	v_fmac_f32_e32 v85, v88, v89
	s_andn2_b64 exec, exec, s[6:7]
	s_cbranch_execnz .LBB98_113
; %bb.114:
	s_or_b64 exec, exec, s[6:7]
.LBB98_115:
	s_or_b64 exec, exec, s[12:13]
	v_mov_b32_e32 v86, 0
	ds_read_b32 v86, v86 offset:88
	s_waitcnt lgkmcnt(0)
	v_mul_f32_e32 v85, v85, v86
	buffer_store_dword v85, off, s[0:3], 0 offset:88
.LBB98_116:
	s_or_b64 exec, exec, s[8:9]
	buffer_load_dword v85, off, s[0:3], 0 offset:84
	v_cmp_lt_u32_e64 s[6:7], 21, v0
	s_waitcnt vmcnt(0)
	ds_write_b32 v72, v85
	s_waitcnt lgkmcnt(0)
	; wave barrier
	s_waitcnt lgkmcnt(0)
	s_and_saveexec_b64 s[8:9], s[6:7]
	s_cbranch_execz .LBB98_126
; %bb.117:
	s_andn2_b64 vcc, exec, s[10:11]
	s_cbranch_vccnz .LBB98_119
; %bb.118:
	buffer_load_dword v85, v73, s[0:3], 0 offen
	ds_read_b32 v86, v72
	s_waitcnt vmcnt(0) lgkmcnt(0)
	v_mul_f32_e32 v85, v85, v86
	s_cbranch_execz .LBB98_120
	s_branch .LBB98_121
.LBB98_119:
                                        ; implicit-def: $vgpr85
.LBB98_120:
	ds_read_b32 v85, v72
.LBB98_121:
	s_and_saveexec_b64 s[12:13], s[4:5]
	s_cbranch_execz .LBB98_125
; %bb.122:
	v_subrev_u32_e32 v86, 22, v0
	s_movk_i32 s14, 0xe8
	s_mov_b64 s[4:5], 0
.LBB98_123:                             ; =>This Inner Loop Header: Depth=1
	buffer_load_dword v87, v84, s[0:3], 0 offen
	v_mov_b32_e32 v88, s14
	ds_read_b32 v88, v88
	v_add_u32_e32 v86, -1, v86
	s_add_i32 s14, s14, 4
	v_cmp_eq_u32_e32 vcc, 0, v86
	v_add_u32_e32 v84, 4, v84
	s_or_b64 s[4:5], vcc, s[4:5]
	s_waitcnt vmcnt(0) lgkmcnt(0)
	v_fmac_f32_e32 v85, v87, v88
	s_andn2_b64 exec, exec, s[4:5]
	s_cbranch_execnz .LBB98_123
; %bb.124:
	s_or_b64 exec, exec, s[4:5]
.LBB98_125:
	s_or_b64 exec, exec, s[12:13]
	v_mov_b32_e32 v84, 0
	ds_read_b32 v84, v84 offset:84
	s_waitcnt lgkmcnt(0)
	v_mul_f32_e32 v84, v85, v84
	buffer_store_dword v84, off, s[0:3], 0 offset:84
.LBB98_126:
	s_or_b64 exec, exec, s[8:9]
	buffer_load_dword v84, off, s[0:3], 0 offset:80
	v_cmp_lt_u32_e64 s[4:5], 20, v0
	s_waitcnt vmcnt(0)
	ds_write_b32 v72, v84
	s_waitcnt lgkmcnt(0)
	; wave barrier
	s_waitcnt lgkmcnt(0)
	s_and_saveexec_b64 s[8:9], s[4:5]
	s_cbranch_execz .LBB98_136
; %bb.127:
	s_andn2_b64 vcc, exec, s[10:11]
	s_cbranch_vccnz .LBB98_129
; %bb.128:
	buffer_load_dword v84, v73, s[0:3], 0 offen
	ds_read_b32 v85, v72
	s_waitcnt vmcnt(0) lgkmcnt(0)
	v_mul_f32_e32 v84, v84, v85
	s_cbranch_execz .LBB98_130
	s_branch .LBB98_131
.LBB98_129:
                                        ; implicit-def: $vgpr84
.LBB98_130:
	ds_read_b32 v84, v72
.LBB98_131:
	s_and_saveexec_b64 s[12:13], s[6:7]
	s_cbranch_execz .LBB98_135
; %bb.132:
	v_mov_b32_e32 v85, 0
	v_add_u32_e32 v85, 0x54, v85
	v_subrev_u32_e32 v86, 21, v0
	s_movk_i32 s14, 0xe4
	s_mov_b64 s[6:7], 0
.LBB98_133:                             ; =>This Inner Loop Header: Depth=1
	buffer_load_dword v87, v85, s[0:3], 0 offen
	v_mov_b32_e32 v88, s14
	ds_read_b32 v88, v88
	v_add_u32_e32 v86, -1, v86
	s_add_i32 s14, s14, 4
	v_cmp_eq_u32_e32 vcc, 0, v86
	v_add_u32_e32 v85, 4, v85
	s_or_b64 s[6:7], vcc, s[6:7]
	s_waitcnt vmcnt(0) lgkmcnt(0)
	v_fmac_f32_e32 v84, v87, v88
	s_andn2_b64 exec, exec, s[6:7]
	s_cbranch_execnz .LBB98_133
; %bb.134:
	s_or_b64 exec, exec, s[6:7]
.LBB98_135:
	s_or_b64 exec, exec, s[12:13]
	v_mov_b32_e32 v85, 0
	ds_read_b32 v85, v85 offset:80
	s_waitcnt lgkmcnt(0)
	v_mul_f32_e32 v84, v84, v85
	buffer_store_dword v84, off, s[0:3], 0 offset:80
.LBB98_136:
	s_or_b64 exec, exec, s[8:9]
	buffer_load_dword v84, off, s[0:3], 0 offset:76
	v_cmp_lt_u32_e64 s[6:7], 19, v0
	s_waitcnt vmcnt(0)
	ds_write_b32 v72, v84
	s_waitcnt lgkmcnt(0)
	; wave barrier
	s_waitcnt lgkmcnt(0)
	s_and_saveexec_b64 s[8:9], s[6:7]
	s_cbranch_execz .LBB98_146
; %bb.137:
	s_andn2_b64 vcc, exec, s[10:11]
	s_cbranch_vccnz .LBB98_139
; %bb.138:
	buffer_load_dword v84, v73, s[0:3], 0 offen
	ds_read_b32 v85, v72
	s_waitcnt vmcnt(0) lgkmcnt(0)
	v_mul_f32_e32 v84, v84, v85
	s_cbranch_execz .LBB98_140
	s_branch .LBB98_141
.LBB98_139:
                                        ; implicit-def: $vgpr84
.LBB98_140:
	ds_read_b32 v84, v72
.LBB98_141:
	s_and_saveexec_b64 s[12:13], s[4:5]
	s_cbranch_execz .LBB98_145
; %bb.142:
	v_subrev_u32_e32 v85, 20, v0
	s_movk_i32 s14, 0xe0
	s_mov_b64 s[4:5], 0
.LBB98_143:                             ; =>This Inner Loop Header: Depth=1
	buffer_load_dword v86, v83, s[0:3], 0 offen
	v_mov_b32_e32 v87, s14
	ds_read_b32 v87, v87
	v_add_u32_e32 v85, -1, v85
	s_add_i32 s14, s14, 4
	v_cmp_eq_u32_e32 vcc, 0, v85
	v_add_u32_e32 v83, 4, v83
	s_or_b64 s[4:5], vcc, s[4:5]
	s_waitcnt vmcnt(0) lgkmcnt(0)
	v_fmac_f32_e32 v84, v86, v87
	s_andn2_b64 exec, exec, s[4:5]
	s_cbranch_execnz .LBB98_143
; %bb.144:
	s_or_b64 exec, exec, s[4:5]
.LBB98_145:
	s_or_b64 exec, exec, s[12:13]
	v_mov_b32_e32 v83, 0
	ds_read_b32 v83, v83 offset:76
	s_waitcnt lgkmcnt(0)
	v_mul_f32_e32 v83, v84, v83
	buffer_store_dword v83, off, s[0:3], 0 offset:76
.LBB98_146:
	s_or_b64 exec, exec, s[8:9]
	buffer_load_dword v83, off, s[0:3], 0 offset:72
	v_cmp_lt_u32_e64 s[4:5], 18, v0
	s_waitcnt vmcnt(0)
	ds_write_b32 v72, v83
	s_waitcnt lgkmcnt(0)
	; wave barrier
	s_waitcnt lgkmcnt(0)
	s_and_saveexec_b64 s[8:9], s[4:5]
	s_cbranch_execz .LBB98_156
; %bb.147:
	s_andn2_b64 vcc, exec, s[10:11]
	s_cbranch_vccnz .LBB98_149
; %bb.148:
	buffer_load_dword v83, v73, s[0:3], 0 offen
	ds_read_b32 v84, v72
	s_waitcnt vmcnt(0) lgkmcnt(0)
	v_mul_f32_e32 v83, v83, v84
	s_cbranch_execz .LBB98_150
	s_branch .LBB98_151
.LBB98_149:
                                        ; implicit-def: $vgpr83
.LBB98_150:
	ds_read_b32 v83, v72
.LBB98_151:
	s_and_saveexec_b64 s[12:13], s[6:7]
	s_cbranch_execz .LBB98_155
; %bb.152:
	v_mov_b32_e32 v84, 0
	v_add_u32_e32 v84, 0x4c, v84
	v_subrev_u32_e32 v85, 19, v0
	s_movk_i32 s14, 0xdc
	s_mov_b64 s[6:7], 0
.LBB98_153:                             ; =>This Inner Loop Header: Depth=1
	buffer_load_dword v86, v84, s[0:3], 0 offen
	v_mov_b32_e32 v87, s14
	ds_read_b32 v87, v87
	v_add_u32_e32 v85, -1, v85
	s_add_i32 s14, s14, 4
	v_cmp_eq_u32_e32 vcc, 0, v85
	v_add_u32_e32 v84, 4, v84
	s_or_b64 s[6:7], vcc, s[6:7]
	s_waitcnt vmcnt(0) lgkmcnt(0)
	v_fmac_f32_e32 v83, v86, v87
	s_andn2_b64 exec, exec, s[6:7]
	s_cbranch_execnz .LBB98_153
; %bb.154:
	s_or_b64 exec, exec, s[6:7]
.LBB98_155:
	s_or_b64 exec, exec, s[12:13]
	v_mov_b32_e32 v84, 0
	ds_read_b32 v84, v84 offset:72
	s_waitcnt lgkmcnt(0)
	v_mul_f32_e32 v83, v83, v84
	buffer_store_dword v83, off, s[0:3], 0 offset:72
.LBB98_156:
	s_or_b64 exec, exec, s[8:9]
	buffer_load_dword v83, off, s[0:3], 0 offset:68
	v_cmp_lt_u32_e64 s[6:7], 17, v0
	s_waitcnt vmcnt(0)
	ds_write_b32 v72, v83
	s_waitcnt lgkmcnt(0)
	; wave barrier
	s_waitcnt lgkmcnt(0)
	s_and_saveexec_b64 s[8:9], s[6:7]
	s_cbranch_execz .LBB98_166
; %bb.157:
	s_andn2_b64 vcc, exec, s[10:11]
	s_cbranch_vccnz .LBB98_159
; %bb.158:
	buffer_load_dword v83, v73, s[0:3], 0 offen
	ds_read_b32 v84, v72
	s_waitcnt vmcnt(0) lgkmcnt(0)
	v_mul_f32_e32 v83, v83, v84
	s_cbranch_execz .LBB98_160
	s_branch .LBB98_161
.LBB98_159:
                                        ; implicit-def: $vgpr83
.LBB98_160:
	ds_read_b32 v83, v72
.LBB98_161:
	s_and_saveexec_b64 s[12:13], s[4:5]
	s_cbranch_execz .LBB98_165
; %bb.162:
	v_subrev_u32_e32 v84, 18, v0
	s_movk_i32 s14, 0xd8
	s_mov_b64 s[4:5], 0
.LBB98_163:                             ; =>This Inner Loop Header: Depth=1
	buffer_load_dword v85, v82, s[0:3], 0 offen
	v_mov_b32_e32 v86, s14
	ds_read_b32 v86, v86
	v_add_u32_e32 v84, -1, v84
	s_add_i32 s14, s14, 4
	v_cmp_eq_u32_e32 vcc, 0, v84
	v_add_u32_e32 v82, 4, v82
	s_or_b64 s[4:5], vcc, s[4:5]
	s_waitcnt vmcnt(0) lgkmcnt(0)
	v_fmac_f32_e32 v83, v85, v86
	s_andn2_b64 exec, exec, s[4:5]
	s_cbranch_execnz .LBB98_163
; %bb.164:
	s_or_b64 exec, exec, s[4:5]
.LBB98_165:
	s_or_b64 exec, exec, s[12:13]
	v_mov_b32_e32 v82, 0
	ds_read_b32 v82, v82 offset:68
	s_waitcnt lgkmcnt(0)
	v_mul_f32_e32 v82, v83, v82
	buffer_store_dword v82, off, s[0:3], 0 offset:68
.LBB98_166:
	s_or_b64 exec, exec, s[8:9]
	buffer_load_dword v82, off, s[0:3], 0 offset:64
	v_cmp_lt_u32_e64 s[4:5], 16, v0
	s_waitcnt vmcnt(0)
	ds_write_b32 v72, v82
	s_waitcnt lgkmcnt(0)
	; wave barrier
	s_waitcnt lgkmcnt(0)
	s_and_saveexec_b64 s[8:9], s[4:5]
	s_cbranch_execz .LBB98_176
; %bb.167:
	s_andn2_b64 vcc, exec, s[10:11]
	s_cbranch_vccnz .LBB98_169
; %bb.168:
	buffer_load_dword v82, v73, s[0:3], 0 offen
	ds_read_b32 v83, v72
	s_waitcnt vmcnt(0) lgkmcnt(0)
	v_mul_f32_e32 v82, v82, v83
	s_cbranch_execz .LBB98_170
	s_branch .LBB98_171
.LBB98_169:
                                        ; implicit-def: $vgpr82
.LBB98_170:
	ds_read_b32 v82, v72
.LBB98_171:
	s_and_saveexec_b64 s[12:13], s[6:7]
	s_cbranch_execz .LBB98_175
; %bb.172:
	v_mov_b32_e32 v83, 0
	v_add_u32_e32 v83, 0x44, v83
	v_subrev_u32_e32 v84, 17, v0
	s_movk_i32 s14, 0xd4
	s_mov_b64 s[6:7], 0
.LBB98_173:                             ; =>This Inner Loop Header: Depth=1
	buffer_load_dword v85, v83, s[0:3], 0 offen
	v_mov_b32_e32 v86, s14
	ds_read_b32 v86, v86
	v_add_u32_e32 v84, -1, v84
	s_add_i32 s14, s14, 4
	v_cmp_eq_u32_e32 vcc, 0, v84
	v_add_u32_e32 v83, 4, v83
	s_or_b64 s[6:7], vcc, s[6:7]
	s_waitcnt vmcnt(0) lgkmcnt(0)
	v_fmac_f32_e32 v82, v85, v86
	s_andn2_b64 exec, exec, s[6:7]
	s_cbranch_execnz .LBB98_173
; %bb.174:
	s_or_b64 exec, exec, s[6:7]
.LBB98_175:
	s_or_b64 exec, exec, s[12:13]
	v_mov_b32_e32 v83, 0
	ds_read_b32 v83, v83 offset:64
	s_waitcnt lgkmcnt(0)
	v_mul_f32_e32 v82, v82, v83
	buffer_store_dword v82, off, s[0:3], 0 offset:64
.LBB98_176:
	s_or_b64 exec, exec, s[8:9]
	buffer_load_dword v82, off, s[0:3], 0 offset:60
	v_cmp_lt_u32_e64 s[6:7], 15, v0
	s_waitcnt vmcnt(0)
	ds_write_b32 v72, v82
	s_waitcnt lgkmcnt(0)
	; wave barrier
	s_waitcnt lgkmcnt(0)
	s_and_saveexec_b64 s[8:9], s[6:7]
	s_cbranch_execz .LBB98_186
; %bb.177:
	s_andn2_b64 vcc, exec, s[10:11]
	s_cbranch_vccnz .LBB98_179
; %bb.178:
	buffer_load_dword v82, v73, s[0:3], 0 offen
	ds_read_b32 v83, v72
	s_waitcnt vmcnt(0) lgkmcnt(0)
	v_mul_f32_e32 v82, v82, v83
	s_cbranch_execz .LBB98_180
	s_branch .LBB98_181
.LBB98_179:
                                        ; implicit-def: $vgpr82
.LBB98_180:
	ds_read_b32 v82, v72
.LBB98_181:
	s_and_saveexec_b64 s[12:13], s[4:5]
	s_cbranch_execz .LBB98_185
; %bb.182:
	v_add_u32_e32 v83, -16, v0
	s_movk_i32 s14, 0xd0
	s_mov_b64 s[4:5], 0
.LBB98_183:                             ; =>This Inner Loop Header: Depth=1
	buffer_load_dword v84, v81, s[0:3], 0 offen
	v_mov_b32_e32 v85, s14
	ds_read_b32 v85, v85
	v_add_u32_e32 v83, -1, v83
	s_add_i32 s14, s14, 4
	v_cmp_eq_u32_e32 vcc, 0, v83
	v_add_u32_e32 v81, 4, v81
	s_or_b64 s[4:5], vcc, s[4:5]
	s_waitcnt vmcnt(0) lgkmcnt(0)
	v_fmac_f32_e32 v82, v84, v85
	s_andn2_b64 exec, exec, s[4:5]
	s_cbranch_execnz .LBB98_183
; %bb.184:
	s_or_b64 exec, exec, s[4:5]
.LBB98_185:
	s_or_b64 exec, exec, s[12:13]
	v_mov_b32_e32 v81, 0
	ds_read_b32 v81, v81 offset:60
	s_waitcnt lgkmcnt(0)
	v_mul_f32_e32 v81, v82, v81
	buffer_store_dword v81, off, s[0:3], 0 offset:60
.LBB98_186:
	s_or_b64 exec, exec, s[8:9]
	buffer_load_dword v81, off, s[0:3], 0 offset:56
	v_cmp_lt_u32_e64 s[4:5], 14, v0
	s_waitcnt vmcnt(0)
	ds_write_b32 v72, v81
	s_waitcnt lgkmcnt(0)
	; wave barrier
	s_waitcnt lgkmcnt(0)
	s_and_saveexec_b64 s[8:9], s[4:5]
	s_cbranch_execz .LBB98_196
; %bb.187:
	s_andn2_b64 vcc, exec, s[10:11]
	s_cbranch_vccnz .LBB98_189
; %bb.188:
	buffer_load_dword v81, v73, s[0:3], 0 offen
	ds_read_b32 v82, v72
	s_waitcnt vmcnt(0) lgkmcnt(0)
	v_mul_f32_e32 v81, v81, v82
	s_cbranch_execz .LBB98_190
	s_branch .LBB98_191
.LBB98_189:
                                        ; implicit-def: $vgpr81
.LBB98_190:
	ds_read_b32 v81, v72
.LBB98_191:
	s_and_saveexec_b64 s[12:13], s[6:7]
	s_cbranch_execz .LBB98_195
; %bb.192:
	v_mov_b32_e32 v82, 0
	v_add_u32_e32 v82, 60, v82
	v_add_u32_e32 v83, -15, v0
	s_movk_i32 s14, 0xcc
	s_mov_b64 s[6:7], 0
.LBB98_193:                             ; =>This Inner Loop Header: Depth=1
	buffer_load_dword v84, v82, s[0:3], 0 offen
	v_mov_b32_e32 v85, s14
	ds_read_b32 v85, v85
	v_add_u32_e32 v83, -1, v83
	s_add_i32 s14, s14, 4
	v_cmp_eq_u32_e32 vcc, 0, v83
	v_add_u32_e32 v82, 4, v82
	s_or_b64 s[6:7], vcc, s[6:7]
	s_waitcnt vmcnt(0) lgkmcnt(0)
	v_fmac_f32_e32 v81, v84, v85
	s_andn2_b64 exec, exec, s[6:7]
	s_cbranch_execnz .LBB98_193
; %bb.194:
	s_or_b64 exec, exec, s[6:7]
.LBB98_195:
	s_or_b64 exec, exec, s[12:13]
	v_mov_b32_e32 v82, 0
	ds_read_b32 v82, v82 offset:56
	s_waitcnt lgkmcnt(0)
	v_mul_f32_e32 v81, v81, v82
	buffer_store_dword v81, off, s[0:3], 0 offset:56
.LBB98_196:
	s_or_b64 exec, exec, s[8:9]
	buffer_load_dword v81, off, s[0:3], 0 offset:52
	v_cmp_lt_u32_e64 s[6:7], 13, v0
	s_waitcnt vmcnt(0)
	ds_write_b32 v72, v81
	s_waitcnt lgkmcnt(0)
	; wave barrier
	s_waitcnt lgkmcnt(0)
	s_and_saveexec_b64 s[8:9], s[6:7]
	s_cbranch_execz .LBB98_206
; %bb.197:
	s_andn2_b64 vcc, exec, s[10:11]
	s_cbranch_vccnz .LBB98_199
; %bb.198:
	buffer_load_dword v81, v73, s[0:3], 0 offen
	ds_read_b32 v82, v72
	s_waitcnt vmcnt(0) lgkmcnt(0)
	v_mul_f32_e32 v81, v81, v82
	s_cbranch_execz .LBB98_200
	s_branch .LBB98_201
.LBB98_199:
                                        ; implicit-def: $vgpr81
.LBB98_200:
	ds_read_b32 v81, v72
.LBB98_201:
	s_and_saveexec_b64 s[12:13], s[4:5]
	s_cbranch_execz .LBB98_205
; %bb.202:
	v_add_u32_e32 v82, -14, v0
	s_movk_i32 s14, 0xc8
	s_mov_b64 s[4:5], 0
.LBB98_203:                             ; =>This Inner Loop Header: Depth=1
	buffer_load_dword v83, v80, s[0:3], 0 offen
	v_mov_b32_e32 v84, s14
	ds_read_b32 v84, v84
	v_add_u32_e32 v82, -1, v82
	s_add_i32 s14, s14, 4
	v_cmp_eq_u32_e32 vcc, 0, v82
	v_add_u32_e32 v80, 4, v80
	s_or_b64 s[4:5], vcc, s[4:5]
	s_waitcnt vmcnt(0) lgkmcnt(0)
	v_fmac_f32_e32 v81, v83, v84
	s_andn2_b64 exec, exec, s[4:5]
	s_cbranch_execnz .LBB98_203
; %bb.204:
	s_or_b64 exec, exec, s[4:5]
.LBB98_205:
	s_or_b64 exec, exec, s[12:13]
	v_mov_b32_e32 v80, 0
	ds_read_b32 v80, v80 offset:52
	s_waitcnt lgkmcnt(0)
	v_mul_f32_e32 v80, v81, v80
	buffer_store_dword v80, off, s[0:3], 0 offset:52
.LBB98_206:
	s_or_b64 exec, exec, s[8:9]
	buffer_load_dword v80, off, s[0:3], 0 offset:48
	v_cmp_lt_u32_e64 s[4:5], 12, v0
	s_waitcnt vmcnt(0)
	ds_write_b32 v72, v80
	s_waitcnt lgkmcnt(0)
	; wave barrier
	s_waitcnt lgkmcnt(0)
	s_and_saveexec_b64 s[8:9], s[4:5]
	s_cbranch_execz .LBB98_216
; %bb.207:
	s_andn2_b64 vcc, exec, s[10:11]
	s_cbranch_vccnz .LBB98_209
; %bb.208:
	buffer_load_dword v80, v73, s[0:3], 0 offen
	ds_read_b32 v81, v72
	s_waitcnt vmcnt(0) lgkmcnt(0)
	v_mul_f32_e32 v80, v80, v81
	s_cbranch_execz .LBB98_210
	s_branch .LBB98_211
.LBB98_209:
                                        ; implicit-def: $vgpr80
.LBB98_210:
	ds_read_b32 v80, v72
.LBB98_211:
	s_and_saveexec_b64 s[12:13], s[6:7]
	s_cbranch_execz .LBB98_215
; %bb.212:
	v_mov_b32_e32 v81, 0
	v_add_u32_e32 v81, 52, v81
	v_add_u32_e32 v82, -13, v0
	s_movk_i32 s14, 0xc4
	s_mov_b64 s[6:7], 0
.LBB98_213:                             ; =>This Inner Loop Header: Depth=1
	buffer_load_dword v83, v81, s[0:3], 0 offen
	v_mov_b32_e32 v84, s14
	ds_read_b32 v84, v84
	v_add_u32_e32 v82, -1, v82
	s_add_i32 s14, s14, 4
	v_cmp_eq_u32_e32 vcc, 0, v82
	v_add_u32_e32 v81, 4, v81
	s_or_b64 s[6:7], vcc, s[6:7]
	s_waitcnt vmcnt(0) lgkmcnt(0)
	v_fmac_f32_e32 v80, v83, v84
	s_andn2_b64 exec, exec, s[6:7]
	s_cbranch_execnz .LBB98_213
; %bb.214:
	s_or_b64 exec, exec, s[6:7]
.LBB98_215:
	s_or_b64 exec, exec, s[12:13]
	v_mov_b32_e32 v81, 0
	ds_read_b32 v81, v81 offset:48
	s_waitcnt lgkmcnt(0)
	v_mul_f32_e32 v80, v80, v81
	buffer_store_dword v80, off, s[0:3], 0 offset:48
.LBB98_216:
	s_or_b64 exec, exec, s[8:9]
	buffer_load_dword v80, off, s[0:3], 0 offset:44
	v_cmp_lt_u32_e64 s[6:7], 11, v0
	s_waitcnt vmcnt(0)
	ds_write_b32 v72, v80
	s_waitcnt lgkmcnt(0)
	; wave barrier
	s_waitcnt lgkmcnt(0)
	s_and_saveexec_b64 s[8:9], s[6:7]
	s_cbranch_execz .LBB98_226
; %bb.217:
	s_andn2_b64 vcc, exec, s[10:11]
	s_cbranch_vccnz .LBB98_219
; %bb.218:
	buffer_load_dword v80, v73, s[0:3], 0 offen
	ds_read_b32 v81, v72
	s_waitcnt vmcnt(0) lgkmcnt(0)
	v_mul_f32_e32 v80, v80, v81
	s_cbranch_execz .LBB98_220
	s_branch .LBB98_221
.LBB98_219:
                                        ; implicit-def: $vgpr80
.LBB98_220:
	ds_read_b32 v80, v72
.LBB98_221:
	s_and_saveexec_b64 s[12:13], s[4:5]
	s_cbranch_execz .LBB98_225
; %bb.222:
	v_add_u32_e32 v81, -12, v0
	s_movk_i32 s14, 0xc0
	s_mov_b64 s[4:5], 0
.LBB98_223:                             ; =>This Inner Loop Header: Depth=1
	buffer_load_dword v82, v79, s[0:3], 0 offen
	v_mov_b32_e32 v83, s14
	ds_read_b32 v83, v83
	v_add_u32_e32 v81, -1, v81
	s_add_i32 s14, s14, 4
	v_cmp_eq_u32_e32 vcc, 0, v81
	v_add_u32_e32 v79, 4, v79
	s_or_b64 s[4:5], vcc, s[4:5]
	s_waitcnt vmcnt(0) lgkmcnt(0)
	v_fmac_f32_e32 v80, v82, v83
	s_andn2_b64 exec, exec, s[4:5]
	s_cbranch_execnz .LBB98_223
; %bb.224:
	s_or_b64 exec, exec, s[4:5]
.LBB98_225:
	s_or_b64 exec, exec, s[12:13]
	v_mov_b32_e32 v79, 0
	ds_read_b32 v79, v79 offset:44
	s_waitcnt lgkmcnt(0)
	v_mul_f32_e32 v79, v80, v79
	buffer_store_dword v79, off, s[0:3], 0 offset:44
.LBB98_226:
	s_or_b64 exec, exec, s[8:9]
	buffer_load_dword v79, off, s[0:3], 0 offset:40
	v_cmp_lt_u32_e64 s[4:5], 10, v0
	s_waitcnt vmcnt(0)
	ds_write_b32 v72, v79
	s_waitcnt lgkmcnt(0)
	; wave barrier
	s_waitcnt lgkmcnt(0)
	s_and_saveexec_b64 s[8:9], s[4:5]
	s_cbranch_execz .LBB98_236
; %bb.227:
	s_andn2_b64 vcc, exec, s[10:11]
	s_cbranch_vccnz .LBB98_229
; %bb.228:
	buffer_load_dword v79, v73, s[0:3], 0 offen
	ds_read_b32 v80, v72
	s_waitcnt vmcnt(0) lgkmcnt(0)
	v_mul_f32_e32 v79, v79, v80
	s_cbranch_execz .LBB98_230
	s_branch .LBB98_231
.LBB98_229:
                                        ; implicit-def: $vgpr79
.LBB98_230:
	ds_read_b32 v79, v72
.LBB98_231:
	s_and_saveexec_b64 s[12:13], s[6:7]
	s_cbranch_execz .LBB98_235
; %bb.232:
	v_mov_b32_e32 v80, 0
	v_add_u32_e32 v80, 44, v80
	v_add_u32_e32 v81, -11, v0
	s_movk_i32 s14, 0xbc
	s_mov_b64 s[6:7], 0
.LBB98_233:                             ; =>This Inner Loop Header: Depth=1
	buffer_load_dword v82, v80, s[0:3], 0 offen
	v_mov_b32_e32 v83, s14
	ds_read_b32 v83, v83
	v_add_u32_e32 v81, -1, v81
	s_add_i32 s14, s14, 4
	v_cmp_eq_u32_e32 vcc, 0, v81
	v_add_u32_e32 v80, 4, v80
	s_or_b64 s[6:7], vcc, s[6:7]
	s_waitcnt vmcnt(0) lgkmcnt(0)
	v_fmac_f32_e32 v79, v82, v83
	s_andn2_b64 exec, exec, s[6:7]
	s_cbranch_execnz .LBB98_233
; %bb.234:
	s_or_b64 exec, exec, s[6:7]
.LBB98_235:
	s_or_b64 exec, exec, s[12:13]
	v_mov_b32_e32 v80, 0
	ds_read_b32 v80, v80 offset:40
	s_waitcnt lgkmcnt(0)
	v_mul_f32_e32 v79, v79, v80
	buffer_store_dword v79, off, s[0:3], 0 offset:40
.LBB98_236:
	s_or_b64 exec, exec, s[8:9]
	buffer_load_dword v79, off, s[0:3], 0 offset:36
	v_cmp_lt_u32_e64 s[6:7], 9, v0
	s_waitcnt vmcnt(0)
	ds_write_b32 v72, v79
	s_waitcnt lgkmcnt(0)
	; wave barrier
	s_waitcnt lgkmcnt(0)
	s_and_saveexec_b64 s[8:9], s[6:7]
	s_cbranch_execz .LBB98_246
; %bb.237:
	s_andn2_b64 vcc, exec, s[10:11]
	s_cbranch_vccnz .LBB98_239
; %bb.238:
	buffer_load_dword v79, v73, s[0:3], 0 offen
	ds_read_b32 v80, v72
	s_waitcnt vmcnt(0) lgkmcnt(0)
	v_mul_f32_e32 v79, v79, v80
	s_cbranch_execz .LBB98_240
	s_branch .LBB98_241
.LBB98_239:
                                        ; implicit-def: $vgpr79
.LBB98_240:
	ds_read_b32 v79, v72
.LBB98_241:
	s_and_saveexec_b64 s[12:13], s[4:5]
	s_cbranch_execz .LBB98_245
; %bb.242:
	v_add_u32_e32 v80, -10, v0
	s_movk_i32 s14, 0xb8
	s_mov_b64 s[4:5], 0
.LBB98_243:                             ; =>This Inner Loop Header: Depth=1
	buffer_load_dword v81, v78, s[0:3], 0 offen
	v_mov_b32_e32 v82, s14
	ds_read_b32 v82, v82
	v_add_u32_e32 v80, -1, v80
	s_add_i32 s14, s14, 4
	v_cmp_eq_u32_e32 vcc, 0, v80
	v_add_u32_e32 v78, 4, v78
	s_or_b64 s[4:5], vcc, s[4:5]
	s_waitcnt vmcnt(0) lgkmcnt(0)
	v_fmac_f32_e32 v79, v81, v82
	s_andn2_b64 exec, exec, s[4:5]
	s_cbranch_execnz .LBB98_243
; %bb.244:
	s_or_b64 exec, exec, s[4:5]
.LBB98_245:
	s_or_b64 exec, exec, s[12:13]
	v_mov_b32_e32 v78, 0
	ds_read_b32 v78, v78 offset:36
	s_waitcnt lgkmcnt(0)
	v_mul_f32_e32 v78, v79, v78
	buffer_store_dword v78, off, s[0:3], 0 offset:36
.LBB98_246:
	s_or_b64 exec, exec, s[8:9]
	buffer_load_dword v78, off, s[0:3], 0 offset:32
	v_cmp_lt_u32_e64 s[4:5], 8, v0
	s_waitcnt vmcnt(0)
	ds_write_b32 v72, v78
	s_waitcnt lgkmcnt(0)
	; wave barrier
	s_waitcnt lgkmcnt(0)
	s_and_saveexec_b64 s[8:9], s[4:5]
	s_cbranch_execz .LBB98_256
; %bb.247:
	s_andn2_b64 vcc, exec, s[10:11]
	s_cbranch_vccnz .LBB98_249
; %bb.248:
	buffer_load_dword v78, v73, s[0:3], 0 offen
	ds_read_b32 v79, v72
	s_waitcnt vmcnt(0) lgkmcnt(0)
	v_mul_f32_e32 v78, v78, v79
	s_cbranch_execz .LBB98_250
	s_branch .LBB98_251
.LBB98_249:
                                        ; implicit-def: $vgpr78
.LBB98_250:
	ds_read_b32 v78, v72
.LBB98_251:
	s_and_saveexec_b64 s[12:13], s[6:7]
	s_cbranch_execz .LBB98_255
; %bb.252:
	v_mov_b32_e32 v79, 0
	v_add_u32_e32 v79, 36, v79
	v_add_u32_e32 v80, -9, v0
	s_movk_i32 s14, 0xb4
	s_mov_b64 s[6:7], 0
.LBB98_253:                             ; =>This Inner Loop Header: Depth=1
	buffer_load_dword v81, v79, s[0:3], 0 offen
	v_mov_b32_e32 v82, s14
	ds_read_b32 v82, v82
	v_add_u32_e32 v80, -1, v80
	s_add_i32 s14, s14, 4
	v_cmp_eq_u32_e32 vcc, 0, v80
	v_add_u32_e32 v79, 4, v79
	s_or_b64 s[6:7], vcc, s[6:7]
	s_waitcnt vmcnt(0) lgkmcnt(0)
	v_fmac_f32_e32 v78, v81, v82
	s_andn2_b64 exec, exec, s[6:7]
	s_cbranch_execnz .LBB98_253
; %bb.254:
	s_or_b64 exec, exec, s[6:7]
.LBB98_255:
	s_or_b64 exec, exec, s[12:13]
	v_mov_b32_e32 v79, 0
	ds_read_b32 v79, v79 offset:32
	s_waitcnt lgkmcnt(0)
	v_mul_f32_e32 v78, v78, v79
	buffer_store_dword v78, off, s[0:3], 0 offset:32
.LBB98_256:
	s_or_b64 exec, exec, s[8:9]
	buffer_load_dword v78, off, s[0:3], 0 offset:28
	v_cmp_lt_u32_e64 s[6:7], 7, v0
	s_waitcnt vmcnt(0)
	ds_write_b32 v72, v78
	s_waitcnt lgkmcnt(0)
	; wave barrier
	s_waitcnt lgkmcnt(0)
	s_and_saveexec_b64 s[8:9], s[6:7]
	s_cbranch_execz .LBB98_266
; %bb.257:
	s_andn2_b64 vcc, exec, s[10:11]
	s_cbranch_vccnz .LBB98_259
; %bb.258:
	buffer_load_dword v78, v73, s[0:3], 0 offen
	ds_read_b32 v79, v72
	s_waitcnt vmcnt(0) lgkmcnt(0)
	v_mul_f32_e32 v78, v78, v79
	s_cbranch_execz .LBB98_260
	s_branch .LBB98_261
.LBB98_259:
                                        ; implicit-def: $vgpr78
.LBB98_260:
	ds_read_b32 v78, v72
.LBB98_261:
	s_and_saveexec_b64 s[12:13], s[4:5]
	s_cbranch_execz .LBB98_265
; %bb.262:
	v_add_u32_e32 v79, -8, v0
	s_movk_i32 s14, 0xb0
	s_mov_b64 s[4:5], 0
.LBB98_263:                             ; =>This Inner Loop Header: Depth=1
	buffer_load_dword v80, v77, s[0:3], 0 offen
	v_mov_b32_e32 v81, s14
	ds_read_b32 v81, v81
	v_add_u32_e32 v79, -1, v79
	s_add_i32 s14, s14, 4
	v_cmp_eq_u32_e32 vcc, 0, v79
	v_add_u32_e32 v77, 4, v77
	s_or_b64 s[4:5], vcc, s[4:5]
	s_waitcnt vmcnt(0) lgkmcnt(0)
	v_fmac_f32_e32 v78, v80, v81
	s_andn2_b64 exec, exec, s[4:5]
	s_cbranch_execnz .LBB98_263
; %bb.264:
	s_or_b64 exec, exec, s[4:5]
.LBB98_265:
	s_or_b64 exec, exec, s[12:13]
	v_mov_b32_e32 v77, 0
	ds_read_b32 v77, v77 offset:28
	s_waitcnt lgkmcnt(0)
	v_mul_f32_e32 v77, v78, v77
	buffer_store_dword v77, off, s[0:3], 0 offset:28
.LBB98_266:
	s_or_b64 exec, exec, s[8:9]
	buffer_load_dword v77, off, s[0:3], 0 offset:24
	v_cmp_lt_u32_e64 s[4:5], 6, v0
	s_waitcnt vmcnt(0)
	ds_write_b32 v72, v77
	s_waitcnt lgkmcnt(0)
	; wave barrier
	s_waitcnt lgkmcnt(0)
	s_and_saveexec_b64 s[8:9], s[4:5]
	s_cbranch_execz .LBB98_276
; %bb.267:
	s_andn2_b64 vcc, exec, s[10:11]
	s_cbranch_vccnz .LBB98_269
; %bb.268:
	buffer_load_dword v77, v73, s[0:3], 0 offen
	ds_read_b32 v78, v72
	s_waitcnt vmcnt(0) lgkmcnt(0)
	v_mul_f32_e32 v77, v77, v78
	s_cbranch_execz .LBB98_270
	s_branch .LBB98_271
.LBB98_269:
                                        ; implicit-def: $vgpr77
.LBB98_270:
	ds_read_b32 v77, v72
.LBB98_271:
	s_and_saveexec_b64 s[12:13], s[6:7]
	s_cbranch_execz .LBB98_275
; %bb.272:
	v_mov_b32_e32 v78, 0
	v_add_u32_e32 v78, 28, v78
	v_add_u32_e32 v79, -7, v0
	s_movk_i32 s14, 0xac
	s_mov_b64 s[6:7], 0
.LBB98_273:                             ; =>This Inner Loop Header: Depth=1
	buffer_load_dword v80, v78, s[0:3], 0 offen
	v_mov_b32_e32 v81, s14
	ds_read_b32 v81, v81
	v_add_u32_e32 v79, -1, v79
	s_add_i32 s14, s14, 4
	v_cmp_eq_u32_e32 vcc, 0, v79
	v_add_u32_e32 v78, 4, v78
	s_or_b64 s[6:7], vcc, s[6:7]
	s_waitcnt vmcnt(0) lgkmcnt(0)
	v_fmac_f32_e32 v77, v80, v81
	s_andn2_b64 exec, exec, s[6:7]
	s_cbranch_execnz .LBB98_273
; %bb.274:
	s_or_b64 exec, exec, s[6:7]
.LBB98_275:
	s_or_b64 exec, exec, s[12:13]
	v_mov_b32_e32 v78, 0
	ds_read_b32 v78, v78 offset:24
	s_waitcnt lgkmcnt(0)
	v_mul_f32_e32 v77, v77, v78
	buffer_store_dword v77, off, s[0:3], 0 offset:24
.LBB98_276:
	s_or_b64 exec, exec, s[8:9]
	buffer_load_dword v77, off, s[0:3], 0 offset:20
	v_cmp_lt_u32_e64 s[6:7], 5, v0
	s_waitcnt vmcnt(0)
	ds_write_b32 v72, v77
	s_waitcnt lgkmcnt(0)
	; wave barrier
	s_waitcnt lgkmcnt(0)
	s_and_saveexec_b64 s[8:9], s[6:7]
	s_cbranch_execz .LBB98_286
; %bb.277:
	s_andn2_b64 vcc, exec, s[10:11]
	s_cbranch_vccnz .LBB98_279
; %bb.278:
	buffer_load_dword v77, v73, s[0:3], 0 offen
	ds_read_b32 v78, v72
	s_waitcnt vmcnt(0) lgkmcnt(0)
	v_mul_f32_e32 v77, v77, v78
	s_cbranch_execz .LBB98_280
	s_branch .LBB98_281
.LBB98_279:
                                        ; implicit-def: $vgpr77
.LBB98_280:
	ds_read_b32 v77, v72
.LBB98_281:
	s_and_saveexec_b64 s[12:13], s[4:5]
	s_cbranch_execz .LBB98_285
; %bb.282:
	v_add_u32_e32 v78, -6, v0
	s_movk_i32 s14, 0xa8
	s_mov_b64 s[4:5], 0
.LBB98_283:                             ; =>This Inner Loop Header: Depth=1
	buffer_load_dword v79, v76, s[0:3], 0 offen
	v_mov_b32_e32 v80, s14
	ds_read_b32 v80, v80
	v_add_u32_e32 v78, -1, v78
	s_add_i32 s14, s14, 4
	v_cmp_eq_u32_e32 vcc, 0, v78
	v_add_u32_e32 v76, 4, v76
	s_or_b64 s[4:5], vcc, s[4:5]
	s_waitcnt vmcnt(0) lgkmcnt(0)
	v_fmac_f32_e32 v77, v79, v80
	s_andn2_b64 exec, exec, s[4:5]
	s_cbranch_execnz .LBB98_283
; %bb.284:
	s_or_b64 exec, exec, s[4:5]
.LBB98_285:
	s_or_b64 exec, exec, s[12:13]
	v_mov_b32_e32 v76, 0
	ds_read_b32 v76, v76 offset:20
	s_waitcnt lgkmcnt(0)
	v_mul_f32_e32 v76, v77, v76
	buffer_store_dword v76, off, s[0:3], 0 offset:20
.LBB98_286:
	s_or_b64 exec, exec, s[8:9]
	buffer_load_dword v76, off, s[0:3], 0 offset:16
	v_cmp_lt_u32_e64 s[4:5], 4, v0
	s_waitcnt vmcnt(0)
	ds_write_b32 v72, v76
	s_waitcnt lgkmcnt(0)
	; wave barrier
	s_waitcnt lgkmcnt(0)
	s_and_saveexec_b64 s[8:9], s[4:5]
	s_cbranch_execz .LBB98_296
; %bb.287:
	s_andn2_b64 vcc, exec, s[10:11]
	s_cbranch_vccnz .LBB98_289
; %bb.288:
	buffer_load_dword v76, v73, s[0:3], 0 offen
	ds_read_b32 v77, v72
	s_waitcnt vmcnt(0) lgkmcnt(0)
	v_mul_f32_e32 v76, v76, v77
	s_cbranch_execz .LBB98_290
	s_branch .LBB98_291
.LBB98_289:
                                        ; implicit-def: $vgpr76
.LBB98_290:
	ds_read_b32 v76, v72
.LBB98_291:
	s_and_saveexec_b64 s[12:13], s[6:7]
	s_cbranch_execz .LBB98_295
; %bb.292:
	v_mov_b32_e32 v77, 0
	v_add_u32_e32 v77, 20, v77
	v_add_u32_e32 v78, -5, v0
	s_movk_i32 s14, 0xa4
	s_mov_b64 s[6:7], 0
.LBB98_293:                             ; =>This Inner Loop Header: Depth=1
	buffer_load_dword v79, v77, s[0:3], 0 offen
	v_mov_b32_e32 v80, s14
	ds_read_b32 v80, v80
	v_add_u32_e32 v78, -1, v78
	s_add_i32 s14, s14, 4
	v_cmp_eq_u32_e32 vcc, 0, v78
	v_add_u32_e32 v77, 4, v77
	s_or_b64 s[6:7], vcc, s[6:7]
	s_waitcnt vmcnt(0) lgkmcnt(0)
	v_fmac_f32_e32 v76, v79, v80
	s_andn2_b64 exec, exec, s[6:7]
	s_cbranch_execnz .LBB98_293
; %bb.294:
	s_or_b64 exec, exec, s[6:7]
.LBB98_295:
	s_or_b64 exec, exec, s[12:13]
	v_mov_b32_e32 v77, 0
	ds_read_b32 v77, v77 offset:16
	s_waitcnt lgkmcnt(0)
	v_mul_f32_e32 v76, v76, v77
	buffer_store_dword v76, off, s[0:3], 0 offset:16
.LBB98_296:
	s_or_b64 exec, exec, s[8:9]
	buffer_load_dword v76, off, s[0:3], 0 offset:12
	v_cmp_lt_u32_e64 s[6:7], 3, v0
	s_waitcnt vmcnt(0)
	ds_write_b32 v72, v76
	s_waitcnt lgkmcnt(0)
	; wave barrier
	s_waitcnt lgkmcnt(0)
	s_and_saveexec_b64 s[8:9], s[6:7]
	s_cbranch_execz .LBB98_306
; %bb.297:
	s_andn2_b64 vcc, exec, s[10:11]
	s_cbranch_vccnz .LBB98_299
; %bb.298:
	buffer_load_dword v76, v73, s[0:3], 0 offen
	ds_read_b32 v77, v72
	s_waitcnt vmcnt(0) lgkmcnt(0)
	v_mul_f32_e32 v76, v76, v77
	s_cbranch_execz .LBB98_300
	s_branch .LBB98_301
.LBB98_299:
                                        ; implicit-def: $vgpr76
.LBB98_300:
	ds_read_b32 v76, v72
.LBB98_301:
	s_and_saveexec_b64 s[12:13], s[4:5]
	s_cbranch_execz .LBB98_305
; %bb.302:
	v_add_u32_e32 v77, -4, v0
	s_movk_i32 s14, 0xa0
	s_mov_b64 s[4:5], 0
.LBB98_303:                             ; =>This Inner Loop Header: Depth=1
	buffer_load_dword v78, v75, s[0:3], 0 offen
	v_mov_b32_e32 v79, s14
	ds_read_b32 v79, v79
	v_add_u32_e32 v77, -1, v77
	s_add_i32 s14, s14, 4
	v_cmp_eq_u32_e32 vcc, 0, v77
	v_add_u32_e32 v75, 4, v75
	s_or_b64 s[4:5], vcc, s[4:5]
	s_waitcnt vmcnt(0) lgkmcnt(0)
	v_fmac_f32_e32 v76, v78, v79
	s_andn2_b64 exec, exec, s[4:5]
	s_cbranch_execnz .LBB98_303
; %bb.304:
	s_or_b64 exec, exec, s[4:5]
.LBB98_305:
	s_or_b64 exec, exec, s[12:13]
	v_mov_b32_e32 v75, 0
	ds_read_b32 v75, v75 offset:12
	s_waitcnt lgkmcnt(0)
	v_mul_f32_e32 v75, v76, v75
	buffer_store_dword v75, off, s[0:3], 0 offset:12
.LBB98_306:
	s_or_b64 exec, exec, s[8:9]
	buffer_load_dword v75, off, s[0:3], 0 offset:8
	v_cmp_lt_u32_e64 s[4:5], 2, v0
	s_waitcnt vmcnt(0)
	ds_write_b32 v72, v75
	s_waitcnt lgkmcnt(0)
	; wave barrier
	s_waitcnt lgkmcnt(0)
	s_and_saveexec_b64 s[8:9], s[4:5]
	s_cbranch_execz .LBB98_316
; %bb.307:
	s_andn2_b64 vcc, exec, s[10:11]
	s_cbranch_vccnz .LBB98_309
; %bb.308:
	buffer_load_dword v75, v73, s[0:3], 0 offen
	ds_read_b32 v76, v72
	s_waitcnt vmcnt(0) lgkmcnt(0)
	v_mul_f32_e32 v75, v75, v76
	s_cbranch_execz .LBB98_310
	s_branch .LBB98_311
.LBB98_309:
                                        ; implicit-def: $vgpr75
.LBB98_310:
	ds_read_b32 v75, v72
.LBB98_311:
	s_and_saveexec_b64 s[12:13], s[6:7]
	s_cbranch_execz .LBB98_315
; %bb.312:
	v_mov_b32_e32 v76, 0
	v_or_b32_e32 v76, 12, v76
	v_add_u32_e32 v77, -3, v0
	s_movk_i32 s14, 0x9c
	s_mov_b64 s[6:7], 0
.LBB98_313:                             ; =>This Inner Loop Header: Depth=1
	buffer_load_dword v78, v76, s[0:3], 0 offen
	v_mov_b32_e32 v79, s14
	ds_read_b32 v79, v79
	v_add_u32_e32 v77, -1, v77
	s_add_i32 s14, s14, 4
	v_cmp_eq_u32_e32 vcc, 0, v77
	v_add_u32_e32 v76, 4, v76
	s_or_b64 s[6:7], vcc, s[6:7]
	s_waitcnt vmcnt(0) lgkmcnt(0)
	v_fmac_f32_e32 v75, v78, v79
	s_andn2_b64 exec, exec, s[6:7]
	s_cbranch_execnz .LBB98_313
; %bb.314:
	s_or_b64 exec, exec, s[6:7]
.LBB98_315:
	s_or_b64 exec, exec, s[12:13]
	v_mov_b32_e32 v76, 0
	ds_read_b32 v76, v76 offset:8
	s_waitcnt lgkmcnt(0)
	v_mul_f32_e32 v75, v75, v76
	buffer_store_dword v75, off, s[0:3], 0 offset:8
.LBB98_316:
	s_or_b64 exec, exec, s[8:9]
	buffer_load_dword v75, off, s[0:3], 0 offset:4
	v_cmp_lt_u32_e64 s[6:7], 1, v0
	s_waitcnt vmcnt(0)
	ds_write_b32 v72, v75
	s_waitcnt lgkmcnt(0)
	; wave barrier
	s_waitcnt lgkmcnt(0)
	s_and_saveexec_b64 s[8:9], s[6:7]
	s_cbranch_execz .LBB98_326
; %bb.317:
	s_andn2_b64 vcc, exec, s[10:11]
	s_cbranch_vccnz .LBB98_319
; %bb.318:
	buffer_load_dword v75, v73, s[0:3], 0 offen
	ds_read_b32 v76, v72
	s_waitcnt vmcnt(0) lgkmcnt(0)
	v_mul_f32_e32 v75, v75, v76
	s_cbranch_execz .LBB98_320
	s_branch .LBB98_321
.LBB98_319:
                                        ; implicit-def: $vgpr75
.LBB98_320:
	ds_read_b32 v75, v72
.LBB98_321:
	s_and_saveexec_b64 s[12:13], s[4:5]
	s_cbranch_execz .LBB98_325
; %bb.322:
	v_add_u32_e32 v76, -2, v0
	s_movk_i32 s14, 0x98
	s_mov_b64 s[4:5], 0
.LBB98_323:                             ; =>This Inner Loop Header: Depth=1
	buffer_load_dword v77, v74, s[0:3], 0 offen
	v_mov_b32_e32 v78, s14
	ds_read_b32 v78, v78
	v_add_u32_e32 v76, -1, v76
	s_add_i32 s14, s14, 4
	v_cmp_eq_u32_e32 vcc, 0, v76
	v_add_u32_e32 v74, 4, v74
	s_or_b64 s[4:5], vcc, s[4:5]
	s_waitcnt vmcnt(0) lgkmcnt(0)
	v_fmac_f32_e32 v75, v77, v78
	s_andn2_b64 exec, exec, s[4:5]
	s_cbranch_execnz .LBB98_323
; %bb.324:
	s_or_b64 exec, exec, s[4:5]
.LBB98_325:
	s_or_b64 exec, exec, s[12:13]
	v_mov_b32_e32 v74, 0
	ds_read_b32 v74, v74 offset:4
	s_waitcnt lgkmcnt(0)
	v_mul_f32_e32 v74, v75, v74
	buffer_store_dword v74, off, s[0:3], 0 offset:4
.LBB98_326:
	s_or_b64 exec, exec, s[8:9]
	buffer_load_dword v74, off, s[0:3], 0
	v_cmp_ne_u32_e32 vcc, 0, v0
	s_waitcnt vmcnt(0)
	ds_write_b32 v72, v74
	s_waitcnt lgkmcnt(0)
	; wave barrier
	s_waitcnt lgkmcnt(0)
	s_and_saveexec_b64 s[4:5], vcc
	s_cbranch_execz .LBB98_336
; %bb.327:
	s_andn2_b64 vcc, exec, s[10:11]
	s_cbranch_vccnz .LBB98_329
; %bb.328:
	buffer_load_dword v74, v73, s[0:3], 0 offen
	ds_read_b32 v75, v72
	s_waitcnt vmcnt(0) lgkmcnt(0)
	v_mul_f32_e32 v74, v74, v75
	s_cbranch_execz .LBB98_330
	s_branch .LBB98_331
.LBB98_329:
                                        ; implicit-def: $vgpr74
.LBB98_330:
	ds_read_b32 v74, v72
.LBB98_331:
	s_and_saveexec_b64 s[8:9], s[6:7]
	s_cbranch_execz .LBB98_335
; %bb.332:
	v_mov_b32_e32 v75, 0
	v_or_b32_e32 v75, 4, v75
	v_add_u32_e32 v76, -1, v0
	s_movk_i32 s12, 0x94
	s_mov_b64 s[6:7], 0
.LBB98_333:                             ; =>This Inner Loop Header: Depth=1
	buffer_load_dword v77, v75, s[0:3], 0 offen
	v_mov_b32_e32 v78, s12
	ds_read_b32 v78, v78
	v_add_u32_e32 v76, -1, v76
	s_add_i32 s12, s12, 4
	v_cmp_eq_u32_e32 vcc, 0, v76
	v_add_u32_e32 v75, 4, v75
	s_or_b64 s[6:7], vcc, s[6:7]
	s_waitcnt vmcnt(0) lgkmcnt(0)
	v_fmac_f32_e32 v74, v77, v78
	s_andn2_b64 exec, exec, s[6:7]
	s_cbranch_execnz .LBB98_333
; %bb.334:
	s_or_b64 exec, exec, s[6:7]
.LBB98_335:
	s_or_b64 exec, exec, s[8:9]
	v_mov_b32_e32 v75, 0
	ds_read_b32 v75, v75
	s_waitcnt lgkmcnt(0)
	v_mul_f32_e32 v74, v74, v75
	buffer_store_dword v74, off, s[0:3], 0
.LBB98_336:
	s_or_b64 exec, exec, s[4:5]
	s_mov_b64 s[4:5], 0
.LBB98_337:
	s_and_b64 vcc, exec, s[4:5]
	s_cbranch_vccz .LBB98_671
; %bb.338:
	buffer_load_dword v74, off, s[0:3], 0 offset:4
	v_cmp_eq_u32_e64 s[6:7], 0, v0
	s_waitcnt vmcnt(0)
	ds_write_b32 v72, v74
	s_waitcnt lgkmcnt(0)
	; wave barrier
	s_waitcnt lgkmcnt(0)
	s_and_saveexec_b64 s[4:5], s[6:7]
	s_cbranch_execz .LBB98_344
; %bb.339:
	s_and_b64 vcc, exec, s[10:11]
	s_cbranch_vccz .LBB98_341
; %bb.340:
	buffer_load_dword v74, v73, s[0:3], 0 offen
	ds_read_b32 v75, v72
	s_waitcnt vmcnt(0) lgkmcnt(0)
	v_mul_f32_e32 v74, v74, v75
	s_cbranch_execz .LBB98_342
	s_branch .LBB98_343
.LBB98_341:
                                        ; implicit-def: $vgpr74
.LBB98_342:
	ds_read_b32 v74, v72
.LBB98_343:
	v_mov_b32_e32 v75, 0
	ds_read_b32 v75, v75 offset:4
	s_waitcnt lgkmcnt(0)
	v_mul_f32_e32 v74, v74, v75
	buffer_store_dword v74, off, s[0:3], 0 offset:4
.LBB98_344:
	s_or_b64 exec, exec, s[4:5]
	buffer_load_dword v74, off, s[0:3], 0 offset:8
	v_cndmask_b32_e64 v75, 0, 1, s[10:11]
	v_cmp_gt_u32_e32 vcc, 2, v0
	v_cmp_ne_u32_e64 s[4:5], 1, v75
	s_waitcnt vmcnt(0)
	ds_write_b32 v72, v74
	s_waitcnt lgkmcnt(0)
	; wave barrier
	s_waitcnt lgkmcnt(0)
	s_and_saveexec_b64 s[8:9], vcc
	s_cbranch_execz .LBB98_352
; %bb.345:
	s_and_b64 vcc, exec, s[4:5]
	s_cbranch_vccnz .LBB98_347
; %bb.346:
	buffer_load_dword v74, v73, s[0:3], 0 offen
	ds_read_b32 v75, v72
	s_waitcnt vmcnt(0) lgkmcnt(0)
	v_mul_f32_e32 v74, v74, v75
	s_cbranch_execz .LBB98_348
	s_branch .LBB98_349
.LBB98_347:
                                        ; implicit-def: $vgpr74
.LBB98_348:
	ds_read_b32 v74, v72
.LBB98_349:
	s_and_saveexec_b64 s[10:11], s[6:7]
	s_cbranch_execz .LBB98_351
; %bb.350:
	buffer_load_dword v75, v73, s[0:3], 0 offen offset:4
	ds_read_b32 v76, v72 offset:4
	s_waitcnt vmcnt(0) lgkmcnt(0)
	v_fmac_f32_e32 v74, v75, v76
.LBB98_351:
	s_or_b64 exec, exec, s[10:11]
	v_mov_b32_e32 v75, 0
	ds_read_b32 v75, v75 offset:8
	s_waitcnt lgkmcnt(0)
	v_mul_f32_e32 v74, v74, v75
	buffer_store_dword v74, off, s[0:3], 0 offset:8
.LBB98_352:
	s_or_b64 exec, exec, s[8:9]
	buffer_load_dword v74, off, s[0:3], 0 offset:12
	v_cmp_gt_u32_e32 vcc, 3, v0
	s_waitcnt vmcnt(0)
	ds_write_b32 v72, v74
	s_waitcnt lgkmcnt(0)
	; wave barrier
	s_waitcnt lgkmcnt(0)
	s_and_saveexec_b64 s[8:9], vcc
	s_cbranch_execz .LBB98_360
; %bb.353:
	s_and_b64 vcc, exec, s[4:5]
	s_cbranch_vccnz .LBB98_355
; %bb.354:
	buffer_load_dword v74, v73, s[0:3], 0 offen
	ds_read_b32 v75, v72
	s_waitcnt vmcnt(0) lgkmcnt(0)
	v_mul_f32_e32 v74, v74, v75
	s_cbranch_execz .LBB98_356
	s_branch .LBB98_357
.LBB98_355:
                                        ; implicit-def: $vgpr74
.LBB98_356:
	ds_read_b32 v74, v72
.LBB98_357:
	v_cmp_ne_u32_e32 vcc, 2, v0
	s_and_saveexec_b64 s[10:11], vcc
	s_cbranch_execz .LBB98_359
; %bb.358:
	buffer_load_dword v75, v73, s[0:3], 0 offen offset:4
	buffer_load_dword v76, off, s[0:3], 0 offset:8
	v_mov_b32_e32 v77, 0
	ds_read_b32 v78, v72 offset:4
	ds_read_b32 v77, v77 offset:152
	s_waitcnt vmcnt(1) lgkmcnt(1)
	v_fmac_f32_e32 v74, v75, v78
	s_waitcnt vmcnt(0) lgkmcnt(0)
	v_fma_f32 v75, v76, v77, v74
	v_cndmask_b32_e64 v74, v74, v75, s[6:7]
.LBB98_359:
	s_or_b64 exec, exec, s[10:11]
	v_mov_b32_e32 v75, 0
	ds_read_b32 v75, v75 offset:12
	s_waitcnt lgkmcnt(0)
	v_mul_f32_e32 v74, v74, v75
	buffer_store_dword v74, off, s[0:3], 0 offset:12
.LBB98_360:
	s_or_b64 exec, exec, s[8:9]
	buffer_load_dword v74, off, s[0:3], 0 offset:16
	v_cmp_gt_u32_e32 vcc, 4, v0
	s_waitcnt vmcnt(0)
	ds_write_b32 v72, v74
	s_waitcnt lgkmcnt(0)
	; wave barrier
	s_waitcnt lgkmcnt(0)
	s_and_saveexec_b64 s[6:7], vcc
	s_cbranch_execz .LBB98_370
; %bb.361:
	s_and_b64 vcc, exec, s[4:5]
	s_cbranch_vccnz .LBB98_363
; %bb.362:
	buffer_load_dword v74, v73, s[0:3], 0 offen
	ds_read_b32 v75, v72
	s_waitcnt vmcnt(0) lgkmcnt(0)
	v_mul_f32_e32 v74, v74, v75
	s_cbranch_execz .LBB98_364
	s_branch .LBB98_365
.LBB98_363:
                                        ; implicit-def: $vgpr74
.LBB98_364:
	ds_read_b32 v74, v72
.LBB98_365:
	v_cmp_ne_u32_e32 vcc, 3, v0
	s_and_saveexec_b64 s[8:9], vcc
	s_cbranch_execz .LBB98_369
; %bb.366:
	v_mov_b32_e32 v76, 0
	v_add_u32_e32 v75, 0x94, v1
	v_add3_u32 v76, v1, v76, 4
	s_mov_b64 s[10:11], 0
	v_mov_b32_e32 v77, v0
.LBB98_367:                             ; =>This Inner Loop Header: Depth=1
	buffer_load_dword v78, v76, s[0:3], 0 offen
	ds_read_b32 v79, v75
	v_add_u32_e32 v77, 1, v77
	v_cmp_lt_u32_e32 vcc, 2, v77
	v_add_u32_e32 v75, 4, v75
	v_add_u32_e32 v76, 4, v76
	s_or_b64 s[10:11], vcc, s[10:11]
	s_waitcnt vmcnt(0) lgkmcnt(0)
	v_fmac_f32_e32 v74, v78, v79
	s_andn2_b64 exec, exec, s[10:11]
	s_cbranch_execnz .LBB98_367
; %bb.368:
	s_or_b64 exec, exec, s[10:11]
.LBB98_369:
	s_or_b64 exec, exec, s[8:9]
	v_mov_b32_e32 v75, 0
	ds_read_b32 v75, v75 offset:16
	s_waitcnt lgkmcnt(0)
	v_mul_f32_e32 v74, v74, v75
	buffer_store_dword v74, off, s[0:3], 0 offset:16
.LBB98_370:
	s_or_b64 exec, exec, s[6:7]
	buffer_load_dword v74, off, s[0:3], 0 offset:20
	v_cmp_gt_u32_e32 vcc, 5, v0
	s_waitcnt vmcnt(0)
	ds_write_b32 v72, v74
	s_waitcnt lgkmcnt(0)
	; wave barrier
	s_waitcnt lgkmcnt(0)
	s_and_saveexec_b64 s[6:7], vcc
	s_cbranch_execz .LBB98_380
; %bb.371:
	s_and_b64 vcc, exec, s[4:5]
	s_cbranch_vccnz .LBB98_373
; %bb.372:
	buffer_load_dword v74, v73, s[0:3], 0 offen
	ds_read_b32 v75, v72
	s_waitcnt vmcnt(0) lgkmcnt(0)
	v_mul_f32_e32 v74, v74, v75
	s_cbranch_execz .LBB98_374
	s_branch .LBB98_375
.LBB98_373:
                                        ; implicit-def: $vgpr74
.LBB98_374:
	ds_read_b32 v74, v72
.LBB98_375:
	v_cmp_ne_u32_e32 vcc, 4, v0
	s_and_saveexec_b64 s[8:9], vcc
	s_cbranch_execz .LBB98_379
; %bb.376:
	v_mov_b32_e32 v76, 0
	v_add_u32_e32 v75, 0x94, v1
	v_add3_u32 v76, v1, v76, 4
	s_mov_b64 s[10:11], 0
	v_mov_b32_e32 v77, v0
.LBB98_377:                             ; =>This Inner Loop Header: Depth=1
	buffer_load_dword v78, v76, s[0:3], 0 offen
	ds_read_b32 v79, v75
	v_add_u32_e32 v77, 1, v77
	v_cmp_lt_u32_e32 vcc, 3, v77
	v_add_u32_e32 v75, 4, v75
	v_add_u32_e32 v76, 4, v76
	s_or_b64 s[10:11], vcc, s[10:11]
	s_waitcnt vmcnt(0) lgkmcnt(0)
	v_fmac_f32_e32 v74, v78, v79
	s_andn2_b64 exec, exec, s[10:11]
	s_cbranch_execnz .LBB98_377
; %bb.378:
	s_or_b64 exec, exec, s[10:11]
.LBB98_379:
	s_or_b64 exec, exec, s[8:9]
	v_mov_b32_e32 v75, 0
	ds_read_b32 v75, v75 offset:20
	s_waitcnt lgkmcnt(0)
	v_mul_f32_e32 v74, v74, v75
	buffer_store_dword v74, off, s[0:3], 0 offset:20
.LBB98_380:
	;; [unrolled: 56-line block ×29, first 2 shown]
	s_or_b64 exec, exec, s[6:7]
	buffer_load_dword v74, off, s[0:3], 0 offset:132
	v_cmp_gt_u32_e64 s[6:7], 33, v0
	s_waitcnt vmcnt(0)
	ds_write_b32 v72, v74
	s_waitcnt lgkmcnt(0)
	; wave barrier
	s_waitcnt lgkmcnt(0)
	s_and_saveexec_b64 s[8:9], s[6:7]
	s_cbranch_execz .LBB98_660
; %bb.651:
	s_and_b64 vcc, exec, s[4:5]
	s_cbranch_vccnz .LBB98_653
; %bb.652:
	buffer_load_dword v74, v73, s[0:3], 0 offen
	ds_read_b32 v75, v72
	s_waitcnt vmcnt(0) lgkmcnt(0)
	v_mul_f32_e32 v74, v74, v75
	s_cbranch_execz .LBB98_654
	s_branch .LBB98_655
.LBB98_653:
                                        ; implicit-def: $vgpr74
.LBB98_654:
	ds_read_b32 v74, v72
.LBB98_655:
	v_cmp_ne_u32_e32 vcc, 32, v0
	s_and_saveexec_b64 s[10:11], vcc
	s_cbranch_execz .LBB98_659
; %bb.656:
	v_mov_b32_e32 v76, 0
	v_add_u32_e32 v75, 0x94, v1
	v_add3_u32 v76, v1, v76, 4
	s_mov_b64 s[12:13], 0
	v_mov_b32_e32 v77, v0
.LBB98_657:                             ; =>This Inner Loop Header: Depth=1
	buffer_load_dword v78, v76, s[0:3], 0 offen
	ds_read_b32 v79, v75
	v_add_u32_e32 v77, 1, v77
	v_cmp_lt_u32_e32 vcc, 31, v77
	v_add_u32_e32 v75, 4, v75
	v_add_u32_e32 v76, 4, v76
	s_or_b64 s[12:13], vcc, s[12:13]
	s_waitcnt vmcnt(0) lgkmcnt(0)
	v_fmac_f32_e32 v74, v78, v79
	s_andn2_b64 exec, exec, s[12:13]
	s_cbranch_execnz .LBB98_657
; %bb.658:
	s_or_b64 exec, exec, s[12:13]
.LBB98_659:
	s_or_b64 exec, exec, s[10:11]
	v_mov_b32_e32 v75, 0
	ds_read_b32 v75, v75 offset:132
	s_waitcnt lgkmcnt(0)
	v_mul_f32_e32 v74, v74, v75
	buffer_store_dword v74, off, s[0:3], 0 offset:132
.LBB98_660:
	s_or_b64 exec, exec, s[8:9]
	buffer_load_dword v74, off, s[0:3], 0 offset:136
	v_cmp_ne_u32_e32 vcc, 34, v0
	s_waitcnt vmcnt(0)
	ds_write_b32 v72, v74
	s_waitcnt lgkmcnt(0)
	; wave barrier
	s_waitcnt lgkmcnt(0)
	s_and_saveexec_b64 s[8:9], vcc
	s_cbranch_execz .LBB98_670
; %bb.661:
	s_and_b64 vcc, exec, s[4:5]
	s_cbranch_vccnz .LBB98_663
; %bb.662:
	buffer_load_dword v73, v73, s[0:3], 0 offen
	ds_read_b32 v74, v72
	s_waitcnt vmcnt(0) lgkmcnt(0)
	v_mul_f32_e32 v73, v73, v74
	s_cbranch_execz .LBB98_664
	s_branch .LBB98_665
.LBB98_663:
                                        ; implicit-def: $vgpr73
.LBB98_664:
	ds_read_b32 v73, v72
.LBB98_665:
	s_and_saveexec_b64 s[4:5], s[6:7]
	s_cbranch_execz .LBB98_669
; %bb.666:
	v_mov_b32_e32 v74, 0
	v_add_u32_e32 v72, 0x94, v1
	v_add3_u32 v1, v1, v74, 4
	s_mov_b64 s[6:7], 0
.LBB98_667:                             ; =>This Inner Loop Header: Depth=1
	buffer_load_dword v74, v1, s[0:3], 0 offen
	ds_read_b32 v75, v72
	v_add_u32_e32 v0, 1, v0
	v_cmp_lt_u32_e32 vcc, 32, v0
	v_add_u32_e32 v72, 4, v72
	v_add_u32_e32 v1, 4, v1
	s_or_b64 s[6:7], vcc, s[6:7]
	s_waitcnt vmcnt(0) lgkmcnt(0)
	v_fmac_f32_e32 v73, v74, v75
	s_andn2_b64 exec, exec, s[6:7]
	s_cbranch_execnz .LBB98_667
; %bb.668:
	s_or_b64 exec, exec, s[6:7]
.LBB98_669:
	s_or_b64 exec, exec, s[4:5]
	v_mov_b32_e32 v0, 0
	ds_read_b32 v0, v0 offset:136
	s_waitcnt lgkmcnt(0)
	v_mul_f32_e32 v0, v73, v0
	buffer_store_dword v0, off, s[0:3], 0 offset:136
.LBB98_670:
	s_or_b64 exec, exec, s[8:9]
.LBB98_671:
	buffer_load_dword v0, off, s[0:3], 0
	buffer_load_dword v1, off, s[0:3], 0 offset:4
	buffer_load_dword v72, off, s[0:3], 0 offset:8
	;; [unrolled: 1-line block ×15, first 2 shown]
	s_waitcnt vmcnt(15)
	global_store_dword v[56:57], v0, off
	buffer_load_dword v0, off, s[0:3], 0 offset:64
	s_nop 0
	buffer_load_dword v56, off, s[0:3], 0 offset:68
	buffer_load_dword v57, off, s[0:3], 0 offset:72
	;; [unrolled: 1-line block ×7, first 2 shown]
	s_waitcnt vmcnt(23)
	global_store_dword v[50:51], v1, off
	s_waitcnt vmcnt(23)
	global_store_dword v[2:3], v72, off
	;; [unrolled: 2-line block ×3, first 2 shown]
	buffer_load_dword v1, off, s[0:3], 0 offset:96
	buffer_load_dword v2, off, s[0:3], 0 offset:100
	;; [unrolled: 1-line block ×3, first 2 shown]
	s_nop 0
	buffer_load_dword v6, off, s[0:3], 0 offset:108
	buffer_load_dword v7, off, s[0:3], 0 offset:112
	;; [unrolled: 1-line block ×5, first 2 shown]
	s_waitcnt vmcnt(31)
	global_store_dword v[4:5], v74, off
	buffer_load_dword v4, off, s[0:3], 0 offset:128
	s_nop 0
	buffer_load_dword v5, off, s[0:3], 0 offset:132
	buffer_load_dword v73, off, s[0:3], 0 offset:136
	s_waitcnt vmcnt(34)
	global_store_dword v[8:9], v75, off
	s_waitcnt vmcnt(34)
	global_store_dword v[10:11], v76, off
	;; [unrolled: 2-line block ×30, first 2 shown]
.LBB98_672:
	s_endpgm
	.section	.rodata,"a",@progbits
	.p2align	6, 0x0
	.amdhsa_kernel _ZN9rocsolver6v33100L18trti2_kernel_smallILi35EfPKPfEEv13rocblas_fill_17rocblas_diagonal_T1_iil
		.amdhsa_group_segment_fixed_size 284
		.amdhsa_private_segment_fixed_size 144
		.amdhsa_kernarg_size 32
		.amdhsa_user_sgpr_count 8
		.amdhsa_user_sgpr_private_segment_buffer 1
		.amdhsa_user_sgpr_dispatch_ptr 0
		.amdhsa_user_sgpr_queue_ptr 0
		.amdhsa_user_sgpr_kernarg_segment_ptr 1
		.amdhsa_user_sgpr_dispatch_id 0
		.amdhsa_user_sgpr_flat_scratch_init 1
		.amdhsa_user_sgpr_kernarg_preload_length 0
		.amdhsa_user_sgpr_kernarg_preload_offset 0
		.amdhsa_user_sgpr_private_segment_size 0
		.amdhsa_uses_dynamic_stack 0
		.amdhsa_system_sgpr_private_segment_wavefront_offset 1
		.amdhsa_system_sgpr_workgroup_id_x 1
		.amdhsa_system_sgpr_workgroup_id_y 0
		.amdhsa_system_sgpr_workgroup_id_z 0
		.amdhsa_system_sgpr_workgroup_info 0
		.amdhsa_system_vgpr_workitem_id 0
		.amdhsa_next_free_vgpr 94
		.amdhsa_next_free_sgpr 16
		.amdhsa_accum_offset 96
		.amdhsa_reserve_vcc 1
		.amdhsa_reserve_flat_scratch 0
		.amdhsa_float_round_mode_32 0
		.amdhsa_float_round_mode_16_64 0
		.amdhsa_float_denorm_mode_32 3
		.amdhsa_float_denorm_mode_16_64 3
		.amdhsa_dx10_clamp 1
		.amdhsa_ieee_mode 1
		.amdhsa_fp16_overflow 0
		.amdhsa_tg_split 0
		.amdhsa_exception_fp_ieee_invalid_op 0
		.amdhsa_exception_fp_denorm_src 0
		.amdhsa_exception_fp_ieee_div_zero 0
		.amdhsa_exception_fp_ieee_overflow 0
		.amdhsa_exception_fp_ieee_underflow 0
		.amdhsa_exception_fp_ieee_inexact 0
		.amdhsa_exception_int_div_zero 0
	.end_amdhsa_kernel
	.section	.text._ZN9rocsolver6v33100L18trti2_kernel_smallILi35EfPKPfEEv13rocblas_fill_17rocblas_diagonal_T1_iil,"axG",@progbits,_ZN9rocsolver6v33100L18trti2_kernel_smallILi35EfPKPfEEv13rocblas_fill_17rocblas_diagonal_T1_iil,comdat
.Lfunc_end98:
	.size	_ZN9rocsolver6v33100L18trti2_kernel_smallILi35EfPKPfEEv13rocblas_fill_17rocblas_diagonal_T1_iil, .Lfunc_end98-_ZN9rocsolver6v33100L18trti2_kernel_smallILi35EfPKPfEEv13rocblas_fill_17rocblas_diagonal_T1_iil
                                        ; -- End function
	.section	.AMDGPU.csdata,"",@progbits
; Kernel info:
; codeLenInByte = 17000
; NumSgprs: 20
; NumVgprs: 94
; NumAgprs: 0
; TotalNumVgprs: 94
; ScratchSize: 144
; MemoryBound: 0
; FloatMode: 240
; IeeeMode: 1
; LDSByteSize: 284 bytes/workgroup (compile time only)
; SGPRBlocks: 2
; VGPRBlocks: 11
; NumSGPRsForWavesPerEU: 20
; NumVGPRsForWavesPerEU: 94
; AccumOffset: 96
; Occupancy: 5
; WaveLimiterHint : 1
; COMPUTE_PGM_RSRC2:SCRATCH_EN: 1
; COMPUTE_PGM_RSRC2:USER_SGPR: 8
; COMPUTE_PGM_RSRC2:TRAP_HANDLER: 0
; COMPUTE_PGM_RSRC2:TGID_X_EN: 1
; COMPUTE_PGM_RSRC2:TGID_Y_EN: 0
; COMPUTE_PGM_RSRC2:TGID_Z_EN: 0
; COMPUTE_PGM_RSRC2:TIDIG_COMP_CNT: 0
; COMPUTE_PGM_RSRC3_GFX90A:ACCUM_OFFSET: 23
; COMPUTE_PGM_RSRC3_GFX90A:TG_SPLIT: 0
	.section	.text._ZN9rocsolver6v33100L18trti2_kernel_smallILi36EfPKPfEEv13rocblas_fill_17rocblas_diagonal_T1_iil,"axG",@progbits,_ZN9rocsolver6v33100L18trti2_kernel_smallILi36EfPKPfEEv13rocblas_fill_17rocblas_diagonal_T1_iil,comdat
	.globl	_ZN9rocsolver6v33100L18trti2_kernel_smallILi36EfPKPfEEv13rocblas_fill_17rocblas_diagonal_T1_iil ; -- Begin function _ZN9rocsolver6v33100L18trti2_kernel_smallILi36EfPKPfEEv13rocblas_fill_17rocblas_diagonal_T1_iil
	.p2align	8
	.type	_ZN9rocsolver6v33100L18trti2_kernel_smallILi36EfPKPfEEv13rocblas_fill_17rocblas_diagonal_T1_iil,@function
_ZN9rocsolver6v33100L18trti2_kernel_smallILi36EfPKPfEEv13rocblas_fill_17rocblas_diagonal_T1_iil: ; @_ZN9rocsolver6v33100L18trti2_kernel_smallILi36EfPKPfEEv13rocblas_fill_17rocblas_diagonal_T1_iil
; %bb.0:
	s_add_u32 s0, s0, s9
	s_addc_u32 s1, s1, 0
	v_cmp_gt_u32_e32 vcc, 36, v0
	s_and_saveexec_b64 s[6:7], vcc
	s_cbranch_execz .LBB99_692
; %bb.1:
	s_load_dwordx2 s[6:7], s[4:5], 0x10
	s_load_dwordx4 s[12:15], s[4:5], 0x0
	s_ashr_i32 s9, s8, 31
	s_lshl_b64 s[4:5], s[8:9], 3
	s_waitcnt lgkmcnt(0)
	s_ashr_i32 s9, s6, 31
	s_add_u32 s4, s14, s4
	s_addc_u32 s5, s15, s5
	s_load_dwordx2 s[4:5], s[4:5], 0x0
	s_mov_b32 s8, s6
	s_lshl_b64 s[8:9], s[8:9], 2
	s_waitcnt lgkmcnt(0)
	s_add_u32 s4, s4, s8
	s_addc_u32 s5, s5, s9
	s_add_i32 s6, s7, s7
	v_add_u32_e32 v4, s6, v0
	v_ashrrev_i32_e32 v5, 31, v4
	v_lshlrev_b64 v[2:3], 2, v[4:5]
	v_add_u32_e32 v6, s7, v4
	v_mov_b32_e32 v1, s5
	v_add_co_u32_e32 v2, vcc, s4, v2
	v_ashrrev_i32_e32 v7, 31, v6
	v_addc_co_u32_e32 v3, vcc, v1, v3, vcc
	v_lshlrev_b64 v[4:5], 2, v[6:7]
	v_add_u32_e32 v8, s7, v6
	v_add_co_u32_e32 v4, vcc, s4, v4
	v_ashrrev_i32_e32 v9, 31, v8
	v_addc_co_u32_e32 v5, vcc, v1, v5, vcc
	v_lshlrev_b64 v[6:7], 2, v[8:9]
	v_add_u32_e32 v10, s7, v8
	;; [unrolled: 5-line block ×31, first 2 shown]
	v_add_co_u32_e32 v64, vcc, s4, v64
	v_ashrrev_i32_e32 v69, 31, v68
	v_addc_co_u32_e32 v65, vcc, v1, v65, vcc
	v_lshlrev_b64 v[66:67], 2, v[68:69]
	v_add_co_u32_e32 v66, vcc, s4, v66
	v_add_u32_e32 v68, s7, v68
	v_addc_co_u32_e32 v67, vcc, v1, v67, vcc
	v_ashrrev_i32_e32 v69, 31, v68
	v_lshlrev_b32_e32 v1, 2, v0
	v_lshlrev_b64 v[72:73], 2, v[68:69]
	v_mov_b32_e32 v69, s5
	v_add_co_u32_e32 v68, vcc, s4, v1
	s_ashr_i32 s9, s7, 31
	s_mov_b32 s8, s7
	v_addc_co_u32_e32 v69, vcc, 0, v69, vcc
	s_lshl_b64 s[6:7], s[8:9], 2
	v_mov_b32_e32 v71, s7
	v_add_co_u32_e32 v70, vcc, s6, v68
	v_addc_co_u32_e32 v71, vcc, v69, v71, vcc
	v_mov_b32_e32 v107, s5
	v_add_co_u32_e32 v72, vcc, s4, v72
	v_addc_co_u32_e32 v73, vcc, v107, v73, vcc
	global_load_dword v74, v1, s[4:5]
	global_load_dword v75, v[70:71], off
	global_load_dword v76, v[2:3], off
	;; [unrolled: 1-line block ×35, first 2 shown]
	s_cmpk_lg_i32 s13, 0x84
	s_waitcnt vmcnt(35)
	buffer_store_dword v74, off, s[0:3], 0
	s_waitcnt vmcnt(35)
	buffer_store_dword v75, off, s[0:3], 0 offset:4
	s_waitcnt vmcnt(35)
	buffer_store_dword v76, off, s[0:3], 0 offset:8
	;; [unrolled: 2-line block ×11, first 2 shown]
	buffer_store_dword v84, off, s[0:3], 0 offset:48
	buffer_store_dword v85, off, s[0:3], 0 offset:52
	;; [unrolled: 1-line block ×5, first 2 shown]
	s_waitcnt vmcnt(35)
	buffer_store_dword v91, off, s[0:3], 0 offset:68
	s_waitcnt vmcnt(35)
	buffer_store_dword v92, off, s[0:3], 0 offset:72
	;; [unrolled: 2-line block ×5, first 2 shown]
	buffer_store_dword v95, off, s[0:3], 0 offset:92
	buffer_store_dword v96, off, s[0:3], 0 offset:88
	s_waitcnt vmcnt(34)
	buffer_store_dword v99, off, s[0:3], 0 offset:100
	buffer_store_dword v94, off, s[0:3], 0 offset:96
	s_waitcnt vmcnt(30)
	buffer_store_dword v105, off, s[0:3], 0 offset:108
	s_waitcnt vmcnt(30)
	buffer_store_dword v106, off, s[0:3], 0 offset:104
	buffer_store_dword v103, off, s[0:3], 0 offset:116
	;; [unrolled: 1-line block ×5, first 2 shown]
	s_waitcnt vmcnt(34)
	buffer_store_dword v108, off, s[0:3], 0 offset:132
	buffer_store_dword v100, off, s[0:3], 0 offset:128
	s_waitcnt vmcnt(35)
	buffer_store_dword v107, off, s[0:3], 0 offset:140
	s_waitcnt vmcnt(35)
	buffer_store_dword v109, off, s[0:3], 0 offset:136
	s_cselect_b64 s[8:9], -1, 0
	s_cmpk_eq_i32 s13, 0x84
	v_mov_b32_e32 v91, 0
	v_mov_b32_e32 v74, -1.0
	s_cbranch_scc1 .LBB99_3
; %bb.2:
	v_lshl_add_u32 v74, v0, 2, v91
	buffer_load_dword v75, v74, s[0:3], 0 offen
	s_waitcnt vmcnt(0)
	v_div_scale_f32 v76, s[4:5], v75, v75, 1.0
	v_rcp_f32_e32 v77, v76
	v_div_scale_f32 v78, vcc, 1.0, v75, 1.0
	v_fma_f32 v79, -v76, v77, 1.0
	v_fmac_f32_e32 v77, v79, v77
	v_mul_f32_e32 v79, v78, v77
	v_fma_f32 v80, -v76, v79, v78
	v_fmac_f32_e32 v79, v80, v77
	v_fma_f32 v76, -v76, v79, v78
	v_div_fmas_f32 v76, v76, v77, v79
	v_div_fixup_f32 v75, v76, v75, 1.0
	buffer_store_dword v75, v74, s[0:3], 0 offen
	v_xor_b32_e32 v74, 0x80000000, v75
.LBB99_3:
	ds_write_b32 v1, v74
	s_cmpk_eq_i32 s12, 0x79
	v_add_u32_e32 v74, 0x90, v1
	v_add_u32_e32 v75, 0, v1
	s_mov_b64 s[4:5], -1
	s_cbranch_scc1 .LBB99_347
; %bb.4:
	buffer_load_dword v76, off, s[0:3], 0 offset:136
	v_cmp_eq_u32_e64 s[4:5], 35, v0
	s_waitcnt vmcnt(0)
	ds_write_b32 v74, v76
	s_waitcnt lgkmcnt(0)
	; wave barrier
	s_waitcnt lgkmcnt(0)
	s_and_saveexec_b64 s[6:7], s[4:5]
	s_cbranch_execz .LBB99_10
; %bb.5:
	s_and_b64 vcc, exec, s[8:9]
	s_cbranch_vccz .LBB99_7
; %bb.6:
	buffer_load_dword v76, v75, s[0:3], 0 offen
	ds_read_b32 v77, v74
	s_waitcnt vmcnt(0) lgkmcnt(0)
	v_mul_f32_e32 v76, v76, v77
	s_cbranch_execz .LBB99_8
	s_branch .LBB99_9
.LBB99_7:
                                        ; implicit-def: $vgpr76
.LBB99_8:
	ds_read_b32 v76, v74
.LBB99_9:
	v_mov_b32_e32 v77, 0
	ds_read_b32 v77, v77 offset:136
	s_waitcnt lgkmcnt(0)
	v_mul_f32_e32 v76, v76, v77
	buffer_store_dword v76, off, s[0:3], 0 offset:136
.LBB99_10:
	s_or_b64 exec, exec, s[6:7]
	buffer_load_dword v92, off, s[0:3], 0 offset:132
	v_or_b32_e32 v76, 8, v91
	v_add_u32_e32 v77, 16, v91
	v_add_u32_e32 v78, 24, v91
	;; [unrolled: 1-line block ×15, first 2 shown]
	v_cmp_lt_u32_e64 s[6:7], 33, v0
	s_waitcnt vmcnt(0)
	ds_write_b32 v74, v92
	s_waitcnt lgkmcnt(0)
	; wave barrier
	s_waitcnt lgkmcnt(0)
	s_and_saveexec_b64 s[10:11], s[6:7]
	s_cbranch_execz .LBB99_16
; %bb.11:
	s_andn2_b64 vcc, exec, s[8:9]
	s_cbranch_vccnz .LBB99_13
; %bb.12:
	buffer_load_dword v92, v75, s[0:3], 0 offen
	ds_read_b32 v93, v74
	s_waitcnt vmcnt(0) lgkmcnt(0)
	v_mul_f32_e32 v92, v92, v93
	s_cbranch_execz .LBB99_14
	s_branch .LBB99_15
.LBB99_13:
                                        ; implicit-def: $vgpr92
.LBB99_14:
	ds_read_b32 v92, v74
.LBB99_15:
	buffer_load_dword v93, off, s[0:3], 0 offset:136
	v_mov_b32_e32 v94, 0
	ds_read2_b32 v[94:95], v94 offset0:33 offset1:70
	s_waitcnt vmcnt(0) lgkmcnt(0)
	v_fma_f32 v93, v93, v95, v92
	v_cndmask_b32_e64 v92, v92, v93, s[4:5]
	v_mul_f32_e32 v92, v92, v94
	buffer_store_dword v92, off, s[0:3], 0 offset:132
.LBB99_16:
	s_or_b64 exec, exec, s[10:11]
	buffer_load_dword v92, off, s[0:3], 0 offset:128
	v_cmp_lt_u32_e64 s[4:5], 32, v0
	s_waitcnt vmcnt(0)
	ds_write_b32 v74, v92
	s_waitcnt lgkmcnt(0)
	; wave barrier
	s_waitcnt lgkmcnt(0)
	s_and_saveexec_b64 s[10:11], s[4:5]
	s_cbranch_execz .LBB99_26
; %bb.17:
	s_andn2_b64 vcc, exec, s[8:9]
	s_cbranch_vccnz .LBB99_19
; %bb.18:
	buffer_load_dword v92, v75, s[0:3], 0 offen
	ds_read_b32 v93, v74
	s_waitcnt vmcnt(0) lgkmcnt(0)
	v_mul_f32_e32 v92, v92, v93
	s_cbranch_execz .LBB99_20
	s_branch .LBB99_21
.LBB99_19:
                                        ; implicit-def: $vgpr92
.LBB99_20:
	ds_read_b32 v92, v74
.LBB99_21:
	s_and_saveexec_b64 s[12:13], s[6:7]
	s_cbranch_execz .LBB99_25
; %bb.22:
	v_mov_b32_e32 v93, 0
	v_add_u32_e32 v93, 0x84, v93
	v_subrev_u32_e32 v94, 33, v0
	s_movk_i32 s14, 0x114
	s_mov_b64 s[6:7], 0
.LBB99_23:                              ; =>This Inner Loop Header: Depth=1
	buffer_load_dword v95, v93, s[0:3], 0 offen
	v_mov_b32_e32 v96, s14
	ds_read_b32 v96, v96
	v_add_u32_e32 v94, -1, v94
	s_add_i32 s14, s14, 4
	v_cmp_eq_u32_e32 vcc, 0, v94
	v_add_u32_e32 v93, 4, v93
	s_or_b64 s[6:7], vcc, s[6:7]
	s_waitcnt vmcnt(0) lgkmcnt(0)
	v_fmac_f32_e32 v92, v95, v96
	s_andn2_b64 exec, exec, s[6:7]
	s_cbranch_execnz .LBB99_23
; %bb.24:
	s_or_b64 exec, exec, s[6:7]
.LBB99_25:
	s_or_b64 exec, exec, s[12:13]
	v_mov_b32_e32 v93, 0
	ds_read_b32 v93, v93 offset:128
	s_waitcnt lgkmcnt(0)
	v_mul_f32_e32 v92, v92, v93
	buffer_store_dword v92, off, s[0:3], 0 offset:128
.LBB99_26:
	s_or_b64 exec, exec, s[10:11]
	buffer_load_dword v92, off, s[0:3], 0 offset:124
	v_cmp_lt_u32_e64 s[6:7], 31, v0
	s_waitcnt vmcnt(0)
	ds_write_b32 v74, v92
	s_waitcnt lgkmcnt(0)
	; wave barrier
	s_waitcnt lgkmcnt(0)
	s_and_saveexec_b64 s[10:11], s[6:7]
	s_cbranch_execz .LBB99_36
; %bb.27:
	s_andn2_b64 vcc, exec, s[8:9]
	s_cbranch_vccnz .LBB99_29
; %bb.28:
	buffer_load_dword v92, v75, s[0:3], 0 offen
	ds_read_b32 v93, v74
	s_waitcnt vmcnt(0) lgkmcnt(0)
	v_mul_f32_e32 v92, v92, v93
	s_cbranch_execz .LBB99_30
	s_branch .LBB99_31
.LBB99_29:
                                        ; implicit-def: $vgpr92
.LBB99_30:
	ds_read_b32 v92, v74
.LBB99_31:
	s_and_saveexec_b64 s[12:13], s[4:5]
	s_cbranch_execz .LBB99_35
; %bb.32:
	v_subrev_u32_e32 v93, 32, v0
	s_movk_i32 s14, 0x110
	s_mov_b64 s[4:5], 0
.LBB99_33:                              ; =>This Inner Loop Header: Depth=1
	buffer_load_dword v94, v91, s[0:3], 0 offen
	v_mov_b32_e32 v95, s14
	ds_read_b32 v95, v95
	v_add_u32_e32 v93, -1, v93
	s_add_i32 s14, s14, 4
	v_cmp_eq_u32_e32 vcc, 0, v93
	v_add_u32_e32 v91, 4, v91
	s_or_b64 s[4:5], vcc, s[4:5]
	s_waitcnt vmcnt(0) lgkmcnt(0)
	v_fmac_f32_e32 v92, v94, v95
	s_andn2_b64 exec, exec, s[4:5]
	s_cbranch_execnz .LBB99_33
; %bb.34:
	s_or_b64 exec, exec, s[4:5]
.LBB99_35:
	s_or_b64 exec, exec, s[12:13]
	v_mov_b32_e32 v91, 0
	ds_read_b32 v91, v91 offset:124
	s_waitcnt lgkmcnt(0)
	v_mul_f32_e32 v91, v92, v91
	buffer_store_dword v91, off, s[0:3], 0 offset:124
.LBB99_36:
	s_or_b64 exec, exec, s[10:11]
	buffer_load_dword v91, off, s[0:3], 0 offset:120
	v_cmp_lt_u32_e64 s[4:5], 30, v0
	s_waitcnt vmcnt(0)
	ds_write_b32 v74, v91
	s_waitcnt lgkmcnt(0)
	; wave barrier
	s_waitcnt lgkmcnt(0)
	s_and_saveexec_b64 s[10:11], s[4:5]
	s_cbranch_execz .LBB99_46
; %bb.37:
	s_andn2_b64 vcc, exec, s[8:9]
	s_cbranch_vccnz .LBB99_39
; %bb.38:
	buffer_load_dword v91, v75, s[0:3], 0 offen
	ds_read_b32 v92, v74
	s_waitcnt vmcnt(0) lgkmcnt(0)
	v_mul_f32_e32 v91, v91, v92
	s_cbranch_execz .LBB99_40
	s_branch .LBB99_41
.LBB99_39:
                                        ; implicit-def: $vgpr91
.LBB99_40:
	ds_read_b32 v91, v74
.LBB99_41:
	s_and_saveexec_b64 s[12:13], s[6:7]
	s_cbranch_execz .LBB99_45
; %bb.42:
	v_mov_b32_e32 v92, 0
	v_add_u32_e32 v92, 0x7c, v92
	v_subrev_u32_e32 v93, 31, v0
	s_movk_i32 s14, 0x10c
	s_mov_b64 s[6:7], 0
.LBB99_43:                              ; =>This Inner Loop Header: Depth=1
	buffer_load_dword v94, v92, s[0:3], 0 offen
	v_mov_b32_e32 v95, s14
	ds_read_b32 v95, v95
	v_add_u32_e32 v93, -1, v93
	s_add_i32 s14, s14, 4
	v_cmp_eq_u32_e32 vcc, 0, v93
	v_add_u32_e32 v92, 4, v92
	s_or_b64 s[6:7], vcc, s[6:7]
	s_waitcnt vmcnt(0) lgkmcnt(0)
	v_fmac_f32_e32 v91, v94, v95
	s_andn2_b64 exec, exec, s[6:7]
	s_cbranch_execnz .LBB99_43
; %bb.44:
	s_or_b64 exec, exec, s[6:7]
.LBB99_45:
	s_or_b64 exec, exec, s[12:13]
	v_mov_b32_e32 v92, 0
	ds_read_b32 v92, v92 offset:120
	s_waitcnt lgkmcnt(0)
	v_mul_f32_e32 v91, v91, v92
	buffer_store_dword v91, off, s[0:3], 0 offset:120
.LBB99_46:
	s_or_b64 exec, exec, s[10:11]
	buffer_load_dword v91, off, s[0:3], 0 offset:116
	v_cmp_lt_u32_e64 s[6:7], 29, v0
	s_waitcnt vmcnt(0)
	ds_write_b32 v74, v91
	s_waitcnt lgkmcnt(0)
	; wave barrier
	s_waitcnt lgkmcnt(0)
	s_and_saveexec_b64 s[10:11], s[6:7]
	s_cbranch_execz .LBB99_56
; %bb.47:
	s_andn2_b64 vcc, exec, s[8:9]
	s_cbranch_vccnz .LBB99_49
; %bb.48:
	buffer_load_dword v91, v75, s[0:3], 0 offen
	ds_read_b32 v92, v74
	s_waitcnt vmcnt(0) lgkmcnt(0)
	v_mul_f32_e32 v91, v91, v92
	s_cbranch_execz .LBB99_50
	s_branch .LBB99_51
.LBB99_49:
                                        ; implicit-def: $vgpr91
.LBB99_50:
	ds_read_b32 v91, v74
.LBB99_51:
	s_and_saveexec_b64 s[12:13], s[4:5]
	s_cbranch_execz .LBB99_55
; %bb.52:
	v_subrev_u32_e32 v92, 30, v0
	s_movk_i32 s14, 0x108
	s_mov_b64 s[4:5], 0
.LBB99_53:                              ; =>This Inner Loop Header: Depth=1
	buffer_load_dword v93, v90, s[0:3], 0 offen
	v_mov_b32_e32 v94, s14
	ds_read_b32 v94, v94
	v_add_u32_e32 v92, -1, v92
	s_add_i32 s14, s14, 4
	v_cmp_eq_u32_e32 vcc, 0, v92
	v_add_u32_e32 v90, 4, v90
	s_or_b64 s[4:5], vcc, s[4:5]
	s_waitcnt vmcnt(0) lgkmcnt(0)
	v_fmac_f32_e32 v91, v93, v94
	s_andn2_b64 exec, exec, s[4:5]
	s_cbranch_execnz .LBB99_53
; %bb.54:
	s_or_b64 exec, exec, s[4:5]
.LBB99_55:
	s_or_b64 exec, exec, s[12:13]
	v_mov_b32_e32 v90, 0
	ds_read_b32 v90, v90 offset:116
	s_waitcnt lgkmcnt(0)
	v_mul_f32_e32 v90, v91, v90
	buffer_store_dword v90, off, s[0:3], 0 offset:116
.LBB99_56:
	s_or_b64 exec, exec, s[10:11]
	buffer_load_dword v90, off, s[0:3], 0 offset:112
	v_cmp_lt_u32_e64 s[4:5], 28, v0
	s_waitcnt vmcnt(0)
	ds_write_b32 v74, v90
	s_waitcnt lgkmcnt(0)
	; wave barrier
	s_waitcnt lgkmcnt(0)
	s_and_saveexec_b64 s[10:11], s[4:5]
	s_cbranch_execz .LBB99_66
; %bb.57:
	s_andn2_b64 vcc, exec, s[8:9]
	s_cbranch_vccnz .LBB99_59
; %bb.58:
	buffer_load_dword v90, v75, s[0:3], 0 offen
	ds_read_b32 v91, v74
	s_waitcnt vmcnt(0) lgkmcnt(0)
	v_mul_f32_e32 v90, v90, v91
	s_cbranch_execz .LBB99_60
	s_branch .LBB99_61
.LBB99_59:
                                        ; implicit-def: $vgpr90
.LBB99_60:
	ds_read_b32 v90, v74
.LBB99_61:
	s_and_saveexec_b64 s[12:13], s[6:7]
	s_cbranch_execz .LBB99_65
; %bb.62:
	v_mov_b32_e32 v91, 0
	v_add_u32_e32 v91, 0x74, v91
	v_subrev_u32_e32 v92, 29, v0
	s_movk_i32 s14, 0x104
	s_mov_b64 s[6:7], 0
.LBB99_63:                              ; =>This Inner Loop Header: Depth=1
	buffer_load_dword v93, v91, s[0:3], 0 offen
	v_mov_b32_e32 v94, s14
	ds_read_b32 v94, v94
	v_add_u32_e32 v92, -1, v92
	s_add_i32 s14, s14, 4
	v_cmp_eq_u32_e32 vcc, 0, v92
	v_add_u32_e32 v91, 4, v91
	s_or_b64 s[6:7], vcc, s[6:7]
	s_waitcnt vmcnt(0) lgkmcnt(0)
	v_fmac_f32_e32 v90, v93, v94
	s_andn2_b64 exec, exec, s[6:7]
	s_cbranch_execnz .LBB99_63
; %bb.64:
	s_or_b64 exec, exec, s[6:7]
.LBB99_65:
	s_or_b64 exec, exec, s[12:13]
	v_mov_b32_e32 v91, 0
	ds_read_b32 v91, v91 offset:112
	s_waitcnt lgkmcnt(0)
	v_mul_f32_e32 v90, v90, v91
	buffer_store_dword v90, off, s[0:3], 0 offset:112
.LBB99_66:
	s_or_b64 exec, exec, s[10:11]
	buffer_load_dword v90, off, s[0:3], 0 offset:108
	v_cmp_lt_u32_e64 s[6:7], 27, v0
	s_waitcnt vmcnt(0)
	ds_write_b32 v74, v90
	s_waitcnt lgkmcnt(0)
	; wave barrier
	s_waitcnt lgkmcnt(0)
	s_and_saveexec_b64 s[10:11], s[6:7]
	s_cbranch_execz .LBB99_76
; %bb.67:
	s_andn2_b64 vcc, exec, s[8:9]
	s_cbranch_vccnz .LBB99_69
; %bb.68:
	buffer_load_dword v90, v75, s[0:3], 0 offen
	ds_read_b32 v91, v74
	s_waitcnt vmcnt(0) lgkmcnt(0)
	v_mul_f32_e32 v90, v90, v91
	s_cbranch_execz .LBB99_70
	s_branch .LBB99_71
.LBB99_69:
                                        ; implicit-def: $vgpr90
.LBB99_70:
	ds_read_b32 v90, v74
.LBB99_71:
	s_and_saveexec_b64 s[12:13], s[4:5]
	s_cbranch_execz .LBB99_75
; %bb.72:
	v_subrev_u32_e32 v91, 28, v0
	s_movk_i32 s14, 0x100
	s_mov_b64 s[4:5], 0
.LBB99_73:                              ; =>This Inner Loop Header: Depth=1
	buffer_load_dword v92, v89, s[0:3], 0 offen
	v_mov_b32_e32 v93, s14
	ds_read_b32 v93, v93
	v_add_u32_e32 v91, -1, v91
	s_add_i32 s14, s14, 4
	v_cmp_eq_u32_e32 vcc, 0, v91
	v_add_u32_e32 v89, 4, v89
	s_or_b64 s[4:5], vcc, s[4:5]
	s_waitcnt vmcnt(0) lgkmcnt(0)
	v_fmac_f32_e32 v90, v92, v93
	s_andn2_b64 exec, exec, s[4:5]
	s_cbranch_execnz .LBB99_73
; %bb.74:
	s_or_b64 exec, exec, s[4:5]
.LBB99_75:
	s_or_b64 exec, exec, s[12:13]
	v_mov_b32_e32 v89, 0
	ds_read_b32 v89, v89 offset:108
	s_waitcnt lgkmcnt(0)
	v_mul_f32_e32 v89, v90, v89
	buffer_store_dword v89, off, s[0:3], 0 offset:108
.LBB99_76:
	s_or_b64 exec, exec, s[10:11]
	buffer_load_dword v89, off, s[0:3], 0 offset:104
	v_cmp_lt_u32_e64 s[4:5], 26, v0
	s_waitcnt vmcnt(0)
	ds_write_b32 v74, v89
	s_waitcnt lgkmcnt(0)
	; wave barrier
	s_waitcnt lgkmcnt(0)
	s_and_saveexec_b64 s[10:11], s[4:5]
	s_cbranch_execz .LBB99_86
; %bb.77:
	s_andn2_b64 vcc, exec, s[8:9]
	s_cbranch_vccnz .LBB99_79
; %bb.78:
	buffer_load_dword v89, v75, s[0:3], 0 offen
	ds_read_b32 v90, v74
	s_waitcnt vmcnt(0) lgkmcnt(0)
	v_mul_f32_e32 v89, v89, v90
	s_cbranch_execz .LBB99_80
	s_branch .LBB99_81
.LBB99_79:
                                        ; implicit-def: $vgpr89
.LBB99_80:
	ds_read_b32 v89, v74
.LBB99_81:
	s_and_saveexec_b64 s[12:13], s[6:7]
	s_cbranch_execz .LBB99_85
; %bb.82:
	v_mov_b32_e32 v90, 0
	v_add_u32_e32 v90, 0x6c, v90
	v_subrev_u32_e32 v91, 27, v0
	s_movk_i32 s14, 0xfc
	s_mov_b64 s[6:7], 0
.LBB99_83:                              ; =>This Inner Loop Header: Depth=1
	buffer_load_dword v92, v90, s[0:3], 0 offen
	v_mov_b32_e32 v93, s14
	ds_read_b32 v93, v93
	v_add_u32_e32 v91, -1, v91
	s_add_i32 s14, s14, 4
	v_cmp_eq_u32_e32 vcc, 0, v91
	v_add_u32_e32 v90, 4, v90
	s_or_b64 s[6:7], vcc, s[6:7]
	s_waitcnt vmcnt(0) lgkmcnt(0)
	v_fmac_f32_e32 v89, v92, v93
	s_andn2_b64 exec, exec, s[6:7]
	s_cbranch_execnz .LBB99_83
; %bb.84:
	s_or_b64 exec, exec, s[6:7]
.LBB99_85:
	s_or_b64 exec, exec, s[12:13]
	v_mov_b32_e32 v90, 0
	ds_read_b32 v90, v90 offset:104
	s_waitcnt lgkmcnt(0)
	v_mul_f32_e32 v89, v89, v90
	buffer_store_dword v89, off, s[0:3], 0 offset:104
.LBB99_86:
	s_or_b64 exec, exec, s[10:11]
	buffer_load_dword v89, off, s[0:3], 0 offset:100
	v_cmp_lt_u32_e64 s[6:7], 25, v0
	s_waitcnt vmcnt(0)
	ds_write_b32 v74, v89
	s_waitcnt lgkmcnt(0)
	; wave barrier
	s_waitcnt lgkmcnt(0)
	s_and_saveexec_b64 s[10:11], s[6:7]
	s_cbranch_execz .LBB99_96
; %bb.87:
	s_andn2_b64 vcc, exec, s[8:9]
	s_cbranch_vccnz .LBB99_89
; %bb.88:
	buffer_load_dword v89, v75, s[0:3], 0 offen
	ds_read_b32 v90, v74
	s_waitcnt vmcnt(0) lgkmcnt(0)
	v_mul_f32_e32 v89, v89, v90
	s_cbranch_execz .LBB99_90
	s_branch .LBB99_91
.LBB99_89:
                                        ; implicit-def: $vgpr89
.LBB99_90:
	ds_read_b32 v89, v74
.LBB99_91:
	s_and_saveexec_b64 s[12:13], s[4:5]
	s_cbranch_execz .LBB99_95
; %bb.92:
	v_subrev_u32_e32 v90, 26, v0
	s_movk_i32 s14, 0xf8
	s_mov_b64 s[4:5], 0
.LBB99_93:                              ; =>This Inner Loop Header: Depth=1
	buffer_load_dword v91, v88, s[0:3], 0 offen
	v_mov_b32_e32 v92, s14
	ds_read_b32 v92, v92
	v_add_u32_e32 v90, -1, v90
	s_add_i32 s14, s14, 4
	v_cmp_eq_u32_e32 vcc, 0, v90
	v_add_u32_e32 v88, 4, v88
	s_or_b64 s[4:5], vcc, s[4:5]
	s_waitcnt vmcnt(0) lgkmcnt(0)
	v_fmac_f32_e32 v89, v91, v92
	s_andn2_b64 exec, exec, s[4:5]
	s_cbranch_execnz .LBB99_93
; %bb.94:
	s_or_b64 exec, exec, s[4:5]
.LBB99_95:
	s_or_b64 exec, exec, s[12:13]
	v_mov_b32_e32 v88, 0
	ds_read_b32 v88, v88 offset:100
	s_waitcnt lgkmcnt(0)
	v_mul_f32_e32 v88, v89, v88
	buffer_store_dword v88, off, s[0:3], 0 offset:100
.LBB99_96:
	s_or_b64 exec, exec, s[10:11]
	buffer_load_dword v88, off, s[0:3], 0 offset:96
	v_cmp_lt_u32_e64 s[4:5], 24, v0
	s_waitcnt vmcnt(0)
	ds_write_b32 v74, v88
	s_waitcnt lgkmcnt(0)
	; wave barrier
	s_waitcnt lgkmcnt(0)
	s_and_saveexec_b64 s[10:11], s[4:5]
	s_cbranch_execz .LBB99_106
; %bb.97:
	s_andn2_b64 vcc, exec, s[8:9]
	s_cbranch_vccnz .LBB99_99
; %bb.98:
	buffer_load_dword v88, v75, s[0:3], 0 offen
	ds_read_b32 v89, v74
	s_waitcnt vmcnt(0) lgkmcnt(0)
	v_mul_f32_e32 v88, v88, v89
	s_cbranch_execz .LBB99_100
	s_branch .LBB99_101
.LBB99_99:
                                        ; implicit-def: $vgpr88
.LBB99_100:
	ds_read_b32 v88, v74
.LBB99_101:
	s_and_saveexec_b64 s[12:13], s[6:7]
	s_cbranch_execz .LBB99_105
; %bb.102:
	v_mov_b32_e32 v89, 0
	v_add_u32_e32 v89, 0x64, v89
	v_subrev_u32_e32 v90, 25, v0
	s_movk_i32 s14, 0xf4
	s_mov_b64 s[6:7], 0
.LBB99_103:                             ; =>This Inner Loop Header: Depth=1
	buffer_load_dword v91, v89, s[0:3], 0 offen
	v_mov_b32_e32 v92, s14
	ds_read_b32 v92, v92
	v_add_u32_e32 v90, -1, v90
	s_add_i32 s14, s14, 4
	v_cmp_eq_u32_e32 vcc, 0, v90
	v_add_u32_e32 v89, 4, v89
	s_or_b64 s[6:7], vcc, s[6:7]
	s_waitcnt vmcnt(0) lgkmcnt(0)
	v_fmac_f32_e32 v88, v91, v92
	s_andn2_b64 exec, exec, s[6:7]
	s_cbranch_execnz .LBB99_103
; %bb.104:
	s_or_b64 exec, exec, s[6:7]
.LBB99_105:
	s_or_b64 exec, exec, s[12:13]
	v_mov_b32_e32 v89, 0
	ds_read_b32 v89, v89 offset:96
	s_waitcnt lgkmcnt(0)
	v_mul_f32_e32 v88, v88, v89
	buffer_store_dword v88, off, s[0:3], 0 offset:96
.LBB99_106:
	s_or_b64 exec, exec, s[10:11]
	buffer_load_dword v88, off, s[0:3], 0 offset:92
	v_cmp_lt_u32_e64 s[6:7], 23, v0
	s_waitcnt vmcnt(0)
	ds_write_b32 v74, v88
	s_waitcnt lgkmcnt(0)
	; wave barrier
	s_waitcnt lgkmcnt(0)
	s_and_saveexec_b64 s[10:11], s[6:7]
	s_cbranch_execz .LBB99_116
; %bb.107:
	s_andn2_b64 vcc, exec, s[8:9]
	s_cbranch_vccnz .LBB99_109
; %bb.108:
	buffer_load_dword v88, v75, s[0:3], 0 offen
	ds_read_b32 v89, v74
	s_waitcnt vmcnt(0) lgkmcnt(0)
	v_mul_f32_e32 v88, v88, v89
	s_cbranch_execz .LBB99_110
	s_branch .LBB99_111
.LBB99_109:
                                        ; implicit-def: $vgpr88
.LBB99_110:
	ds_read_b32 v88, v74
.LBB99_111:
	s_and_saveexec_b64 s[12:13], s[4:5]
	s_cbranch_execz .LBB99_115
; %bb.112:
	v_subrev_u32_e32 v89, 24, v0
	s_movk_i32 s14, 0xf0
	s_mov_b64 s[4:5], 0
.LBB99_113:                             ; =>This Inner Loop Header: Depth=1
	buffer_load_dword v90, v87, s[0:3], 0 offen
	v_mov_b32_e32 v91, s14
	ds_read_b32 v91, v91
	v_add_u32_e32 v89, -1, v89
	s_add_i32 s14, s14, 4
	v_cmp_eq_u32_e32 vcc, 0, v89
	v_add_u32_e32 v87, 4, v87
	s_or_b64 s[4:5], vcc, s[4:5]
	s_waitcnt vmcnt(0) lgkmcnt(0)
	v_fmac_f32_e32 v88, v90, v91
	s_andn2_b64 exec, exec, s[4:5]
	s_cbranch_execnz .LBB99_113
; %bb.114:
	s_or_b64 exec, exec, s[4:5]
.LBB99_115:
	s_or_b64 exec, exec, s[12:13]
	v_mov_b32_e32 v87, 0
	ds_read_b32 v87, v87 offset:92
	s_waitcnt lgkmcnt(0)
	v_mul_f32_e32 v87, v88, v87
	buffer_store_dword v87, off, s[0:3], 0 offset:92
.LBB99_116:
	s_or_b64 exec, exec, s[10:11]
	buffer_load_dword v87, off, s[0:3], 0 offset:88
	v_cmp_lt_u32_e64 s[4:5], 22, v0
	s_waitcnt vmcnt(0)
	ds_write_b32 v74, v87
	s_waitcnt lgkmcnt(0)
	; wave barrier
	s_waitcnt lgkmcnt(0)
	s_and_saveexec_b64 s[10:11], s[4:5]
	s_cbranch_execz .LBB99_126
; %bb.117:
	s_andn2_b64 vcc, exec, s[8:9]
	s_cbranch_vccnz .LBB99_119
; %bb.118:
	buffer_load_dword v87, v75, s[0:3], 0 offen
	ds_read_b32 v88, v74
	s_waitcnt vmcnt(0) lgkmcnt(0)
	v_mul_f32_e32 v87, v87, v88
	s_cbranch_execz .LBB99_120
	s_branch .LBB99_121
.LBB99_119:
                                        ; implicit-def: $vgpr87
.LBB99_120:
	ds_read_b32 v87, v74
.LBB99_121:
	s_and_saveexec_b64 s[12:13], s[6:7]
	s_cbranch_execz .LBB99_125
; %bb.122:
	v_mov_b32_e32 v88, 0
	v_add_u32_e32 v88, 0x5c, v88
	v_subrev_u32_e32 v89, 23, v0
	s_movk_i32 s14, 0xec
	s_mov_b64 s[6:7], 0
.LBB99_123:                             ; =>This Inner Loop Header: Depth=1
	buffer_load_dword v90, v88, s[0:3], 0 offen
	v_mov_b32_e32 v91, s14
	ds_read_b32 v91, v91
	v_add_u32_e32 v89, -1, v89
	s_add_i32 s14, s14, 4
	v_cmp_eq_u32_e32 vcc, 0, v89
	v_add_u32_e32 v88, 4, v88
	s_or_b64 s[6:7], vcc, s[6:7]
	s_waitcnt vmcnt(0) lgkmcnt(0)
	v_fmac_f32_e32 v87, v90, v91
	s_andn2_b64 exec, exec, s[6:7]
	s_cbranch_execnz .LBB99_123
; %bb.124:
	s_or_b64 exec, exec, s[6:7]
.LBB99_125:
	s_or_b64 exec, exec, s[12:13]
	v_mov_b32_e32 v88, 0
	ds_read_b32 v88, v88 offset:88
	s_waitcnt lgkmcnt(0)
	v_mul_f32_e32 v87, v87, v88
	buffer_store_dword v87, off, s[0:3], 0 offset:88
.LBB99_126:
	s_or_b64 exec, exec, s[10:11]
	buffer_load_dword v87, off, s[0:3], 0 offset:84
	v_cmp_lt_u32_e64 s[6:7], 21, v0
	s_waitcnt vmcnt(0)
	ds_write_b32 v74, v87
	s_waitcnt lgkmcnt(0)
	; wave barrier
	s_waitcnt lgkmcnt(0)
	s_and_saveexec_b64 s[10:11], s[6:7]
	s_cbranch_execz .LBB99_136
; %bb.127:
	s_andn2_b64 vcc, exec, s[8:9]
	s_cbranch_vccnz .LBB99_129
; %bb.128:
	buffer_load_dword v87, v75, s[0:3], 0 offen
	ds_read_b32 v88, v74
	s_waitcnt vmcnt(0) lgkmcnt(0)
	v_mul_f32_e32 v87, v87, v88
	s_cbranch_execz .LBB99_130
	s_branch .LBB99_131
.LBB99_129:
                                        ; implicit-def: $vgpr87
.LBB99_130:
	ds_read_b32 v87, v74
.LBB99_131:
	s_and_saveexec_b64 s[12:13], s[4:5]
	s_cbranch_execz .LBB99_135
; %bb.132:
	v_subrev_u32_e32 v88, 22, v0
	s_movk_i32 s14, 0xe8
	s_mov_b64 s[4:5], 0
.LBB99_133:                             ; =>This Inner Loop Header: Depth=1
	buffer_load_dword v89, v86, s[0:3], 0 offen
	v_mov_b32_e32 v90, s14
	ds_read_b32 v90, v90
	v_add_u32_e32 v88, -1, v88
	s_add_i32 s14, s14, 4
	v_cmp_eq_u32_e32 vcc, 0, v88
	v_add_u32_e32 v86, 4, v86
	s_or_b64 s[4:5], vcc, s[4:5]
	s_waitcnt vmcnt(0) lgkmcnt(0)
	v_fmac_f32_e32 v87, v89, v90
	s_andn2_b64 exec, exec, s[4:5]
	s_cbranch_execnz .LBB99_133
; %bb.134:
	s_or_b64 exec, exec, s[4:5]
.LBB99_135:
	s_or_b64 exec, exec, s[12:13]
	v_mov_b32_e32 v86, 0
	ds_read_b32 v86, v86 offset:84
	s_waitcnt lgkmcnt(0)
	v_mul_f32_e32 v86, v87, v86
	buffer_store_dword v86, off, s[0:3], 0 offset:84
.LBB99_136:
	s_or_b64 exec, exec, s[10:11]
	buffer_load_dword v86, off, s[0:3], 0 offset:80
	v_cmp_lt_u32_e64 s[4:5], 20, v0
	s_waitcnt vmcnt(0)
	ds_write_b32 v74, v86
	s_waitcnt lgkmcnt(0)
	; wave barrier
	s_waitcnt lgkmcnt(0)
	s_and_saveexec_b64 s[10:11], s[4:5]
	s_cbranch_execz .LBB99_146
; %bb.137:
	s_andn2_b64 vcc, exec, s[8:9]
	s_cbranch_vccnz .LBB99_139
; %bb.138:
	buffer_load_dword v86, v75, s[0:3], 0 offen
	ds_read_b32 v87, v74
	s_waitcnt vmcnt(0) lgkmcnt(0)
	v_mul_f32_e32 v86, v86, v87
	s_cbranch_execz .LBB99_140
	s_branch .LBB99_141
.LBB99_139:
                                        ; implicit-def: $vgpr86
.LBB99_140:
	ds_read_b32 v86, v74
.LBB99_141:
	s_and_saveexec_b64 s[12:13], s[6:7]
	s_cbranch_execz .LBB99_145
; %bb.142:
	v_mov_b32_e32 v87, 0
	v_add_u32_e32 v87, 0x54, v87
	v_subrev_u32_e32 v88, 21, v0
	s_movk_i32 s14, 0xe4
	s_mov_b64 s[6:7], 0
.LBB99_143:                             ; =>This Inner Loop Header: Depth=1
	buffer_load_dword v89, v87, s[0:3], 0 offen
	v_mov_b32_e32 v90, s14
	ds_read_b32 v90, v90
	v_add_u32_e32 v88, -1, v88
	s_add_i32 s14, s14, 4
	v_cmp_eq_u32_e32 vcc, 0, v88
	v_add_u32_e32 v87, 4, v87
	s_or_b64 s[6:7], vcc, s[6:7]
	s_waitcnt vmcnt(0) lgkmcnt(0)
	v_fmac_f32_e32 v86, v89, v90
	s_andn2_b64 exec, exec, s[6:7]
	s_cbranch_execnz .LBB99_143
; %bb.144:
	s_or_b64 exec, exec, s[6:7]
.LBB99_145:
	s_or_b64 exec, exec, s[12:13]
	v_mov_b32_e32 v87, 0
	ds_read_b32 v87, v87 offset:80
	s_waitcnt lgkmcnt(0)
	v_mul_f32_e32 v86, v86, v87
	buffer_store_dword v86, off, s[0:3], 0 offset:80
.LBB99_146:
	s_or_b64 exec, exec, s[10:11]
	buffer_load_dword v86, off, s[0:3], 0 offset:76
	v_cmp_lt_u32_e64 s[6:7], 19, v0
	s_waitcnt vmcnt(0)
	ds_write_b32 v74, v86
	s_waitcnt lgkmcnt(0)
	; wave barrier
	s_waitcnt lgkmcnt(0)
	s_and_saveexec_b64 s[10:11], s[6:7]
	s_cbranch_execz .LBB99_156
; %bb.147:
	s_andn2_b64 vcc, exec, s[8:9]
	s_cbranch_vccnz .LBB99_149
; %bb.148:
	buffer_load_dword v86, v75, s[0:3], 0 offen
	ds_read_b32 v87, v74
	s_waitcnt vmcnt(0) lgkmcnt(0)
	v_mul_f32_e32 v86, v86, v87
	s_cbranch_execz .LBB99_150
	s_branch .LBB99_151
.LBB99_149:
                                        ; implicit-def: $vgpr86
.LBB99_150:
	ds_read_b32 v86, v74
.LBB99_151:
	s_and_saveexec_b64 s[12:13], s[4:5]
	s_cbranch_execz .LBB99_155
; %bb.152:
	v_subrev_u32_e32 v87, 20, v0
	s_movk_i32 s14, 0xe0
	s_mov_b64 s[4:5], 0
.LBB99_153:                             ; =>This Inner Loop Header: Depth=1
	buffer_load_dword v88, v85, s[0:3], 0 offen
	v_mov_b32_e32 v89, s14
	ds_read_b32 v89, v89
	v_add_u32_e32 v87, -1, v87
	s_add_i32 s14, s14, 4
	v_cmp_eq_u32_e32 vcc, 0, v87
	v_add_u32_e32 v85, 4, v85
	s_or_b64 s[4:5], vcc, s[4:5]
	s_waitcnt vmcnt(0) lgkmcnt(0)
	v_fmac_f32_e32 v86, v88, v89
	s_andn2_b64 exec, exec, s[4:5]
	s_cbranch_execnz .LBB99_153
; %bb.154:
	s_or_b64 exec, exec, s[4:5]
.LBB99_155:
	s_or_b64 exec, exec, s[12:13]
	v_mov_b32_e32 v85, 0
	ds_read_b32 v85, v85 offset:76
	s_waitcnt lgkmcnt(0)
	v_mul_f32_e32 v85, v86, v85
	buffer_store_dword v85, off, s[0:3], 0 offset:76
.LBB99_156:
	s_or_b64 exec, exec, s[10:11]
	buffer_load_dword v85, off, s[0:3], 0 offset:72
	v_cmp_lt_u32_e64 s[4:5], 18, v0
	s_waitcnt vmcnt(0)
	ds_write_b32 v74, v85
	s_waitcnt lgkmcnt(0)
	; wave barrier
	s_waitcnt lgkmcnt(0)
	s_and_saveexec_b64 s[10:11], s[4:5]
	s_cbranch_execz .LBB99_166
; %bb.157:
	s_andn2_b64 vcc, exec, s[8:9]
	s_cbranch_vccnz .LBB99_159
; %bb.158:
	buffer_load_dword v85, v75, s[0:3], 0 offen
	ds_read_b32 v86, v74
	s_waitcnt vmcnt(0) lgkmcnt(0)
	v_mul_f32_e32 v85, v85, v86
	s_cbranch_execz .LBB99_160
	s_branch .LBB99_161
.LBB99_159:
                                        ; implicit-def: $vgpr85
.LBB99_160:
	ds_read_b32 v85, v74
.LBB99_161:
	s_and_saveexec_b64 s[12:13], s[6:7]
	s_cbranch_execz .LBB99_165
; %bb.162:
	v_mov_b32_e32 v86, 0
	v_add_u32_e32 v86, 0x4c, v86
	v_subrev_u32_e32 v87, 19, v0
	s_movk_i32 s14, 0xdc
	s_mov_b64 s[6:7], 0
.LBB99_163:                             ; =>This Inner Loop Header: Depth=1
	buffer_load_dword v88, v86, s[0:3], 0 offen
	v_mov_b32_e32 v89, s14
	ds_read_b32 v89, v89
	v_add_u32_e32 v87, -1, v87
	s_add_i32 s14, s14, 4
	v_cmp_eq_u32_e32 vcc, 0, v87
	v_add_u32_e32 v86, 4, v86
	s_or_b64 s[6:7], vcc, s[6:7]
	s_waitcnt vmcnt(0) lgkmcnt(0)
	v_fmac_f32_e32 v85, v88, v89
	s_andn2_b64 exec, exec, s[6:7]
	s_cbranch_execnz .LBB99_163
; %bb.164:
	s_or_b64 exec, exec, s[6:7]
.LBB99_165:
	s_or_b64 exec, exec, s[12:13]
	v_mov_b32_e32 v86, 0
	ds_read_b32 v86, v86 offset:72
	s_waitcnt lgkmcnt(0)
	v_mul_f32_e32 v85, v85, v86
	buffer_store_dword v85, off, s[0:3], 0 offset:72
.LBB99_166:
	s_or_b64 exec, exec, s[10:11]
	buffer_load_dword v85, off, s[0:3], 0 offset:68
	v_cmp_lt_u32_e64 s[6:7], 17, v0
	s_waitcnt vmcnt(0)
	ds_write_b32 v74, v85
	s_waitcnt lgkmcnt(0)
	; wave barrier
	s_waitcnt lgkmcnt(0)
	s_and_saveexec_b64 s[10:11], s[6:7]
	s_cbranch_execz .LBB99_176
; %bb.167:
	s_andn2_b64 vcc, exec, s[8:9]
	s_cbranch_vccnz .LBB99_169
; %bb.168:
	buffer_load_dword v85, v75, s[0:3], 0 offen
	ds_read_b32 v86, v74
	s_waitcnt vmcnt(0) lgkmcnt(0)
	v_mul_f32_e32 v85, v85, v86
	s_cbranch_execz .LBB99_170
	s_branch .LBB99_171
.LBB99_169:
                                        ; implicit-def: $vgpr85
.LBB99_170:
	ds_read_b32 v85, v74
.LBB99_171:
	s_and_saveexec_b64 s[12:13], s[4:5]
	s_cbranch_execz .LBB99_175
; %bb.172:
	v_subrev_u32_e32 v86, 18, v0
	s_movk_i32 s14, 0xd8
	s_mov_b64 s[4:5], 0
.LBB99_173:                             ; =>This Inner Loop Header: Depth=1
	buffer_load_dword v87, v84, s[0:3], 0 offen
	v_mov_b32_e32 v88, s14
	ds_read_b32 v88, v88
	v_add_u32_e32 v86, -1, v86
	s_add_i32 s14, s14, 4
	v_cmp_eq_u32_e32 vcc, 0, v86
	v_add_u32_e32 v84, 4, v84
	s_or_b64 s[4:5], vcc, s[4:5]
	s_waitcnt vmcnt(0) lgkmcnt(0)
	v_fmac_f32_e32 v85, v87, v88
	s_andn2_b64 exec, exec, s[4:5]
	s_cbranch_execnz .LBB99_173
; %bb.174:
	s_or_b64 exec, exec, s[4:5]
.LBB99_175:
	s_or_b64 exec, exec, s[12:13]
	v_mov_b32_e32 v84, 0
	ds_read_b32 v84, v84 offset:68
	s_waitcnt lgkmcnt(0)
	v_mul_f32_e32 v84, v85, v84
	buffer_store_dword v84, off, s[0:3], 0 offset:68
.LBB99_176:
	s_or_b64 exec, exec, s[10:11]
	buffer_load_dword v84, off, s[0:3], 0 offset:64
	v_cmp_lt_u32_e64 s[4:5], 16, v0
	s_waitcnt vmcnt(0)
	ds_write_b32 v74, v84
	s_waitcnt lgkmcnt(0)
	; wave barrier
	s_waitcnt lgkmcnt(0)
	s_and_saveexec_b64 s[10:11], s[4:5]
	s_cbranch_execz .LBB99_186
; %bb.177:
	s_andn2_b64 vcc, exec, s[8:9]
	s_cbranch_vccnz .LBB99_179
; %bb.178:
	buffer_load_dword v84, v75, s[0:3], 0 offen
	ds_read_b32 v85, v74
	s_waitcnt vmcnt(0) lgkmcnt(0)
	v_mul_f32_e32 v84, v84, v85
	s_cbranch_execz .LBB99_180
	s_branch .LBB99_181
.LBB99_179:
                                        ; implicit-def: $vgpr84
.LBB99_180:
	ds_read_b32 v84, v74
.LBB99_181:
	s_and_saveexec_b64 s[12:13], s[6:7]
	s_cbranch_execz .LBB99_185
; %bb.182:
	v_mov_b32_e32 v85, 0
	v_add_u32_e32 v85, 0x44, v85
	v_subrev_u32_e32 v86, 17, v0
	s_movk_i32 s14, 0xd4
	s_mov_b64 s[6:7], 0
.LBB99_183:                             ; =>This Inner Loop Header: Depth=1
	buffer_load_dword v87, v85, s[0:3], 0 offen
	v_mov_b32_e32 v88, s14
	ds_read_b32 v88, v88
	v_add_u32_e32 v86, -1, v86
	s_add_i32 s14, s14, 4
	v_cmp_eq_u32_e32 vcc, 0, v86
	v_add_u32_e32 v85, 4, v85
	s_or_b64 s[6:7], vcc, s[6:7]
	s_waitcnt vmcnt(0) lgkmcnt(0)
	v_fmac_f32_e32 v84, v87, v88
	s_andn2_b64 exec, exec, s[6:7]
	s_cbranch_execnz .LBB99_183
; %bb.184:
	s_or_b64 exec, exec, s[6:7]
.LBB99_185:
	s_or_b64 exec, exec, s[12:13]
	v_mov_b32_e32 v85, 0
	ds_read_b32 v85, v85 offset:64
	s_waitcnt lgkmcnt(0)
	v_mul_f32_e32 v84, v84, v85
	buffer_store_dword v84, off, s[0:3], 0 offset:64
.LBB99_186:
	s_or_b64 exec, exec, s[10:11]
	buffer_load_dword v84, off, s[0:3], 0 offset:60
	v_cmp_lt_u32_e64 s[6:7], 15, v0
	s_waitcnt vmcnt(0)
	ds_write_b32 v74, v84
	s_waitcnt lgkmcnt(0)
	; wave barrier
	s_waitcnt lgkmcnt(0)
	s_and_saveexec_b64 s[10:11], s[6:7]
	s_cbranch_execz .LBB99_196
; %bb.187:
	s_andn2_b64 vcc, exec, s[8:9]
	s_cbranch_vccnz .LBB99_189
; %bb.188:
	buffer_load_dword v84, v75, s[0:3], 0 offen
	ds_read_b32 v85, v74
	s_waitcnt vmcnt(0) lgkmcnt(0)
	v_mul_f32_e32 v84, v84, v85
	s_cbranch_execz .LBB99_190
	s_branch .LBB99_191
.LBB99_189:
                                        ; implicit-def: $vgpr84
.LBB99_190:
	ds_read_b32 v84, v74
.LBB99_191:
	s_and_saveexec_b64 s[12:13], s[4:5]
	s_cbranch_execz .LBB99_195
; %bb.192:
	v_add_u32_e32 v85, -16, v0
	s_movk_i32 s14, 0xd0
	s_mov_b64 s[4:5], 0
.LBB99_193:                             ; =>This Inner Loop Header: Depth=1
	buffer_load_dword v86, v83, s[0:3], 0 offen
	v_mov_b32_e32 v87, s14
	ds_read_b32 v87, v87
	v_add_u32_e32 v85, -1, v85
	s_add_i32 s14, s14, 4
	v_cmp_eq_u32_e32 vcc, 0, v85
	v_add_u32_e32 v83, 4, v83
	s_or_b64 s[4:5], vcc, s[4:5]
	s_waitcnt vmcnt(0) lgkmcnt(0)
	v_fmac_f32_e32 v84, v86, v87
	s_andn2_b64 exec, exec, s[4:5]
	s_cbranch_execnz .LBB99_193
; %bb.194:
	s_or_b64 exec, exec, s[4:5]
.LBB99_195:
	s_or_b64 exec, exec, s[12:13]
	v_mov_b32_e32 v83, 0
	ds_read_b32 v83, v83 offset:60
	s_waitcnt lgkmcnt(0)
	v_mul_f32_e32 v83, v84, v83
	buffer_store_dword v83, off, s[0:3], 0 offset:60
.LBB99_196:
	s_or_b64 exec, exec, s[10:11]
	buffer_load_dword v83, off, s[0:3], 0 offset:56
	v_cmp_lt_u32_e64 s[4:5], 14, v0
	s_waitcnt vmcnt(0)
	ds_write_b32 v74, v83
	s_waitcnt lgkmcnt(0)
	; wave barrier
	s_waitcnt lgkmcnt(0)
	s_and_saveexec_b64 s[10:11], s[4:5]
	s_cbranch_execz .LBB99_206
; %bb.197:
	s_andn2_b64 vcc, exec, s[8:9]
	s_cbranch_vccnz .LBB99_199
; %bb.198:
	buffer_load_dword v83, v75, s[0:3], 0 offen
	ds_read_b32 v84, v74
	s_waitcnt vmcnt(0) lgkmcnt(0)
	v_mul_f32_e32 v83, v83, v84
	s_cbranch_execz .LBB99_200
	s_branch .LBB99_201
.LBB99_199:
                                        ; implicit-def: $vgpr83
.LBB99_200:
	ds_read_b32 v83, v74
.LBB99_201:
	s_and_saveexec_b64 s[12:13], s[6:7]
	s_cbranch_execz .LBB99_205
; %bb.202:
	v_mov_b32_e32 v84, 0
	v_add_u32_e32 v84, 60, v84
	v_add_u32_e32 v85, -15, v0
	s_movk_i32 s14, 0xcc
	s_mov_b64 s[6:7], 0
.LBB99_203:                             ; =>This Inner Loop Header: Depth=1
	buffer_load_dword v86, v84, s[0:3], 0 offen
	v_mov_b32_e32 v87, s14
	ds_read_b32 v87, v87
	v_add_u32_e32 v85, -1, v85
	s_add_i32 s14, s14, 4
	v_cmp_eq_u32_e32 vcc, 0, v85
	v_add_u32_e32 v84, 4, v84
	s_or_b64 s[6:7], vcc, s[6:7]
	s_waitcnt vmcnt(0) lgkmcnt(0)
	v_fmac_f32_e32 v83, v86, v87
	s_andn2_b64 exec, exec, s[6:7]
	s_cbranch_execnz .LBB99_203
; %bb.204:
	s_or_b64 exec, exec, s[6:7]
.LBB99_205:
	s_or_b64 exec, exec, s[12:13]
	v_mov_b32_e32 v84, 0
	ds_read_b32 v84, v84 offset:56
	s_waitcnt lgkmcnt(0)
	v_mul_f32_e32 v83, v83, v84
	buffer_store_dword v83, off, s[0:3], 0 offset:56
.LBB99_206:
	s_or_b64 exec, exec, s[10:11]
	buffer_load_dword v83, off, s[0:3], 0 offset:52
	v_cmp_lt_u32_e64 s[6:7], 13, v0
	s_waitcnt vmcnt(0)
	ds_write_b32 v74, v83
	s_waitcnt lgkmcnt(0)
	; wave barrier
	s_waitcnt lgkmcnt(0)
	s_and_saveexec_b64 s[10:11], s[6:7]
	s_cbranch_execz .LBB99_216
; %bb.207:
	s_andn2_b64 vcc, exec, s[8:9]
	s_cbranch_vccnz .LBB99_209
; %bb.208:
	buffer_load_dword v83, v75, s[0:3], 0 offen
	ds_read_b32 v84, v74
	s_waitcnt vmcnt(0) lgkmcnt(0)
	v_mul_f32_e32 v83, v83, v84
	s_cbranch_execz .LBB99_210
	s_branch .LBB99_211
.LBB99_209:
                                        ; implicit-def: $vgpr83
.LBB99_210:
	ds_read_b32 v83, v74
.LBB99_211:
	s_and_saveexec_b64 s[12:13], s[4:5]
	s_cbranch_execz .LBB99_215
; %bb.212:
	v_add_u32_e32 v84, -14, v0
	s_movk_i32 s14, 0xc8
	s_mov_b64 s[4:5], 0
.LBB99_213:                             ; =>This Inner Loop Header: Depth=1
	buffer_load_dword v85, v82, s[0:3], 0 offen
	v_mov_b32_e32 v86, s14
	ds_read_b32 v86, v86
	v_add_u32_e32 v84, -1, v84
	s_add_i32 s14, s14, 4
	v_cmp_eq_u32_e32 vcc, 0, v84
	v_add_u32_e32 v82, 4, v82
	s_or_b64 s[4:5], vcc, s[4:5]
	s_waitcnt vmcnt(0) lgkmcnt(0)
	v_fmac_f32_e32 v83, v85, v86
	s_andn2_b64 exec, exec, s[4:5]
	s_cbranch_execnz .LBB99_213
; %bb.214:
	s_or_b64 exec, exec, s[4:5]
.LBB99_215:
	s_or_b64 exec, exec, s[12:13]
	v_mov_b32_e32 v82, 0
	ds_read_b32 v82, v82 offset:52
	s_waitcnt lgkmcnt(0)
	v_mul_f32_e32 v82, v83, v82
	buffer_store_dword v82, off, s[0:3], 0 offset:52
.LBB99_216:
	s_or_b64 exec, exec, s[10:11]
	buffer_load_dword v82, off, s[0:3], 0 offset:48
	v_cmp_lt_u32_e64 s[4:5], 12, v0
	s_waitcnt vmcnt(0)
	ds_write_b32 v74, v82
	s_waitcnt lgkmcnt(0)
	; wave barrier
	s_waitcnt lgkmcnt(0)
	s_and_saveexec_b64 s[10:11], s[4:5]
	s_cbranch_execz .LBB99_226
; %bb.217:
	s_andn2_b64 vcc, exec, s[8:9]
	s_cbranch_vccnz .LBB99_219
; %bb.218:
	buffer_load_dword v82, v75, s[0:3], 0 offen
	ds_read_b32 v83, v74
	s_waitcnt vmcnt(0) lgkmcnt(0)
	v_mul_f32_e32 v82, v82, v83
	s_cbranch_execz .LBB99_220
	s_branch .LBB99_221
.LBB99_219:
                                        ; implicit-def: $vgpr82
.LBB99_220:
	ds_read_b32 v82, v74
.LBB99_221:
	s_and_saveexec_b64 s[12:13], s[6:7]
	s_cbranch_execz .LBB99_225
; %bb.222:
	v_mov_b32_e32 v83, 0
	v_add_u32_e32 v83, 52, v83
	v_add_u32_e32 v84, -13, v0
	s_movk_i32 s14, 0xc4
	s_mov_b64 s[6:7], 0
.LBB99_223:                             ; =>This Inner Loop Header: Depth=1
	buffer_load_dword v85, v83, s[0:3], 0 offen
	v_mov_b32_e32 v86, s14
	ds_read_b32 v86, v86
	v_add_u32_e32 v84, -1, v84
	s_add_i32 s14, s14, 4
	v_cmp_eq_u32_e32 vcc, 0, v84
	v_add_u32_e32 v83, 4, v83
	s_or_b64 s[6:7], vcc, s[6:7]
	s_waitcnt vmcnt(0) lgkmcnt(0)
	v_fmac_f32_e32 v82, v85, v86
	s_andn2_b64 exec, exec, s[6:7]
	s_cbranch_execnz .LBB99_223
; %bb.224:
	s_or_b64 exec, exec, s[6:7]
.LBB99_225:
	s_or_b64 exec, exec, s[12:13]
	v_mov_b32_e32 v83, 0
	ds_read_b32 v83, v83 offset:48
	s_waitcnt lgkmcnt(0)
	v_mul_f32_e32 v82, v82, v83
	buffer_store_dword v82, off, s[0:3], 0 offset:48
.LBB99_226:
	s_or_b64 exec, exec, s[10:11]
	buffer_load_dword v82, off, s[0:3], 0 offset:44
	v_cmp_lt_u32_e64 s[6:7], 11, v0
	s_waitcnt vmcnt(0)
	ds_write_b32 v74, v82
	s_waitcnt lgkmcnt(0)
	; wave barrier
	s_waitcnt lgkmcnt(0)
	s_and_saveexec_b64 s[10:11], s[6:7]
	s_cbranch_execz .LBB99_236
; %bb.227:
	s_andn2_b64 vcc, exec, s[8:9]
	s_cbranch_vccnz .LBB99_229
; %bb.228:
	buffer_load_dword v82, v75, s[0:3], 0 offen
	ds_read_b32 v83, v74
	s_waitcnt vmcnt(0) lgkmcnt(0)
	v_mul_f32_e32 v82, v82, v83
	s_cbranch_execz .LBB99_230
	s_branch .LBB99_231
.LBB99_229:
                                        ; implicit-def: $vgpr82
.LBB99_230:
	ds_read_b32 v82, v74
.LBB99_231:
	s_and_saveexec_b64 s[12:13], s[4:5]
	s_cbranch_execz .LBB99_235
; %bb.232:
	v_add_u32_e32 v83, -12, v0
	s_movk_i32 s14, 0xc0
	s_mov_b64 s[4:5], 0
.LBB99_233:                             ; =>This Inner Loop Header: Depth=1
	buffer_load_dword v84, v81, s[0:3], 0 offen
	v_mov_b32_e32 v85, s14
	ds_read_b32 v85, v85
	v_add_u32_e32 v83, -1, v83
	s_add_i32 s14, s14, 4
	v_cmp_eq_u32_e32 vcc, 0, v83
	v_add_u32_e32 v81, 4, v81
	s_or_b64 s[4:5], vcc, s[4:5]
	s_waitcnt vmcnt(0) lgkmcnt(0)
	v_fmac_f32_e32 v82, v84, v85
	s_andn2_b64 exec, exec, s[4:5]
	s_cbranch_execnz .LBB99_233
; %bb.234:
	s_or_b64 exec, exec, s[4:5]
.LBB99_235:
	s_or_b64 exec, exec, s[12:13]
	v_mov_b32_e32 v81, 0
	ds_read_b32 v81, v81 offset:44
	s_waitcnt lgkmcnt(0)
	v_mul_f32_e32 v81, v82, v81
	buffer_store_dword v81, off, s[0:3], 0 offset:44
.LBB99_236:
	s_or_b64 exec, exec, s[10:11]
	buffer_load_dword v81, off, s[0:3], 0 offset:40
	v_cmp_lt_u32_e64 s[4:5], 10, v0
	s_waitcnt vmcnt(0)
	ds_write_b32 v74, v81
	s_waitcnt lgkmcnt(0)
	; wave barrier
	s_waitcnt lgkmcnt(0)
	s_and_saveexec_b64 s[10:11], s[4:5]
	s_cbranch_execz .LBB99_246
; %bb.237:
	s_andn2_b64 vcc, exec, s[8:9]
	s_cbranch_vccnz .LBB99_239
; %bb.238:
	buffer_load_dword v81, v75, s[0:3], 0 offen
	ds_read_b32 v82, v74
	s_waitcnt vmcnt(0) lgkmcnt(0)
	v_mul_f32_e32 v81, v81, v82
	s_cbranch_execz .LBB99_240
	s_branch .LBB99_241
.LBB99_239:
                                        ; implicit-def: $vgpr81
.LBB99_240:
	ds_read_b32 v81, v74
.LBB99_241:
	s_and_saveexec_b64 s[12:13], s[6:7]
	s_cbranch_execz .LBB99_245
; %bb.242:
	v_mov_b32_e32 v82, 0
	v_add_u32_e32 v82, 44, v82
	v_add_u32_e32 v83, -11, v0
	s_movk_i32 s14, 0xbc
	s_mov_b64 s[6:7], 0
.LBB99_243:                             ; =>This Inner Loop Header: Depth=1
	buffer_load_dword v84, v82, s[0:3], 0 offen
	v_mov_b32_e32 v85, s14
	ds_read_b32 v85, v85
	v_add_u32_e32 v83, -1, v83
	s_add_i32 s14, s14, 4
	v_cmp_eq_u32_e32 vcc, 0, v83
	v_add_u32_e32 v82, 4, v82
	s_or_b64 s[6:7], vcc, s[6:7]
	s_waitcnt vmcnt(0) lgkmcnt(0)
	v_fmac_f32_e32 v81, v84, v85
	s_andn2_b64 exec, exec, s[6:7]
	s_cbranch_execnz .LBB99_243
; %bb.244:
	s_or_b64 exec, exec, s[6:7]
.LBB99_245:
	s_or_b64 exec, exec, s[12:13]
	v_mov_b32_e32 v82, 0
	ds_read_b32 v82, v82 offset:40
	s_waitcnt lgkmcnt(0)
	v_mul_f32_e32 v81, v81, v82
	buffer_store_dword v81, off, s[0:3], 0 offset:40
.LBB99_246:
	s_or_b64 exec, exec, s[10:11]
	buffer_load_dword v81, off, s[0:3], 0 offset:36
	v_cmp_lt_u32_e64 s[6:7], 9, v0
	s_waitcnt vmcnt(0)
	ds_write_b32 v74, v81
	s_waitcnt lgkmcnt(0)
	; wave barrier
	s_waitcnt lgkmcnt(0)
	s_and_saveexec_b64 s[10:11], s[6:7]
	s_cbranch_execz .LBB99_256
; %bb.247:
	s_andn2_b64 vcc, exec, s[8:9]
	s_cbranch_vccnz .LBB99_249
; %bb.248:
	buffer_load_dword v81, v75, s[0:3], 0 offen
	ds_read_b32 v82, v74
	s_waitcnt vmcnt(0) lgkmcnt(0)
	v_mul_f32_e32 v81, v81, v82
	s_cbranch_execz .LBB99_250
	s_branch .LBB99_251
.LBB99_249:
                                        ; implicit-def: $vgpr81
.LBB99_250:
	ds_read_b32 v81, v74
.LBB99_251:
	s_and_saveexec_b64 s[12:13], s[4:5]
	s_cbranch_execz .LBB99_255
; %bb.252:
	v_add_u32_e32 v82, -10, v0
	s_movk_i32 s14, 0xb8
	s_mov_b64 s[4:5], 0
.LBB99_253:                             ; =>This Inner Loop Header: Depth=1
	buffer_load_dword v83, v80, s[0:3], 0 offen
	v_mov_b32_e32 v84, s14
	ds_read_b32 v84, v84
	v_add_u32_e32 v82, -1, v82
	s_add_i32 s14, s14, 4
	v_cmp_eq_u32_e32 vcc, 0, v82
	v_add_u32_e32 v80, 4, v80
	s_or_b64 s[4:5], vcc, s[4:5]
	s_waitcnt vmcnt(0) lgkmcnt(0)
	v_fmac_f32_e32 v81, v83, v84
	s_andn2_b64 exec, exec, s[4:5]
	s_cbranch_execnz .LBB99_253
; %bb.254:
	s_or_b64 exec, exec, s[4:5]
.LBB99_255:
	s_or_b64 exec, exec, s[12:13]
	v_mov_b32_e32 v80, 0
	ds_read_b32 v80, v80 offset:36
	s_waitcnt lgkmcnt(0)
	v_mul_f32_e32 v80, v81, v80
	buffer_store_dword v80, off, s[0:3], 0 offset:36
.LBB99_256:
	s_or_b64 exec, exec, s[10:11]
	buffer_load_dword v80, off, s[0:3], 0 offset:32
	v_cmp_lt_u32_e64 s[4:5], 8, v0
	s_waitcnt vmcnt(0)
	ds_write_b32 v74, v80
	s_waitcnt lgkmcnt(0)
	; wave barrier
	s_waitcnt lgkmcnt(0)
	s_and_saveexec_b64 s[10:11], s[4:5]
	s_cbranch_execz .LBB99_266
; %bb.257:
	s_andn2_b64 vcc, exec, s[8:9]
	s_cbranch_vccnz .LBB99_259
; %bb.258:
	buffer_load_dword v80, v75, s[0:3], 0 offen
	ds_read_b32 v81, v74
	s_waitcnt vmcnt(0) lgkmcnt(0)
	v_mul_f32_e32 v80, v80, v81
	s_cbranch_execz .LBB99_260
	s_branch .LBB99_261
.LBB99_259:
                                        ; implicit-def: $vgpr80
.LBB99_260:
	ds_read_b32 v80, v74
.LBB99_261:
	s_and_saveexec_b64 s[12:13], s[6:7]
	s_cbranch_execz .LBB99_265
; %bb.262:
	v_mov_b32_e32 v81, 0
	v_add_u32_e32 v81, 36, v81
	v_add_u32_e32 v82, -9, v0
	s_movk_i32 s14, 0xb4
	s_mov_b64 s[6:7], 0
.LBB99_263:                             ; =>This Inner Loop Header: Depth=1
	buffer_load_dword v83, v81, s[0:3], 0 offen
	v_mov_b32_e32 v84, s14
	ds_read_b32 v84, v84
	v_add_u32_e32 v82, -1, v82
	s_add_i32 s14, s14, 4
	v_cmp_eq_u32_e32 vcc, 0, v82
	v_add_u32_e32 v81, 4, v81
	s_or_b64 s[6:7], vcc, s[6:7]
	s_waitcnt vmcnt(0) lgkmcnt(0)
	v_fmac_f32_e32 v80, v83, v84
	s_andn2_b64 exec, exec, s[6:7]
	s_cbranch_execnz .LBB99_263
; %bb.264:
	s_or_b64 exec, exec, s[6:7]
.LBB99_265:
	s_or_b64 exec, exec, s[12:13]
	v_mov_b32_e32 v81, 0
	ds_read_b32 v81, v81 offset:32
	s_waitcnt lgkmcnt(0)
	v_mul_f32_e32 v80, v80, v81
	buffer_store_dword v80, off, s[0:3], 0 offset:32
.LBB99_266:
	s_or_b64 exec, exec, s[10:11]
	buffer_load_dword v80, off, s[0:3], 0 offset:28
	v_cmp_lt_u32_e64 s[6:7], 7, v0
	s_waitcnt vmcnt(0)
	ds_write_b32 v74, v80
	s_waitcnt lgkmcnt(0)
	; wave barrier
	s_waitcnt lgkmcnt(0)
	s_and_saveexec_b64 s[10:11], s[6:7]
	s_cbranch_execz .LBB99_276
; %bb.267:
	s_andn2_b64 vcc, exec, s[8:9]
	s_cbranch_vccnz .LBB99_269
; %bb.268:
	buffer_load_dword v80, v75, s[0:3], 0 offen
	ds_read_b32 v81, v74
	s_waitcnt vmcnt(0) lgkmcnt(0)
	v_mul_f32_e32 v80, v80, v81
	s_cbranch_execz .LBB99_270
	s_branch .LBB99_271
.LBB99_269:
                                        ; implicit-def: $vgpr80
.LBB99_270:
	ds_read_b32 v80, v74
.LBB99_271:
	s_and_saveexec_b64 s[12:13], s[4:5]
	s_cbranch_execz .LBB99_275
; %bb.272:
	v_add_u32_e32 v81, -8, v0
	s_movk_i32 s14, 0xb0
	s_mov_b64 s[4:5], 0
.LBB99_273:                             ; =>This Inner Loop Header: Depth=1
	buffer_load_dword v82, v79, s[0:3], 0 offen
	v_mov_b32_e32 v83, s14
	ds_read_b32 v83, v83
	v_add_u32_e32 v81, -1, v81
	s_add_i32 s14, s14, 4
	v_cmp_eq_u32_e32 vcc, 0, v81
	v_add_u32_e32 v79, 4, v79
	s_or_b64 s[4:5], vcc, s[4:5]
	s_waitcnt vmcnt(0) lgkmcnt(0)
	v_fmac_f32_e32 v80, v82, v83
	s_andn2_b64 exec, exec, s[4:5]
	s_cbranch_execnz .LBB99_273
; %bb.274:
	s_or_b64 exec, exec, s[4:5]
.LBB99_275:
	s_or_b64 exec, exec, s[12:13]
	v_mov_b32_e32 v79, 0
	ds_read_b32 v79, v79 offset:28
	s_waitcnt lgkmcnt(0)
	v_mul_f32_e32 v79, v80, v79
	buffer_store_dword v79, off, s[0:3], 0 offset:28
.LBB99_276:
	s_or_b64 exec, exec, s[10:11]
	buffer_load_dword v79, off, s[0:3], 0 offset:24
	v_cmp_lt_u32_e64 s[4:5], 6, v0
	s_waitcnt vmcnt(0)
	ds_write_b32 v74, v79
	s_waitcnt lgkmcnt(0)
	; wave barrier
	s_waitcnt lgkmcnt(0)
	s_and_saveexec_b64 s[10:11], s[4:5]
	s_cbranch_execz .LBB99_286
; %bb.277:
	s_andn2_b64 vcc, exec, s[8:9]
	s_cbranch_vccnz .LBB99_279
; %bb.278:
	buffer_load_dword v79, v75, s[0:3], 0 offen
	ds_read_b32 v80, v74
	s_waitcnt vmcnt(0) lgkmcnt(0)
	v_mul_f32_e32 v79, v79, v80
	s_cbranch_execz .LBB99_280
	s_branch .LBB99_281
.LBB99_279:
                                        ; implicit-def: $vgpr79
.LBB99_280:
	ds_read_b32 v79, v74
.LBB99_281:
	s_and_saveexec_b64 s[12:13], s[6:7]
	s_cbranch_execz .LBB99_285
; %bb.282:
	v_mov_b32_e32 v80, 0
	v_add_u32_e32 v80, 28, v80
	v_add_u32_e32 v81, -7, v0
	s_movk_i32 s14, 0xac
	s_mov_b64 s[6:7], 0
.LBB99_283:                             ; =>This Inner Loop Header: Depth=1
	buffer_load_dword v82, v80, s[0:3], 0 offen
	v_mov_b32_e32 v83, s14
	ds_read_b32 v83, v83
	v_add_u32_e32 v81, -1, v81
	s_add_i32 s14, s14, 4
	v_cmp_eq_u32_e32 vcc, 0, v81
	v_add_u32_e32 v80, 4, v80
	s_or_b64 s[6:7], vcc, s[6:7]
	s_waitcnt vmcnt(0) lgkmcnt(0)
	v_fmac_f32_e32 v79, v82, v83
	s_andn2_b64 exec, exec, s[6:7]
	s_cbranch_execnz .LBB99_283
; %bb.284:
	s_or_b64 exec, exec, s[6:7]
.LBB99_285:
	s_or_b64 exec, exec, s[12:13]
	v_mov_b32_e32 v80, 0
	ds_read_b32 v80, v80 offset:24
	s_waitcnt lgkmcnt(0)
	v_mul_f32_e32 v79, v79, v80
	buffer_store_dword v79, off, s[0:3], 0 offset:24
.LBB99_286:
	s_or_b64 exec, exec, s[10:11]
	buffer_load_dword v79, off, s[0:3], 0 offset:20
	v_cmp_lt_u32_e64 s[6:7], 5, v0
	s_waitcnt vmcnt(0)
	ds_write_b32 v74, v79
	s_waitcnt lgkmcnt(0)
	; wave barrier
	s_waitcnt lgkmcnt(0)
	s_and_saveexec_b64 s[10:11], s[6:7]
	s_cbranch_execz .LBB99_296
; %bb.287:
	s_andn2_b64 vcc, exec, s[8:9]
	s_cbranch_vccnz .LBB99_289
; %bb.288:
	buffer_load_dword v79, v75, s[0:3], 0 offen
	ds_read_b32 v80, v74
	s_waitcnt vmcnt(0) lgkmcnt(0)
	v_mul_f32_e32 v79, v79, v80
	s_cbranch_execz .LBB99_290
	s_branch .LBB99_291
.LBB99_289:
                                        ; implicit-def: $vgpr79
.LBB99_290:
	ds_read_b32 v79, v74
.LBB99_291:
	s_and_saveexec_b64 s[12:13], s[4:5]
	s_cbranch_execz .LBB99_295
; %bb.292:
	v_add_u32_e32 v80, -6, v0
	s_movk_i32 s14, 0xa8
	s_mov_b64 s[4:5], 0
.LBB99_293:                             ; =>This Inner Loop Header: Depth=1
	buffer_load_dword v81, v78, s[0:3], 0 offen
	v_mov_b32_e32 v82, s14
	ds_read_b32 v82, v82
	v_add_u32_e32 v80, -1, v80
	s_add_i32 s14, s14, 4
	v_cmp_eq_u32_e32 vcc, 0, v80
	v_add_u32_e32 v78, 4, v78
	s_or_b64 s[4:5], vcc, s[4:5]
	s_waitcnt vmcnt(0) lgkmcnt(0)
	v_fmac_f32_e32 v79, v81, v82
	s_andn2_b64 exec, exec, s[4:5]
	s_cbranch_execnz .LBB99_293
; %bb.294:
	s_or_b64 exec, exec, s[4:5]
.LBB99_295:
	s_or_b64 exec, exec, s[12:13]
	v_mov_b32_e32 v78, 0
	ds_read_b32 v78, v78 offset:20
	s_waitcnt lgkmcnt(0)
	v_mul_f32_e32 v78, v79, v78
	buffer_store_dword v78, off, s[0:3], 0 offset:20
.LBB99_296:
	s_or_b64 exec, exec, s[10:11]
	buffer_load_dword v78, off, s[0:3], 0 offset:16
	v_cmp_lt_u32_e64 s[4:5], 4, v0
	s_waitcnt vmcnt(0)
	ds_write_b32 v74, v78
	s_waitcnt lgkmcnt(0)
	; wave barrier
	s_waitcnt lgkmcnt(0)
	s_and_saveexec_b64 s[10:11], s[4:5]
	s_cbranch_execz .LBB99_306
; %bb.297:
	s_andn2_b64 vcc, exec, s[8:9]
	s_cbranch_vccnz .LBB99_299
; %bb.298:
	buffer_load_dword v78, v75, s[0:3], 0 offen
	ds_read_b32 v79, v74
	s_waitcnt vmcnt(0) lgkmcnt(0)
	v_mul_f32_e32 v78, v78, v79
	s_cbranch_execz .LBB99_300
	s_branch .LBB99_301
.LBB99_299:
                                        ; implicit-def: $vgpr78
.LBB99_300:
	ds_read_b32 v78, v74
.LBB99_301:
	s_and_saveexec_b64 s[12:13], s[6:7]
	s_cbranch_execz .LBB99_305
; %bb.302:
	v_mov_b32_e32 v79, 0
	v_add_u32_e32 v79, 20, v79
	v_add_u32_e32 v80, -5, v0
	s_movk_i32 s14, 0xa4
	s_mov_b64 s[6:7], 0
.LBB99_303:                             ; =>This Inner Loop Header: Depth=1
	buffer_load_dword v81, v79, s[0:3], 0 offen
	v_mov_b32_e32 v82, s14
	ds_read_b32 v82, v82
	v_add_u32_e32 v80, -1, v80
	s_add_i32 s14, s14, 4
	v_cmp_eq_u32_e32 vcc, 0, v80
	v_add_u32_e32 v79, 4, v79
	s_or_b64 s[6:7], vcc, s[6:7]
	s_waitcnt vmcnt(0) lgkmcnt(0)
	v_fmac_f32_e32 v78, v81, v82
	s_andn2_b64 exec, exec, s[6:7]
	s_cbranch_execnz .LBB99_303
; %bb.304:
	s_or_b64 exec, exec, s[6:7]
.LBB99_305:
	s_or_b64 exec, exec, s[12:13]
	v_mov_b32_e32 v79, 0
	ds_read_b32 v79, v79 offset:16
	s_waitcnt lgkmcnt(0)
	v_mul_f32_e32 v78, v78, v79
	buffer_store_dword v78, off, s[0:3], 0 offset:16
.LBB99_306:
	s_or_b64 exec, exec, s[10:11]
	buffer_load_dword v78, off, s[0:3], 0 offset:12
	v_cmp_lt_u32_e64 s[6:7], 3, v0
	s_waitcnt vmcnt(0)
	ds_write_b32 v74, v78
	s_waitcnt lgkmcnt(0)
	; wave barrier
	s_waitcnt lgkmcnt(0)
	s_and_saveexec_b64 s[10:11], s[6:7]
	s_cbranch_execz .LBB99_316
; %bb.307:
	s_andn2_b64 vcc, exec, s[8:9]
	s_cbranch_vccnz .LBB99_309
; %bb.308:
	buffer_load_dword v78, v75, s[0:3], 0 offen
	ds_read_b32 v79, v74
	s_waitcnt vmcnt(0) lgkmcnt(0)
	v_mul_f32_e32 v78, v78, v79
	s_cbranch_execz .LBB99_310
	s_branch .LBB99_311
.LBB99_309:
                                        ; implicit-def: $vgpr78
.LBB99_310:
	ds_read_b32 v78, v74
.LBB99_311:
	s_and_saveexec_b64 s[12:13], s[4:5]
	s_cbranch_execz .LBB99_315
; %bb.312:
	v_add_u32_e32 v79, -4, v0
	s_movk_i32 s14, 0xa0
	s_mov_b64 s[4:5], 0
.LBB99_313:                             ; =>This Inner Loop Header: Depth=1
	buffer_load_dword v80, v77, s[0:3], 0 offen
	v_mov_b32_e32 v81, s14
	ds_read_b32 v81, v81
	v_add_u32_e32 v79, -1, v79
	s_add_i32 s14, s14, 4
	v_cmp_eq_u32_e32 vcc, 0, v79
	v_add_u32_e32 v77, 4, v77
	s_or_b64 s[4:5], vcc, s[4:5]
	s_waitcnt vmcnt(0) lgkmcnt(0)
	v_fmac_f32_e32 v78, v80, v81
	s_andn2_b64 exec, exec, s[4:5]
	s_cbranch_execnz .LBB99_313
; %bb.314:
	s_or_b64 exec, exec, s[4:5]
.LBB99_315:
	s_or_b64 exec, exec, s[12:13]
	v_mov_b32_e32 v77, 0
	ds_read_b32 v77, v77 offset:12
	s_waitcnt lgkmcnt(0)
	v_mul_f32_e32 v77, v78, v77
	buffer_store_dword v77, off, s[0:3], 0 offset:12
.LBB99_316:
	s_or_b64 exec, exec, s[10:11]
	buffer_load_dword v77, off, s[0:3], 0 offset:8
	v_cmp_lt_u32_e64 s[4:5], 2, v0
	s_waitcnt vmcnt(0)
	ds_write_b32 v74, v77
	s_waitcnt lgkmcnt(0)
	; wave barrier
	s_waitcnt lgkmcnt(0)
	s_and_saveexec_b64 s[10:11], s[4:5]
	s_cbranch_execz .LBB99_326
; %bb.317:
	s_andn2_b64 vcc, exec, s[8:9]
	s_cbranch_vccnz .LBB99_319
; %bb.318:
	buffer_load_dword v77, v75, s[0:3], 0 offen
	ds_read_b32 v78, v74
	s_waitcnt vmcnt(0) lgkmcnt(0)
	v_mul_f32_e32 v77, v77, v78
	s_cbranch_execz .LBB99_320
	s_branch .LBB99_321
.LBB99_319:
                                        ; implicit-def: $vgpr77
.LBB99_320:
	ds_read_b32 v77, v74
.LBB99_321:
	s_and_saveexec_b64 s[12:13], s[6:7]
	s_cbranch_execz .LBB99_325
; %bb.322:
	v_mov_b32_e32 v78, 0
	v_or_b32_e32 v78, 12, v78
	v_add_u32_e32 v79, -3, v0
	s_movk_i32 s14, 0x9c
	s_mov_b64 s[6:7], 0
.LBB99_323:                             ; =>This Inner Loop Header: Depth=1
	buffer_load_dword v80, v78, s[0:3], 0 offen
	v_mov_b32_e32 v81, s14
	ds_read_b32 v81, v81
	v_add_u32_e32 v79, -1, v79
	s_add_i32 s14, s14, 4
	v_cmp_eq_u32_e32 vcc, 0, v79
	v_add_u32_e32 v78, 4, v78
	s_or_b64 s[6:7], vcc, s[6:7]
	s_waitcnt vmcnt(0) lgkmcnt(0)
	v_fmac_f32_e32 v77, v80, v81
	s_andn2_b64 exec, exec, s[6:7]
	s_cbranch_execnz .LBB99_323
; %bb.324:
	s_or_b64 exec, exec, s[6:7]
.LBB99_325:
	s_or_b64 exec, exec, s[12:13]
	v_mov_b32_e32 v78, 0
	ds_read_b32 v78, v78 offset:8
	s_waitcnt lgkmcnt(0)
	v_mul_f32_e32 v77, v77, v78
	buffer_store_dword v77, off, s[0:3], 0 offset:8
.LBB99_326:
	s_or_b64 exec, exec, s[10:11]
	buffer_load_dword v77, off, s[0:3], 0 offset:4
	v_cmp_lt_u32_e64 s[6:7], 1, v0
	s_waitcnt vmcnt(0)
	ds_write_b32 v74, v77
	s_waitcnt lgkmcnt(0)
	; wave barrier
	s_waitcnt lgkmcnt(0)
	s_and_saveexec_b64 s[10:11], s[6:7]
	s_cbranch_execz .LBB99_336
; %bb.327:
	s_andn2_b64 vcc, exec, s[8:9]
	s_cbranch_vccnz .LBB99_329
; %bb.328:
	buffer_load_dword v77, v75, s[0:3], 0 offen
	ds_read_b32 v78, v74
	s_waitcnt vmcnt(0) lgkmcnt(0)
	v_mul_f32_e32 v77, v77, v78
	s_cbranch_execz .LBB99_330
	s_branch .LBB99_331
.LBB99_329:
                                        ; implicit-def: $vgpr77
.LBB99_330:
	ds_read_b32 v77, v74
.LBB99_331:
	s_and_saveexec_b64 s[12:13], s[4:5]
	s_cbranch_execz .LBB99_335
; %bb.332:
	v_add_u32_e32 v78, -2, v0
	s_movk_i32 s14, 0x98
	s_mov_b64 s[4:5], 0
.LBB99_333:                             ; =>This Inner Loop Header: Depth=1
	buffer_load_dword v79, v76, s[0:3], 0 offen
	v_mov_b32_e32 v80, s14
	ds_read_b32 v80, v80
	v_add_u32_e32 v78, -1, v78
	s_add_i32 s14, s14, 4
	v_cmp_eq_u32_e32 vcc, 0, v78
	v_add_u32_e32 v76, 4, v76
	s_or_b64 s[4:5], vcc, s[4:5]
	s_waitcnt vmcnt(0) lgkmcnt(0)
	v_fmac_f32_e32 v77, v79, v80
	s_andn2_b64 exec, exec, s[4:5]
	s_cbranch_execnz .LBB99_333
; %bb.334:
	s_or_b64 exec, exec, s[4:5]
.LBB99_335:
	s_or_b64 exec, exec, s[12:13]
	v_mov_b32_e32 v76, 0
	ds_read_b32 v76, v76 offset:4
	s_waitcnt lgkmcnt(0)
	v_mul_f32_e32 v76, v77, v76
	buffer_store_dword v76, off, s[0:3], 0 offset:4
.LBB99_336:
	s_or_b64 exec, exec, s[10:11]
	buffer_load_dword v76, off, s[0:3], 0
	v_cmp_ne_u32_e32 vcc, 0, v0
	s_waitcnt vmcnt(0)
	ds_write_b32 v74, v76
	s_waitcnt lgkmcnt(0)
	; wave barrier
	s_waitcnt lgkmcnt(0)
	s_and_saveexec_b64 s[4:5], vcc
	s_cbranch_execz .LBB99_346
; %bb.337:
	s_andn2_b64 vcc, exec, s[8:9]
	s_cbranch_vccnz .LBB99_339
; %bb.338:
	buffer_load_dword v76, v75, s[0:3], 0 offen
	ds_read_b32 v77, v74
	s_waitcnt vmcnt(0) lgkmcnt(0)
	v_mul_f32_e32 v76, v76, v77
	s_cbranch_execz .LBB99_340
	s_branch .LBB99_341
.LBB99_339:
                                        ; implicit-def: $vgpr76
.LBB99_340:
	ds_read_b32 v76, v74
.LBB99_341:
	s_and_saveexec_b64 s[10:11], s[6:7]
	s_cbranch_execz .LBB99_345
; %bb.342:
	v_mov_b32_e32 v77, 0
	v_or_b32_e32 v77, 4, v77
	v_add_u32_e32 v78, -1, v0
	s_movk_i32 s12, 0x94
	s_mov_b64 s[6:7], 0
.LBB99_343:                             ; =>This Inner Loop Header: Depth=1
	buffer_load_dword v79, v77, s[0:3], 0 offen
	v_mov_b32_e32 v80, s12
	ds_read_b32 v80, v80
	v_add_u32_e32 v78, -1, v78
	s_add_i32 s12, s12, 4
	v_cmp_eq_u32_e32 vcc, 0, v78
	v_add_u32_e32 v77, 4, v77
	s_or_b64 s[6:7], vcc, s[6:7]
	s_waitcnt vmcnt(0) lgkmcnt(0)
	v_fmac_f32_e32 v76, v79, v80
	s_andn2_b64 exec, exec, s[6:7]
	s_cbranch_execnz .LBB99_343
; %bb.344:
	s_or_b64 exec, exec, s[6:7]
.LBB99_345:
	s_or_b64 exec, exec, s[10:11]
	v_mov_b32_e32 v77, 0
	ds_read_b32 v77, v77
	s_waitcnt lgkmcnt(0)
	v_mul_f32_e32 v76, v76, v77
	buffer_store_dword v76, off, s[0:3], 0
.LBB99_346:
	s_or_b64 exec, exec, s[4:5]
	s_mov_b64 s[4:5], 0
.LBB99_347:
	s_and_b64 vcc, exec, s[4:5]
	s_cbranch_vccz .LBB99_691
; %bb.348:
	buffer_load_dword v76, off, s[0:3], 0 offset:4
	v_cmp_eq_u32_e64 s[6:7], 0, v0
	s_waitcnt vmcnt(0)
	ds_write_b32 v74, v76
	s_waitcnt lgkmcnt(0)
	; wave barrier
	s_waitcnt lgkmcnt(0)
	s_and_saveexec_b64 s[4:5], s[6:7]
	s_cbranch_execz .LBB99_354
; %bb.349:
	s_and_b64 vcc, exec, s[8:9]
	s_cbranch_vccz .LBB99_351
; %bb.350:
	buffer_load_dword v76, v75, s[0:3], 0 offen
	ds_read_b32 v77, v74
	s_waitcnt vmcnt(0) lgkmcnt(0)
	v_mul_f32_e32 v76, v76, v77
	s_cbranch_execz .LBB99_352
	s_branch .LBB99_353
.LBB99_351:
                                        ; implicit-def: $vgpr76
.LBB99_352:
	ds_read_b32 v76, v74
.LBB99_353:
	v_mov_b32_e32 v77, 0
	ds_read_b32 v77, v77 offset:4
	s_waitcnt lgkmcnt(0)
	v_mul_f32_e32 v76, v76, v77
	buffer_store_dword v76, off, s[0:3], 0 offset:4
.LBB99_354:
	s_or_b64 exec, exec, s[4:5]
	buffer_load_dword v76, off, s[0:3], 0 offset:8
	v_cndmask_b32_e64 v77, 0, 1, s[8:9]
	v_cmp_gt_u32_e32 vcc, 2, v0
	v_cmp_ne_u32_e64 s[4:5], 1, v77
	s_waitcnt vmcnt(0)
	ds_write_b32 v74, v76
	s_waitcnt lgkmcnt(0)
	; wave barrier
	s_waitcnt lgkmcnt(0)
	s_and_saveexec_b64 s[8:9], vcc
	s_cbranch_execz .LBB99_362
; %bb.355:
	s_and_b64 vcc, exec, s[4:5]
	s_cbranch_vccnz .LBB99_357
; %bb.356:
	buffer_load_dword v76, v75, s[0:3], 0 offen
	ds_read_b32 v77, v74
	s_waitcnt vmcnt(0) lgkmcnt(0)
	v_mul_f32_e32 v76, v76, v77
	s_cbranch_execz .LBB99_358
	s_branch .LBB99_359
.LBB99_357:
                                        ; implicit-def: $vgpr76
.LBB99_358:
	ds_read_b32 v76, v74
.LBB99_359:
	s_and_saveexec_b64 s[10:11], s[6:7]
	s_cbranch_execz .LBB99_361
; %bb.360:
	buffer_load_dword v77, v75, s[0:3], 0 offen offset:4
	ds_read_b32 v78, v74 offset:4
	s_waitcnt vmcnt(0) lgkmcnt(0)
	v_fmac_f32_e32 v76, v77, v78
.LBB99_361:
	s_or_b64 exec, exec, s[10:11]
	v_mov_b32_e32 v77, 0
	ds_read_b32 v77, v77 offset:8
	s_waitcnt lgkmcnt(0)
	v_mul_f32_e32 v76, v76, v77
	buffer_store_dword v76, off, s[0:3], 0 offset:8
.LBB99_362:
	s_or_b64 exec, exec, s[8:9]
	buffer_load_dword v76, off, s[0:3], 0 offset:12
	v_cmp_gt_u32_e32 vcc, 3, v0
	s_waitcnt vmcnt(0)
	ds_write_b32 v74, v76
	s_waitcnt lgkmcnt(0)
	; wave barrier
	s_waitcnt lgkmcnt(0)
	s_and_saveexec_b64 s[8:9], vcc
	s_cbranch_execz .LBB99_370
; %bb.363:
	s_and_b64 vcc, exec, s[4:5]
	s_cbranch_vccnz .LBB99_365
; %bb.364:
	buffer_load_dword v76, v75, s[0:3], 0 offen
	ds_read_b32 v77, v74
	s_waitcnt vmcnt(0) lgkmcnt(0)
	v_mul_f32_e32 v76, v76, v77
	s_cbranch_execz .LBB99_366
	s_branch .LBB99_367
.LBB99_365:
                                        ; implicit-def: $vgpr76
.LBB99_366:
	ds_read_b32 v76, v74
.LBB99_367:
	v_cmp_ne_u32_e32 vcc, 2, v0
	s_and_saveexec_b64 s[10:11], vcc
	s_cbranch_execz .LBB99_369
; %bb.368:
	buffer_load_dword v77, v75, s[0:3], 0 offen offset:4
	buffer_load_dword v78, off, s[0:3], 0 offset:8
	v_mov_b32_e32 v79, 0
	ds_read_b32 v80, v74 offset:4
	ds_read_b32 v79, v79 offset:152
	s_waitcnt vmcnt(1) lgkmcnt(1)
	v_fmac_f32_e32 v76, v77, v80
	s_waitcnt vmcnt(0) lgkmcnt(0)
	v_fma_f32 v77, v78, v79, v76
	v_cndmask_b32_e64 v76, v76, v77, s[6:7]
.LBB99_369:
	s_or_b64 exec, exec, s[10:11]
	v_mov_b32_e32 v77, 0
	ds_read_b32 v77, v77 offset:12
	s_waitcnt lgkmcnt(0)
	v_mul_f32_e32 v76, v76, v77
	buffer_store_dword v76, off, s[0:3], 0 offset:12
.LBB99_370:
	s_or_b64 exec, exec, s[8:9]
	buffer_load_dword v76, off, s[0:3], 0 offset:16
	v_cmp_gt_u32_e32 vcc, 4, v0
	s_waitcnt vmcnt(0)
	ds_write_b32 v74, v76
	s_waitcnt lgkmcnt(0)
	; wave barrier
	s_waitcnt lgkmcnt(0)
	s_and_saveexec_b64 s[6:7], vcc
	s_cbranch_execz .LBB99_380
; %bb.371:
	s_and_b64 vcc, exec, s[4:5]
	s_cbranch_vccnz .LBB99_373
; %bb.372:
	buffer_load_dword v76, v75, s[0:3], 0 offen
	ds_read_b32 v77, v74
	s_waitcnt vmcnt(0) lgkmcnt(0)
	v_mul_f32_e32 v76, v76, v77
	s_cbranch_execz .LBB99_374
	s_branch .LBB99_375
.LBB99_373:
                                        ; implicit-def: $vgpr76
.LBB99_374:
	ds_read_b32 v76, v74
.LBB99_375:
	v_cmp_ne_u32_e32 vcc, 3, v0
	s_and_saveexec_b64 s[8:9], vcc
	s_cbranch_execz .LBB99_379
; %bb.376:
	v_mov_b32_e32 v78, 0
	v_add_u32_e32 v77, 0x94, v1
	v_add3_u32 v78, v1, v78, 4
	s_mov_b64 s[10:11], 0
	v_mov_b32_e32 v79, v0
.LBB99_377:                             ; =>This Inner Loop Header: Depth=1
	buffer_load_dword v80, v78, s[0:3], 0 offen
	ds_read_b32 v81, v77
	v_add_u32_e32 v79, 1, v79
	v_cmp_lt_u32_e32 vcc, 2, v79
	v_add_u32_e32 v77, 4, v77
	v_add_u32_e32 v78, 4, v78
	s_or_b64 s[10:11], vcc, s[10:11]
	s_waitcnt vmcnt(0) lgkmcnt(0)
	v_fmac_f32_e32 v76, v80, v81
	s_andn2_b64 exec, exec, s[10:11]
	s_cbranch_execnz .LBB99_377
; %bb.378:
	s_or_b64 exec, exec, s[10:11]
.LBB99_379:
	s_or_b64 exec, exec, s[8:9]
	v_mov_b32_e32 v77, 0
	ds_read_b32 v77, v77 offset:16
	s_waitcnt lgkmcnt(0)
	v_mul_f32_e32 v76, v76, v77
	buffer_store_dword v76, off, s[0:3], 0 offset:16
.LBB99_380:
	s_or_b64 exec, exec, s[6:7]
	buffer_load_dword v76, off, s[0:3], 0 offset:20
	v_cmp_gt_u32_e32 vcc, 5, v0
	s_waitcnt vmcnt(0)
	ds_write_b32 v74, v76
	s_waitcnt lgkmcnt(0)
	; wave barrier
	s_waitcnt lgkmcnt(0)
	s_and_saveexec_b64 s[6:7], vcc
	s_cbranch_execz .LBB99_390
; %bb.381:
	s_and_b64 vcc, exec, s[4:5]
	s_cbranch_vccnz .LBB99_383
; %bb.382:
	buffer_load_dword v76, v75, s[0:3], 0 offen
	ds_read_b32 v77, v74
	s_waitcnt vmcnt(0) lgkmcnt(0)
	v_mul_f32_e32 v76, v76, v77
	s_cbranch_execz .LBB99_384
	s_branch .LBB99_385
.LBB99_383:
                                        ; implicit-def: $vgpr76
.LBB99_384:
	ds_read_b32 v76, v74
.LBB99_385:
	v_cmp_ne_u32_e32 vcc, 4, v0
	s_and_saveexec_b64 s[8:9], vcc
	s_cbranch_execz .LBB99_389
; %bb.386:
	v_mov_b32_e32 v78, 0
	v_add_u32_e32 v77, 0x94, v1
	v_add3_u32 v78, v1, v78, 4
	s_mov_b64 s[10:11], 0
	v_mov_b32_e32 v79, v0
.LBB99_387:                             ; =>This Inner Loop Header: Depth=1
	buffer_load_dword v80, v78, s[0:3], 0 offen
	ds_read_b32 v81, v77
	v_add_u32_e32 v79, 1, v79
	v_cmp_lt_u32_e32 vcc, 3, v79
	v_add_u32_e32 v77, 4, v77
	v_add_u32_e32 v78, 4, v78
	s_or_b64 s[10:11], vcc, s[10:11]
	s_waitcnt vmcnt(0) lgkmcnt(0)
	v_fmac_f32_e32 v76, v80, v81
	s_andn2_b64 exec, exec, s[10:11]
	s_cbranch_execnz .LBB99_387
; %bb.388:
	s_or_b64 exec, exec, s[10:11]
.LBB99_389:
	s_or_b64 exec, exec, s[8:9]
	v_mov_b32_e32 v77, 0
	ds_read_b32 v77, v77 offset:20
	s_waitcnt lgkmcnt(0)
	v_mul_f32_e32 v76, v76, v77
	buffer_store_dword v76, off, s[0:3], 0 offset:20
.LBB99_390:
	;; [unrolled: 56-line block ×30, first 2 shown]
	s_or_b64 exec, exec, s[6:7]
	buffer_load_dword v76, off, s[0:3], 0 offset:136
	v_cmp_gt_u32_e64 s[6:7], 34, v0
	s_waitcnt vmcnt(0)
	ds_write_b32 v74, v76
	s_waitcnt lgkmcnt(0)
	; wave barrier
	s_waitcnt lgkmcnt(0)
	s_and_saveexec_b64 s[8:9], s[6:7]
	s_cbranch_execz .LBB99_680
; %bb.671:
	s_and_b64 vcc, exec, s[4:5]
	s_cbranch_vccnz .LBB99_673
; %bb.672:
	buffer_load_dword v76, v75, s[0:3], 0 offen
	ds_read_b32 v77, v74
	s_waitcnt vmcnt(0) lgkmcnt(0)
	v_mul_f32_e32 v76, v76, v77
	s_cbranch_execz .LBB99_674
	s_branch .LBB99_675
.LBB99_673:
                                        ; implicit-def: $vgpr76
.LBB99_674:
	ds_read_b32 v76, v74
.LBB99_675:
	v_cmp_ne_u32_e32 vcc, 33, v0
	s_and_saveexec_b64 s[10:11], vcc
	s_cbranch_execz .LBB99_679
; %bb.676:
	v_mov_b32_e32 v78, 0
	v_add_u32_e32 v77, 0x94, v1
	v_add3_u32 v78, v1, v78, 4
	s_mov_b64 s[12:13], 0
	v_mov_b32_e32 v79, v0
.LBB99_677:                             ; =>This Inner Loop Header: Depth=1
	buffer_load_dword v80, v78, s[0:3], 0 offen
	ds_read_b32 v81, v77
	v_add_u32_e32 v79, 1, v79
	v_cmp_lt_u32_e32 vcc, 32, v79
	v_add_u32_e32 v77, 4, v77
	v_add_u32_e32 v78, 4, v78
	s_or_b64 s[12:13], vcc, s[12:13]
	s_waitcnt vmcnt(0) lgkmcnt(0)
	v_fmac_f32_e32 v76, v80, v81
	s_andn2_b64 exec, exec, s[12:13]
	s_cbranch_execnz .LBB99_677
; %bb.678:
	s_or_b64 exec, exec, s[12:13]
.LBB99_679:
	s_or_b64 exec, exec, s[10:11]
	v_mov_b32_e32 v77, 0
	ds_read_b32 v77, v77 offset:136
	s_waitcnt lgkmcnt(0)
	v_mul_f32_e32 v76, v76, v77
	buffer_store_dword v76, off, s[0:3], 0 offset:136
.LBB99_680:
	s_or_b64 exec, exec, s[8:9]
	buffer_load_dword v76, off, s[0:3], 0 offset:140
	v_cmp_ne_u32_e32 vcc, 35, v0
	s_waitcnt vmcnt(0)
	ds_write_b32 v74, v76
	s_waitcnt lgkmcnt(0)
	; wave barrier
	s_waitcnt lgkmcnt(0)
	s_and_saveexec_b64 s[8:9], vcc
	s_cbranch_execz .LBB99_690
; %bb.681:
	s_and_b64 vcc, exec, s[4:5]
	s_cbranch_vccnz .LBB99_683
; %bb.682:
	buffer_load_dword v75, v75, s[0:3], 0 offen
	ds_read_b32 v76, v74
	s_waitcnt vmcnt(0) lgkmcnt(0)
	v_mul_f32_e32 v75, v75, v76
	s_cbranch_execz .LBB99_684
	s_branch .LBB99_685
.LBB99_683:
                                        ; implicit-def: $vgpr75
.LBB99_684:
	ds_read_b32 v75, v74
.LBB99_685:
	s_and_saveexec_b64 s[4:5], s[6:7]
	s_cbranch_execz .LBB99_689
; %bb.686:
	v_mov_b32_e32 v76, 0
	v_add_u32_e32 v74, 0x94, v1
	v_add3_u32 v1, v1, v76, 4
	s_mov_b64 s[6:7], 0
.LBB99_687:                             ; =>This Inner Loop Header: Depth=1
	buffer_load_dword v76, v1, s[0:3], 0 offen
	ds_read_b32 v77, v74
	v_add_u32_e32 v0, 1, v0
	v_cmp_lt_u32_e32 vcc, 33, v0
	v_add_u32_e32 v74, 4, v74
	v_add_u32_e32 v1, 4, v1
	s_or_b64 s[6:7], vcc, s[6:7]
	s_waitcnt vmcnt(0) lgkmcnt(0)
	v_fmac_f32_e32 v75, v76, v77
	s_andn2_b64 exec, exec, s[6:7]
	s_cbranch_execnz .LBB99_687
; %bb.688:
	s_or_b64 exec, exec, s[6:7]
.LBB99_689:
	s_or_b64 exec, exec, s[4:5]
	v_mov_b32_e32 v0, 0
	ds_read_b32 v0, v0 offset:140
	s_waitcnt lgkmcnt(0)
	v_mul_f32_e32 v0, v75, v0
	buffer_store_dword v0, off, s[0:3], 0 offset:140
.LBB99_690:
	s_or_b64 exec, exec, s[8:9]
.LBB99_691:
	buffer_load_dword v0, off, s[0:3], 0
	buffer_load_dword v1, off, s[0:3], 0 offset:4
	buffer_load_dword v74, off, s[0:3], 0 offset:8
	;; [unrolled: 1-line block ×35, first 2 shown]
	s_waitcnt vmcnt(35)
	global_store_dword v[68:69], v0, off
	s_waitcnt vmcnt(35)
	global_store_dword v[70:71], v1, off
	;; [unrolled: 2-line block ×36, first 2 shown]
.LBB99_692:
	s_endpgm
	.section	.rodata,"a",@progbits
	.p2align	6, 0x0
	.amdhsa_kernel _ZN9rocsolver6v33100L18trti2_kernel_smallILi36EfPKPfEEv13rocblas_fill_17rocblas_diagonal_T1_iil
		.amdhsa_group_segment_fixed_size 288
		.amdhsa_private_segment_fixed_size 160
		.amdhsa_kernarg_size 32
		.amdhsa_user_sgpr_count 8
		.amdhsa_user_sgpr_private_segment_buffer 1
		.amdhsa_user_sgpr_dispatch_ptr 0
		.amdhsa_user_sgpr_queue_ptr 0
		.amdhsa_user_sgpr_kernarg_segment_ptr 1
		.amdhsa_user_sgpr_dispatch_id 0
		.amdhsa_user_sgpr_flat_scratch_init 1
		.amdhsa_user_sgpr_kernarg_preload_length 0
		.amdhsa_user_sgpr_kernarg_preload_offset 0
		.amdhsa_user_sgpr_private_segment_size 0
		.amdhsa_uses_dynamic_stack 0
		.amdhsa_system_sgpr_private_segment_wavefront_offset 1
		.amdhsa_system_sgpr_workgroup_id_x 1
		.amdhsa_system_sgpr_workgroup_id_y 0
		.amdhsa_system_sgpr_workgroup_id_z 0
		.amdhsa_system_sgpr_workgroup_info 0
		.amdhsa_system_vgpr_workitem_id 0
		.amdhsa_next_free_vgpr 110
		.amdhsa_next_free_sgpr 16
		.amdhsa_accum_offset 112
		.amdhsa_reserve_vcc 1
		.amdhsa_reserve_flat_scratch 0
		.amdhsa_float_round_mode_32 0
		.amdhsa_float_round_mode_16_64 0
		.amdhsa_float_denorm_mode_32 3
		.amdhsa_float_denorm_mode_16_64 3
		.amdhsa_dx10_clamp 1
		.amdhsa_ieee_mode 1
		.amdhsa_fp16_overflow 0
		.amdhsa_tg_split 0
		.amdhsa_exception_fp_ieee_invalid_op 0
		.amdhsa_exception_fp_denorm_src 0
		.amdhsa_exception_fp_ieee_div_zero 0
		.amdhsa_exception_fp_ieee_overflow 0
		.amdhsa_exception_fp_ieee_underflow 0
		.amdhsa_exception_fp_ieee_inexact 0
		.amdhsa_exception_int_div_zero 0
	.end_amdhsa_kernel
	.section	.text._ZN9rocsolver6v33100L18trti2_kernel_smallILi36EfPKPfEEv13rocblas_fill_17rocblas_diagonal_T1_iil,"axG",@progbits,_ZN9rocsolver6v33100L18trti2_kernel_smallILi36EfPKPfEEv13rocblas_fill_17rocblas_diagonal_T1_iil,comdat
.Lfunc_end99:
	.size	_ZN9rocsolver6v33100L18trti2_kernel_smallILi36EfPKPfEEv13rocblas_fill_17rocblas_diagonal_T1_iil, .Lfunc_end99-_ZN9rocsolver6v33100L18trti2_kernel_smallILi36EfPKPfEEv13rocblas_fill_17rocblas_diagonal_T1_iil
                                        ; -- End function
	.section	.AMDGPU.csdata,"",@progbits
; Kernel info:
; codeLenInByte = 17456
; NumSgprs: 20
; NumVgprs: 110
; NumAgprs: 0
; TotalNumVgprs: 110
; ScratchSize: 160
; MemoryBound: 0
; FloatMode: 240
; IeeeMode: 1
; LDSByteSize: 288 bytes/workgroup (compile time only)
; SGPRBlocks: 2
; VGPRBlocks: 13
; NumSGPRsForWavesPerEU: 20
; NumVGPRsForWavesPerEU: 110
; AccumOffset: 112
; Occupancy: 4
; WaveLimiterHint : 1
; COMPUTE_PGM_RSRC2:SCRATCH_EN: 1
; COMPUTE_PGM_RSRC2:USER_SGPR: 8
; COMPUTE_PGM_RSRC2:TRAP_HANDLER: 0
; COMPUTE_PGM_RSRC2:TGID_X_EN: 1
; COMPUTE_PGM_RSRC2:TGID_Y_EN: 0
; COMPUTE_PGM_RSRC2:TGID_Z_EN: 0
; COMPUTE_PGM_RSRC2:TIDIG_COMP_CNT: 0
; COMPUTE_PGM_RSRC3_GFX90A:ACCUM_OFFSET: 27
; COMPUTE_PGM_RSRC3_GFX90A:TG_SPLIT: 0
	.section	.text._ZN9rocsolver6v33100L18trti2_kernel_smallILi37EfPKPfEEv13rocblas_fill_17rocblas_diagonal_T1_iil,"axG",@progbits,_ZN9rocsolver6v33100L18trti2_kernel_smallILi37EfPKPfEEv13rocblas_fill_17rocblas_diagonal_T1_iil,comdat
	.globl	_ZN9rocsolver6v33100L18trti2_kernel_smallILi37EfPKPfEEv13rocblas_fill_17rocblas_diagonal_T1_iil ; -- Begin function _ZN9rocsolver6v33100L18trti2_kernel_smallILi37EfPKPfEEv13rocblas_fill_17rocblas_diagonal_T1_iil
	.p2align	8
	.type	_ZN9rocsolver6v33100L18trti2_kernel_smallILi37EfPKPfEEv13rocblas_fill_17rocblas_diagonal_T1_iil,@function
_ZN9rocsolver6v33100L18trti2_kernel_smallILi37EfPKPfEEv13rocblas_fill_17rocblas_diagonal_T1_iil: ; @_ZN9rocsolver6v33100L18trti2_kernel_smallILi37EfPKPfEEv13rocblas_fill_17rocblas_diagonal_T1_iil
; %bb.0:
	s_add_u32 s0, s0, s9
	s_addc_u32 s1, s1, 0
	v_cmp_gt_u32_e32 vcc, 37, v0
	s_and_saveexec_b64 s[6:7], vcc
	s_cbranch_execz .LBB100_712
; %bb.1:
	s_load_dwordx2 s[6:7], s[4:5], 0x10
	s_load_dwordx4 s[12:15], s[4:5], 0x0
	s_ashr_i32 s9, s8, 31
	s_lshl_b64 s[4:5], s[8:9], 3
	s_waitcnt lgkmcnt(0)
	s_ashr_i32 s9, s6, 31
	s_add_u32 s4, s14, s4
	s_addc_u32 s5, s15, s5
	s_load_dwordx2 s[4:5], s[4:5], 0x0
	s_mov_b32 s8, s6
	s_lshl_b64 s[8:9], s[8:9], 2
	s_waitcnt lgkmcnt(0)
	s_add_u32 s4, s4, s8
	s_addc_u32 s5, s5, s9
	s_add_i32 s6, s7, s7
	v_add_u32_e32 v4, s6, v0
	v_ashrrev_i32_e32 v5, 31, v4
	v_lshlrev_b64 v[2:3], 2, v[4:5]
	v_add_u32_e32 v6, s7, v4
	v_mov_b32_e32 v1, s5
	v_add_co_u32_e32 v2, vcc, s4, v2
	v_ashrrev_i32_e32 v7, 31, v6
	v_addc_co_u32_e32 v3, vcc, v1, v3, vcc
	v_lshlrev_b64 v[4:5], 2, v[6:7]
	v_add_u32_e32 v8, s7, v6
	v_add_co_u32_e32 v4, vcc, s4, v4
	v_ashrrev_i32_e32 v9, 31, v8
	v_addc_co_u32_e32 v5, vcc, v1, v5, vcc
	v_lshlrev_b64 v[6:7], 2, v[8:9]
	v_add_u32_e32 v10, s7, v8
	;; [unrolled: 5-line block ×32, first 2 shown]
	v_add_co_u32_e32 v66, vcc, s4, v66
	v_ashrrev_i32_e32 v71, 31, v70
	v_addc_co_u32_e32 v67, vcc, v1, v67, vcc
	v_lshlrev_b64 v[68:69], 2, v[70:71]
	v_add_co_u32_e32 v68, vcc, s4, v68
	v_add_u32_e32 v70, s7, v70
	v_addc_co_u32_e32 v69, vcc, v1, v69, vcc
	v_ashrrev_i32_e32 v71, 31, v70
	v_lshlrev_b32_e32 v1, 2, v0
	v_lshlrev_b64 v[74:75], 2, v[70:71]
	v_mov_b32_e32 v71, s5
	v_add_co_u32_e32 v70, vcc, s4, v1
	s_ashr_i32 s9, s7, 31
	s_mov_b32 s8, s7
	v_addc_co_u32_e32 v71, vcc, 0, v71, vcc
	s_lshl_b64 s[6:7], s[8:9], 2
	v_mov_b32_e32 v73, s7
	v_add_co_u32_e32 v72, vcc, s6, v70
	v_addc_co_u32_e32 v73, vcc, v71, v73, vcc
	v_mov_b32_e32 v109, s5
	v_add_co_u32_e32 v74, vcc, s4, v74
	global_load_dword v76, v1, s[4:5]
	global_load_dword v77, v[72:73], off
	global_load_dword v78, v[2:3], off
	;; [unrolled: 1-line block ×33, first 2 shown]
	v_addc_co_u32_e32 v75, vcc, v109, v75, vcc
	global_load_dword v109, v[68:69], off
	global_load_dword v111, v[66:67], off
	;; [unrolled: 1-line block ×3, first 2 shown]
	s_cmpk_lg_i32 s13, 0x84
	s_waitcnt vmcnt(36)
	buffer_store_dword v76, off, s[0:3], 0
	s_waitcnt vmcnt(36)
	buffer_store_dword v77, off, s[0:3], 0 offset:4
	s_waitcnt vmcnt(36)
	buffer_store_dword v78, off, s[0:3], 0 offset:8
	;; [unrolled: 2-line block ×11, first 2 shown]
	buffer_store_dword v86, off, s[0:3], 0 offset:48
	buffer_store_dword v87, off, s[0:3], 0 offset:52
	;; [unrolled: 1-line block ×5, first 2 shown]
	s_waitcnt vmcnt(36)
	buffer_store_dword v93, off, s[0:3], 0 offset:68
	s_waitcnt vmcnt(36)
	buffer_store_dword v94, off, s[0:3], 0 offset:72
	;; [unrolled: 2-line block ×5, first 2 shown]
	buffer_store_dword v97, off, s[0:3], 0 offset:92
	buffer_store_dword v98, off, s[0:3], 0 offset:88
	s_waitcnt vmcnt(35)
	buffer_store_dword v101, off, s[0:3], 0 offset:100
	buffer_store_dword v96, off, s[0:3], 0 offset:96
	s_waitcnt vmcnt(31)
	buffer_store_dword v107, off, s[0:3], 0 offset:108
	s_waitcnt vmcnt(31)
	buffer_store_dword v108, off, s[0:3], 0 offset:104
	buffer_store_dword v105, off, s[0:3], 0 offset:116
	;; [unrolled: 1-line block ×5, first 2 shown]
	s_waitcnt vmcnt(35)
	buffer_store_dword v110, off, s[0:3], 0 offset:132
	buffer_store_dword v102, off, s[0:3], 0 offset:128
	s_waitcnt vmcnt(36)
	buffer_store_dword v109, off, s[0:3], 0 offset:140
	s_waitcnt vmcnt(36)
	;; [unrolled: 2-line block ×3, first 2 shown]
	buffer_store_dword v112, off, s[0:3], 0 offset:144
	s_cselect_b64 s[10:11], -1, 0
	s_cmpk_eq_i32 s13, 0x84
	v_mov_b32_e32 v94, 0
	v_mov_b32_e32 v76, -1.0
	s_cbranch_scc1 .LBB100_3
; %bb.2:
	v_lshl_add_u32 v76, v0, 2, v94
	buffer_load_dword v77, v76, s[0:3], 0 offen
	s_waitcnt vmcnt(0)
	v_div_scale_f32 v78, s[4:5], v77, v77, 1.0
	v_rcp_f32_e32 v79, v78
	v_div_scale_f32 v80, vcc, 1.0, v77, 1.0
	v_fma_f32 v81, -v78, v79, 1.0
	v_fmac_f32_e32 v79, v81, v79
	v_mul_f32_e32 v81, v80, v79
	v_fma_f32 v82, -v78, v81, v80
	v_fmac_f32_e32 v81, v82, v79
	v_fma_f32 v78, -v78, v81, v80
	v_div_fmas_f32 v78, v78, v79, v81
	v_div_fixup_f32 v77, v78, v77, 1.0
	buffer_store_dword v77, v76, s[0:3], 0 offen
	v_xor_b32_e32 v76, 0x80000000, v77
.LBB100_3:
	ds_write_b32 v1, v76
	s_cmpk_eq_i32 s12, 0x79
	v_add_u32_e32 v76, 0xa0, v1
	v_add_u32_e32 v77, 0, v1
	s_mov_b64 s[4:5], -1
	s_cbranch_scc1 .LBB100_357
; %bb.4:
	buffer_load_dword v78, off, s[0:3], 0 offset:140
	v_cmp_eq_u32_e64 s[4:5], 36, v0
	s_waitcnt vmcnt(0)
	ds_write_b32 v76, v78
	s_waitcnt lgkmcnt(0)
	; wave barrier
	s_waitcnt lgkmcnt(0)
	s_and_saveexec_b64 s[6:7], s[4:5]
	s_cbranch_execz .LBB100_10
; %bb.5:
	s_and_b64 vcc, exec, s[10:11]
	s_cbranch_vccz .LBB100_7
; %bb.6:
	buffer_load_dword v78, v77, s[0:3], 0 offen
	ds_read_b32 v79, v76
	s_waitcnt vmcnt(0) lgkmcnt(0)
	v_mul_f32_e32 v78, v78, v79
	s_cbranch_execz .LBB100_8
	s_branch .LBB100_9
.LBB100_7:
                                        ; implicit-def: $vgpr78
.LBB100_8:
	ds_read_b32 v78, v76
.LBB100_9:
	v_mov_b32_e32 v79, 0
	ds_read_b32 v79, v79 offset:140
	s_waitcnt lgkmcnt(0)
	v_mul_f32_e32 v78, v78, v79
	buffer_store_dword v78, off, s[0:3], 0 offset:140
.LBB100_10:
	s_or_b64 exec, exec, s[6:7]
	buffer_load_dword v95, off, s[0:3], 0 offset:136
	v_or_b32_e32 v78, 8, v94
	v_add_u32_e32 v79, 16, v94
	v_add_u32_e32 v80, 24, v94
	;; [unrolled: 1-line block ×16, first 2 shown]
	v_cmp_lt_u32_e64 s[8:9], 34, v0
	s_waitcnt vmcnt(0)
	ds_write_b32 v76, v95
	s_waitcnt lgkmcnt(0)
	; wave barrier
	s_waitcnt lgkmcnt(0)
	s_and_saveexec_b64 s[6:7], s[8:9]
	s_cbranch_execz .LBB100_16
; %bb.11:
	s_andn2_b64 vcc, exec, s[10:11]
	s_cbranch_vccnz .LBB100_13
; %bb.12:
	buffer_load_dword v95, v77, s[0:3], 0 offen
	ds_read_b32 v96, v76
	s_waitcnt vmcnt(0) lgkmcnt(0)
	v_mul_f32_e32 v95, v95, v96
	s_cbranch_execz .LBB100_14
	s_branch .LBB100_15
.LBB100_13:
                                        ; implicit-def: $vgpr95
.LBB100_14:
	ds_read_b32 v95, v76
.LBB100_15:
	buffer_load_dword v98, off, s[0:3], 0 offset:140
	v_mov_b32_e32 v96, 0
	ds_read2_b32 v[96:97], v96 offset0:34 offset1:75
	s_waitcnt vmcnt(0) lgkmcnt(0)
	v_fma_f32 v97, v98, v97, v95
	v_cndmask_b32_e64 v95, v95, v97, s[4:5]
	v_mul_f32_e32 v95, v95, v96
	buffer_store_dword v95, off, s[0:3], 0 offset:136
.LBB100_16:
	s_or_b64 exec, exec, s[6:7]
	buffer_load_dword v95, off, s[0:3], 0 offset:132
	v_cmp_lt_u32_e64 s[6:7], 33, v0
	s_waitcnt vmcnt(0)
	ds_write_b32 v76, v95
	s_waitcnt lgkmcnt(0)
	; wave barrier
	s_waitcnt lgkmcnt(0)
	s_and_saveexec_b64 s[4:5], s[6:7]
	s_cbranch_execz .LBB100_26
; %bb.17:
	s_andn2_b64 vcc, exec, s[10:11]
	s_cbranch_vccnz .LBB100_19
; %bb.18:
	buffer_load_dword v95, v77, s[0:3], 0 offen
	ds_read_b32 v96, v76
	s_waitcnt vmcnt(0) lgkmcnt(0)
	v_mul_f32_e32 v95, v95, v96
	s_cbranch_execz .LBB100_20
	s_branch .LBB100_21
.LBB100_19:
                                        ; implicit-def: $vgpr95
.LBB100_20:
	ds_read_b32 v95, v76
.LBB100_21:
	s_and_saveexec_b64 s[12:13], s[8:9]
	s_cbranch_execz .LBB100_25
; %bb.22:
	v_subrev_u32_e32 v96, 34, v0
	s_movk_i32 s14, 0x128
	s_mov_b64 s[8:9], 0
.LBB100_23:                             ; =>This Inner Loop Header: Depth=1
	buffer_load_dword v97, v94, s[0:3], 0 offen
	v_mov_b32_e32 v98, s14
	ds_read_b32 v98, v98
	v_add_u32_e32 v96, -1, v96
	s_add_i32 s14, s14, 4
	v_cmp_eq_u32_e32 vcc, 0, v96
	v_add_u32_e32 v94, 4, v94
	s_or_b64 s[8:9], vcc, s[8:9]
	s_waitcnt vmcnt(0) lgkmcnt(0)
	v_fmac_f32_e32 v95, v97, v98
	s_andn2_b64 exec, exec, s[8:9]
	s_cbranch_execnz .LBB100_23
; %bb.24:
	s_or_b64 exec, exec, s[8:9]
.LBB100_25:
	s_or_b64 exec, exec, s[12:13]
	v_mov_b32_e32 v94, 0
	ds_read_b32 v94, v94 offset:132
	s_waitcnt lgkmcnt(0)
	v_mul_f32_e32 v94, v95, v94
	buffer_store_dword v94, off, s[0:3], 0 offset:132
.LBB100_26:
	s_or_b64 exec, exec, s[4:5]
	buffer_load_dword v94, off, s[0:3], 0 offset:128
	v_cmp_lt_u32_e64 s[4:5], 32, v0
	s_waitcnt vmcnt(0)
	ds_write_b32 v76, v94
	s_waitcnt lgkmcnt(0)
	; wave barrier
	s_waitcnt lgkmcnt(0)
	s_and_saveexec_b64 s[8:9], s[4:5]
	s_cbranch_execz .LBB100_36
; %bb.27:
	s_andn2_b64 vcc, exec, s[10:11]
	s_cbranch_vccnz .LBB100_29
; %bb.28:
	buffer_load_dword v94, v77, s[0:3], 0 offen
	ds_read_b32 v95, v76
	s_waitcnt vmcnt(0) lgkmcnt(0)
	v_mul_f32_e32 v94, v94, v95
	s_cbranch_execz .LBB100_30
	s_branch .LBB100_31
.LBB100_29:
                                        ; implicit-def: $vgpr94
.LBB100_30:
	ds_read_b32 v94, v76
.LBB100_31:
	s_and_saveexec_b64 s[12:13], s[6:7]
	s_cbranch_execz .LBB100_35
; %bb.32:
	v_mov_b32_e32 v95, 0
	v_add_u32_e32 v95, 0x84, v95
	v_subrev_u32_e32 v96, 33, v0
	s_movk_i32 s14, 0x124
	s_mov_b64 s[6:7], 0
.LBB100_33:                             ; =>This Inner Loop Header: Depth=1
	buffer_load_dword v97, v95, s[0:3], 0 offen
	v_mov_b32_e32 v98, s14
	ds_read_b32 v98, v98
	v_add_u32_e32 v96, -1, v96
	s_add_i32 s14, s14, 4
	v_cmp_eq_u32_e32 vcc, 0, v96
	v_add_u32_e32 v95, 4, v95
	s_or_b64 s[6:7], vcc, s[6:7]
	s_waitcnt vmcnt(0) lgkmcnt(0)
	v_fmac_f32_e32 v94, v97, v98
	s_andn2_b64 exec, exec, s[6:7]
	s_cbranch_execnz .LBB100_33
; %bb.34:
	s_or_b64 exec, exec, s[6:7]
.LBB100_35:
	s_or_b64 exec, exec, s[12:13]
	v_mov_b32_e32 v95, 0
	ds_read_b32 v95, v95 offset:128
	s_waitcnt lgkmcnt(0)
	v_mul_f32_e32 v94, v94, v95
	buffer_store_dword v94, off, s[0:3], 0 offset:128
.LBB100_36:
	s_or_b64 exec, exec, s[8:9]
	buffer_load_dword v94, off, s[0:3], 0 offset:124
	v_cmp_lt_u32_e64 s[6:7], 31, v0
	s_waitcnt vmcnt(0)
	ds_write_b32 v76, v94
	s_waitcnt lgkmcnt(0)
	; wave barrier
	s_waitcnt lgkmcnt(0)
	s_and_saveexec_b64 s[8:9], s[6:7]
	s_cbranch_execz .LBB100_46
; %bb.37:
	s_andn2_b64 vcc, exec, s[10:11]
	s_cbranch_vccnz .LBB100_39
; %bb.38:
	buffer_load_dword v94, v77, s[0:3], 0 offen
	ds_read_b32 v95, v76
	s_waitcnt vmcnt(0) lgkmcnt(0)
	v_mul_f32_e32 v94, v94, v95
	s_cbranch_execz .LBB100_40
	s_branch .LBB100_41
.LBB100_39:
                                        ; implicit-def: $vgpr94
.LBB100_40:
	ds_read_b32 v94, v76
.LBB100_41:
	s_and_saveexec_b64 s[12:13], s[4:5]
	s_cbranch_execz .LBB100_45
; %bb.42:
	v_subrev_u32_e32 v95, 32, v0
	s_movk_i32 s14, 0x120
	s_mov_b64 s[4:5], 0
.LBB100_43:                             ; =>This Inner Loop Header: Depth=1
	buffer_load_dword v96, v93, s[0:3], 0 offen
	v_mov_b32_e32 v97, s14
	ds_read_b32 v97, v97
	v_add_u32_e32 v95, -1, v95
	s_add_i32 s14, s14, 4
	v_cmp_eq_u32_e32 vcc, 0, v95
	v_add_u32_e32 v93, 4, v93
	s_or_b64 s[4:5], vcc, s[4:5]
	s_waitcnt vmcnt(0) lgkmcnt(0)
	v_fmac_f32_e32 v94, v96, v97
	s_andn2_b64 exec, exec, s[4:5]
	s_cbranch_execnz .LBB100_43
; %bb.44:
	s_or_b64 exec, exec, s[4:5]
.LBB100_45:
	s_or_b64 exec, exec, s[12:13]
	v_mov_b32_e32 v93, 0
	ds_read_b32 v93, v93 offset:124
	s_waitcnt lgkmcnt(0)
	v_mul_f32_e32 v93, v94, v93
	buffer_store_dword v93, off, s[0:3], 0 offset:124
.LBB100_46:
	s_or_b64 exec, exec, s[8:9]
	buffer_load_dword v93, off, s[0:3], 0 offset:120
	v_cmp_lt_u32_e64 s[4:5], 30, v0
	s_waitcnt vmcnt(0)
	ds_write_b32 v76, v93
	s_waitcnt lgkmcnt(0)
	; wave barrier
	s_waitcnt lgkmcnt(0)
	s_and_saveexec_b64 s[8:9], s[4:5]
	s_cbranch_execz .LBB100_56
; %bb.47:
	s_andn2_b64 vcc, exec, s[10:11]
	s_cbranch_vccnz .LBB100_49
; %bb.48:
	buffer_load_dword v93, v77, s[0:3], 0 offen
	ds_read_b32 v94, v76
	s_waitcnt vmcnt(0) lgkmcnt(0)
	v_mul_f32_e32 v93, v93, v94
	s_cbranch_execz .LBB100_50
	s_branch .LBB100_51
.LBB100_49:
                                        ; implicit-def: $vgpr93
.LBB100_50:
	ds_read_b32 v93, v76
.LBB100_51:
	s_and_saveexec_b64 s[12:13], s[6:7]
	s_cbranch_execz .LBB100_55
; %bb.52:
	v_mov_b32_e32 v94, 0
	v_add_u32_e32 v94, 0x7c, v94
	v_subrev_u32_e32 v95, 31, v0
	s_movk_i32 s14, 0x11c
	s_mov_b64 s[6:7], 0
.LBB100_53:                             ; =>This Inner Loop Header: Depth=1
	buffer_load_dword v96, v94, s[0:3], 0 offen
	v_mov_b32_e32 v97, s14
	ds_read_b32 v97, v97
	v_add_u32_e32 v95, -1, v95
	s_add_i32 s14, s14, 4
	v_cmp_eq_u32_e32 vcc, 0, v95
	v_add_u32_e32 v94, 4, v94
	s_or_b64 s[6:7], vcc, s[6:7]
	s_waitcnt vmcnt(0) lgkmcnt(0)
	v_fmac_f32_e32 v93, v96, v97
	s_andn2_b64 exec, exec, s[6:7]
	s_cbranch_execnz .LBB100_53
; %bb.54:
	s_or_b64 exec, exec, s[6:7]
.LBB100_55:
	s_or_b64 exec, exec, s[12:13]
	v_mov_b32_e32 v94, 0
	ds_read_b32 v94, v94 offset:120
	s_waitcnt lgkmcnt(0)
	v_mul_f32_e32 v93, v93, v94
	buffer_store_dword v93, off, s[0:3], 0 offset:120
.LBB100_56:
	s_or_b64 exec, exec, s[8:9]
	buffer_load_dword v93, off, s[0:3], 0 offset:116
	v_cmp_lt_u32_e64 s[6:7], 29, v0
	s_waitcnt vmcnt(0)
	ds_write_b32 v76, v93
	s_waitcnt lgkmcnt(0)
	; wave barrier
	s_waitcnt lgkmcnt(0)
	s_and_saveexec_b64 s[8:9], s[6:7]
	s_cbranch_execz .LBB100_66
; %bb.57:
	s_andn2_b64 vcc, exec, s[10:11]
	s_cbranch_vccnz .LBB100_59
; %bb.58:
	buffer_load_dword v93, v77, s[0:3], 0 offen
	ds_read_b32 v94, v76
	s_waitcnt vmcnt(0) lgkmcnt(0)
	v_mul_f32_e32 v93, v93, v94
	s_cbranch_execz .LBB100_60
	s_branch .LBB100_61
.LBB100_59:
                                        ; implicit-def: $vgpr93
.LBB100_60:
	ds_read_b32 v93, v76
.LBB100_61:
	s_and_saveexec_b64 s[12:13], s[4:5]
	s_cbranch_execz .LBB100_65
; %bb.62:
	v_subrev_u32_e32 v94, 30, v0
	s_movk_i32 s14, 0x118
	s_mov_b64 s[4:5], 0
.LBB100_63:                             ; =>This Inner Loop Header: Depth=1
	buffer_load_dword v95, v92, s[0:3], 0 offen
	v_mov_b32_e32 v96, s14
	ds_read_b32 v96, v96
	v_add_u32_e32 v94, -1, v94
	s_add_i32 s14, s14, 4
	v_cmp_eq_u32_e32 vcc, 0, v94
	v_add_u32_e32 v92, 4, v92
	s_or_b64 s[4:5], vcc, s[4:5]
	s_waitcnt vmcnt(0) lgkmcnt(0)
	v_fmac_f32_e32 v93, v95, v96
	s_andn2_b64 exec, exec, s[4:5]
	s_cbranch_execnz .LBB100_63
; %bb.64:
	s_or_b64 exec, exec, s[4:5]
.LBB100_65:
	s_or_b64 exec, exec, s[12:13]
	v_mov_b32_e32 v92, 0
	ds_read_b32 v92, v92 offset:116
	s_waitcnt lgkmcnt(0)
	v_mul_f32_e32 v92, v93, v92
	buffer_store_dword v92, off, s[0:3], 0 offset:116
.LBB100_66:
	s_or_b64 exec, exec, s[8:9]
	buffer_load_dword v92, off, s[0:3], 0 offset:112
	v_cmp_lt_u32_e64 s[4:5], 28, v0
	s_waitcnt vmcnt(0)
	ds_write_b32 v76, v92
	s_waitcnt lgkmcnt(0)
	; wave barrier
	s_waitcnt lgkmcnt(0)
	s_and_saveexec_b64 s[8:9], s[4:5]
	s_cbranch_execz .LBB100_76
; %bb.67:
	s_andn2_b64 vcc, exec, s[10:11]
	s_cbranch_vccnz .LBB100_69
; %bb.68:
	buffer_load_dword v92, v77, s[0:3], 0 offen
	ds_read_b32 v93, v76
	s_waitcnt vmcnt(0) lgkmcnt(0)
	v_mul_f32_e32 v92, v92, v93
	s_cbranch_execz .LBB100_70
	s_branch .LBB100_71
.LBB100_69:
                                        ; implicit-def: $vgpr92
.LBB100_70:
	ds_read_b32 v92, v76
.LBB100_71:
	s_and_saveexec_b64 s[12:13], s[6:7]
	s_cbranch_execz .LBB100_75
; %bb.72:
	v_mov_b32_e32 v93, 0
	v_add_u32_e32 v93, 0x74, v93
	v_subrev_u32_e32 v94, 29, v0
	s_movk_i32 s14, 0x114
	s_mov_b64 s[6:7], 0
.LBB100_73:                             ; =>This Inner Loop Header: Depth=1
	buffer_load_dword v95, v93, s[0:3], 0 offen
	v_mov_b32_e32 v96, s14
	ds_read_b32 v96, v96
	v_add_u32_e32 v94, -1, v94
	s_add_i32 s14, s14, 4
	v_cmp_eq_u32_e32 vcc, 0, v94
	v_add_u32_e32 v93, 4, v93
	s_or_b64 s[6:7], vcc, s[6:7]
	s_waitcnt vmcnt(0) lgkmcnt(0)
	v_fmac_f32_e32 v92, v95, v96
	s_andn2_b64 exec, exec, s[6:7]
	s_cbranch_execnz .LBB100_73
; %bb.74:
	s_or_b64 exec, exec, s[6:7]
.LBB100_75:
	s_or_b64 exec, exec, s[12:13]
	v_mov_b32_e32 v93, 0
	ds_read_b32 v93, v93 offset:112
	s_waitcnt lgkmcnt(0)
	v_mul_f32_e32 v92, v92, v93
	buffer_store_dword v92, off, s[0:3], 0 offset:112
.LBB100_76:
	s_or_b64 exec, exec, s[8:9]
	buffer_load_dword v92, off, s[0:3], 0 offset:108
	v_cmp_lt_u32_e64 s[6:7], 27, v0
	s_waitcnt vmcnt(0)
	ds_write_b32 v76, v92
	s_waitcnt lgkmcnt(0)
	; wave barrier
	s_waitcnt lgkmcnt(0)
	s_and_saveexec_b64 s[8:9], s[6:7]
	s_cbranch_execz .LBB100_86
; %bb.77:
	s_andn2_b64 vcc, exec, s[10:11]
	s_cbranch_vccnz .LBB100_79
; %bb.78:
	buffer_load_dword v92, v77, s[0:3], 0 offen
	ds_read_b32 v93, v76
	s_waitcnt vmcnt(0) lgkmcnt(0)
	v_mul_f32_e32 v92, v92, v93
	s_cbranch_execz .LBB100_80
	s_branch .LBB100_81
.LBB100_79:
                                        ; implicit-def: $vgpr92
.LBB100_80:
	ds_read_b32 v92, v76
.LBB100_81:
	s_and_saveexec_b64 s[12:13], s[4:5]
	s_cbranch_execz .LBB100_85
; %bb.82:
	v_subrev_u32_e32 v93, 28, v0
	s_movk_i32 s14, 0x110
	s_mov_b64 s[4:5], 0
.LBB100_83:                             ; =>This Inner Loop Header: Depth=1
	buffer_load_dword v94, v91, s[0:3], 0 offen
	v_mov_b32_e32 v95, s14
	ds_read_b32 v95, v95
	v_add_u32_e32 v93, -1, v93
	s_add_i32 s14, s14, 4
	v_cmp_eq_u32_e32 vcc, 0, v93
	v_add_u32_e32 v91, 4, v91
	s_or_b64 s[4:5], vcc, s[4:5]
	s_waitcnt vmcnt(0) lgkmcnt(0)
	v_fmac_f32_e32 v92, v94, v95
	s_andn2_b64 exec, exec, s[4:5]
	s_cbranch_execnz .LBB100_83
; %bb.84:
	s_or_b64 exec, exec, s[4:5]
.LBB100_85:
	s_or_b64 exec, exec, s[12:13]
	v_mov_b32_e32 v91, 0
	ds_read_b32 v91, v91 offset:108
	s_waitcnt lgkmcnt(0)
	v_mul_f32_e32 v91, v92, v91
	buffer_store_dword v91, off, s[0:3], 0 offset:108
.LBB100_86:
	s_or_b64 exec, exec, s[8:9]
	buffer_load_dword v91, off, s[0:3], 0 offset:104
	v_cmp_lt_u32_e64 s[4:5], 26, v0
	s_waitcnt vmcnt(0)
	ds_write_b32 v76, v91
	s_waitcnt lgkmcnt(0)
	; wave barrier
	s_waitcnt lgkmcnt(0)
	s_and_saveexec_b64 s[8:9], s[4:5]
	s_cbranch_execz .LBB100_96
; %bb.87:
	s_andn2_b64 vcc, exec, s[10:11]
	s_cbranch_vccnz .LBB100_89
; %bb.88:
	buffer_load_dword v91, v77, s[0:3], 0 offen
	ds_read_b32 v92, v76
	s_waitcnt vmcnt(0) lgkmcnt(0)
	v_mul_f32_e32 v91, v91, v92
	s_cbranch_execz .LBB100_90
	s_branch .LBB100_91
.LBB100_89:
                                        ; implicit-def: $vgpr91
.LBB100_90:
	ds_read_b32 v91, v76
.LBB100_91:
	s_and_saveexec_b64 s[12:13], s[6:7]
	s_cbranch_execz .LBB100_95
; %bb.92:
	v_mov_b32_e32 v92, 0
	v_add_u32_e32 v92, 0x6c, v92
	v_subrev_u32_e32 v93, 27, v0
	s_movk_i32 s14, 0x10c
	s_mov_b64 s[6:7], 0
.LBB100_93:                             ; =>This Inner Loop Header: Depth=1
	buffer_load_dword v94, v92, s[0:3], 0 offen
	v_mov_b32_e32 v95, s14
	ds_read_b32 v95, v95
	v_add_u32_e32 v93, -1, v93
	s_add_i32 s14, s14, 4
	v_cmp_eq_u32_e32 vcc, 0, v93
	v_add_u32_e32 v92, 4, v92
	s_or_b64 s[6:7], vcc, s[6:7]
	s_waitcnt vmcnt(0) lgkmcnt(0)
	v_fmac_f32_e32 v91, v94, v95
	s_andn2_b64 exec, exec, s[6:7]
	s_cbranch_execnz .LBB100_93
; %bb.94:
	s_or_b64 exec, exec, s[6:7]
.LBB100_95:
	s_or_b64 exec, exec, s[12:13]
	v_mov_b32_e32 v92, 0
	ds_read_b32 v92, v92 offset:104
	s_waitcnt lgkmcnt(0)
	v_mul_f32_e32 v91, v91, v92
	buffer_store_dword v91, off, s[0:3], 0 offset:104
.LBB100_96:
	s_or_b64 exec, exec, s[8:9]
	buffer_load_dword v91, off, s[0:3], 0 offset:100
	v_cmp_lt_u32_e64 s[6:7], 25, v0
	s_waitcnt vmcnt(0)
	ds_write_b32 v76, v91
	s_waitcnt lgkmcnt(0)
	; wave barrier
	s_waitcnt lgkmcnt(0)
	s_and_saveexec_b64 s[8:9], s[6:7]
	s_cbranch_execz .LBB100_106
; %bb.97:
	s_andn2_b64 vcc, exec, s[10:11]
	s_cbranch_vccnz .LBB100_99
; %bb.98:
	buffer_load_dword v91, v77, s[0:3], 0 offen
	ds_read_b32 v92, v76
	s_waitcnt vmcnt(0) lgkmcnt(0)
	v_mul_f32_e32 v91, v91, v92
	s_cbranch_execz .LBB100_100
	s_branch .LBB100_101
.LBB100_99:
                                        ; implicit-def: $vgpr91
.LBB100_100:
	ds_read_b32 v91, v76
.LBB100_101:
	s_and_saveexec_b64 s[12:13], s[4:5]
	s_cbranch_execz .LBB100_105
; %bb.102:
	v_subrev_u32_e32 v92, 26, v0
	s_movk_i32 s14, 0x108
	s_mov_b64 s[4:5], 0
.LBB100_103:                            ; =>This Inner Loop Header: Depth=1
	buffer_load_dword v93, v90, s[0:3], 0 offen
	v_mov_b32_e32 v94, s14
	ds_read_b32 v94, v94
	v_add_u32_e32 v92, -1, v92
	s_add_i32 s14, s14, 4
	v_cmp_eq_u32_e32 vcc, 0, v92
	v_add_u32_e32 v90, 4, v90
	s_or_b64 s[4:5], vcc, s[4:5]
	s_waitcnt vmcnt(0) lgkmcnt(0)
	v_fmac_f32_e32 v91, v93, v94
	s_andn2_b64 exec, exec, s[4:5]
	s_cbranch_execnz .LBB100_103
; %bb.104:
	s_or_b64 exec, exec, s[4:5]
.LBB100_105:
	s_or_b64 exec, exec, s[12:13]
	v_mov_b32_e32 v90, 0
	ds_read_b32 v90, v90 offset:100
	s_waitcnt lgkmcnt(0)
	v_mul_f32_e32 v90, v91, v90
	buffer_store_dword v90, off, s[0:3], 0 offset:100
.LBB100_106:
	s_or_b64 exec, exec, s[8:9]
	buffer_load_dword v90, off, s[0:3], 0 offset:96
	v_cmp_lt_u32_e64 s[4:5], 24, v0
	s_waitcnt vmcnt(0)
	ds_write_b32 v76, v90
	s_waitcnt lgkmcnt(0)
	; wave barrier
	s_waitcnt lgkmcnt(0)
	s_and_saveexec_b64 s[8:9], s[4:5]
	s_cbranch_execz .LBB100_116
; %bb.107:
	s_andn2_b64 vcc, exec, s[10:11]
	s_cbranch_vccnz .LBB100_109
; %bb.108:
	buffer_load_dword v90, v77, s[0:3], 0 offen
	ds_read_b32 v91, v76
	s_waitcnt vmcnt(0) lgkmcnt(0)
	v_mul_f32_e32 v90, v90, v91
	s_cbranch_execz .LBB100_110
	s_branch .LBB100_111
.LBB100_109:
                                        ; implicit-def: $vgpr90
.LBB100_110:
	ds_read_b32 v90, v76
.LBB100_111:
	s_and_saveexec_b64 s[12:13], s[6:7]
	s_cbranch_execz .LBB100_115
; %bb.112:
	v_mov_b32_e32 v91, 0
	v_add_u32_e32 v91, 0x64, v91
	v_subrev_u32_e32 v92, 25, v0
	s_movk_i32 s14, 0x104
	s_mov_b64 s[6:7], 0
.LBB100_113:                            ; =>This Inner Loop Header: Depth=1
	buffer_load_dword v93, v91, s[0:3], 0 offen
	v_mov_b32_e32 v94, s14
	ds_read_b32 v94, v94
	v_add_u32_e32 v92, -1, v92
	s_add_i32 s14, s14, 4
	v_cmp_eq_u32_e32 vcc, 0, v92
	v_add_u32_e32 v91, 4, v91
	s_or_b64 s[6:7], vcc, s[6:7]
	s_waitcnt vmcnt(0) lgkmcnt(0)
	v_fmac_f32_e32 v90, v93, v94
	s_andn2_b64 exec, exec, s[6:7]
	s_cbranch_execnz .LBB100_113
; %bb.114:
	s_or_b64 exec, exec, s[6:7]
.LBB100_115:
	s_or_b64 exec, exec, s[12:13]
	v_mov_b32_e32 v91, 0
	ds_read_b32 v91, v91 offset:96
	s_waitcnt lgkmcnt(0)
	v_mul_f32_e32 v90, v90, v91
	buffer_store_dword v90, off, s[0:3], 0 offset:96
.LBB100_116:
	s_or_b64 exec, exec, s[8:9]
	buffer_load_dword v90, off, s[0:3], 0 offset:92
	v_cmp_lt_u32_e64 s[6:7], 23, v0
	s_waitcnt vmcnt(0)
	ds_write_b32 v76, v90
	s_waitcnt lgkmcnt(0)
	; wave barrier
	s_waitcnt lgkmcnt(0)
	s_and_saveexec_b64 s[8:9], s[6:7]
	s_cbranch_execz .LBB100_126
; %bb.117:
	s_andn2_b64 vcc, exec, s[10:11]
	s_cbranch_vccnz .LBB100_119
; %bb.118:
	buffer_load_dword v90, v77, s[0:3], 0 offen
	ds_read_b32 v91, v76
	s_waitcnt vmcnt(0) lgkmcnt(0)
	v_mul_f32_e32 v90, v90, v91
	s_cbranch_execz .LBB100_120
	s_branch .LBB100_121
.LBB100_119:
                                        ; implicit-def: $vgpr90
.LBB100_120:
	ds_read_b32 v90, v76
.LBB100_121:
	s_and_saveexec_b64 s[12:13], s[4:5]
	s_cbranch_execz .LBB100_125
; %bb.122:
	v_subrev_u32_e32 v91, 24, v0
	s_movk_i32 s14, 0x100
	s_mov_b64 s[4:5], 0
.LBB100_123:                            ; =>This Inner Loop Header: Depth=1
	buffer_load_dword v92, v89, s[0:3], 0 offen
	v_mov_b32_e32 v93, s14
	ds_read_b32 v93, v93
	v_add_u32_e32 v91, -1, v91
	s_add_i32 s14, s14, 4
	v_cmp_eq_u32_e32 vcc, 0, v91
	v_add_u32_e32 v89, 4, v89
	s_or_b64 s[4:5], vcc, s[4:5]
	s_waitcnt vmcnt(0) lgkmcnt(0)
	v_fmac_f32_e32 v90, v92, v93
	s_andn2_b64 exec, exec, s[4:5]
	s_cbranch_execnz .LBB100_123
; %bb.124:
	s_or_b64 exec, exec, s[4:5]
.LBB100_125:
	s_or_b64 exec, exec, s[12:13]
	v_mov_b32_e32 v89, 0
	ds_read_b32 v89, v89 offset:92
	s_waitcnt lgkmcnt(0)
	v_mul_f32_e32 v89, v90, v89
	buffer_store_dword v89, off, s[0:3], 0 offset:92
.LBB100_126:
	s_or_b64 exec, exec, s[8:9]
	buffer_load_dword v89, off, s[0:3], 0 offset:88
	v_cmp_lt_u32_e64 s[4:5], 22, v0
	s_waitcnt vmcnt(0)
	ds_write_b32 v76, v89
	s_waitcnt lgkmcnt(0)
	; wave barrier
	s_waitcnt lgkmcnt(0)
	s_and_saveexec_b64 s[8:9], s[4:5]
	s_cbranch_execz .LBB100_136
; %bb.127:
	s_andn2_b64 vcc, exec, s[10:11]
	s_cbranch_vccnz .LBB100_129
; %bb.128:
	buffer_load_dword v89, v77, s[0:3], 0 offen
	ds_read_b32 v90, v76
	s_waitcnt vmcnt(0) lgkmcnt(0)
	v_mul_f32_e32 v89, v89, v90
	s_cbranch_execz .LBB100_130
	s_branch .LBB100_131
.LBB100_129:
                                        ; implicit-def: $vgpr89
.LBB100_130:
	ds_read_b32 v89, v76
.LBB100_131:
	s_and_saveexec_b64 s[12:13], s[6:7]
	s_cbranch_execz .LBB100_135
; %bb.132:
	v_mov_b32_e32 v90, 0
	v_add_u32_e32 v90, 0x5c, v90
	v_subrev_u32_e32 v91, 23, v0
	s_movk_i32 s14, 0xfc
	s_mov_b64 s[6:7], 0
.LBB100_133:                            ; =>This Inner Loop Header: Depth=1
	buffer_load_dword v92, v90, s[0:3], 0 offen
	v_mov_b32_e32 v93, s14
	ds_read_b32 v93, v93
	v_add_u32_e32 v91, -1, v91
	s_add_i32 s14, s14, 4
	v_cmp_eq_u32_e32 vcc, 0, v91
	v_add_u32_e32 v90, 4, v90
	s_or_b64 s[6:7], vcc, s[6:7]
	s_waitcnt vmcnt(0) lgkmcnt(0)
	v_fmac_f32_e32 v89, v92, v93
	s_andn2_b64 exec, exec, s[6:7]
	s_cbranch_execnz .LBB100_133
; %bb.134:
	s_or_b64 exec, exec, s[6:7]
.LBB100_135:
	s_or_b64 exec, exec, s[12:13]
	v_mov_b32_e32 v90, 0
	ds_read_b32 v90, v90 offset:88
	s_waitcnt lgkmcnt(0)
	v_mul_f32_e32 v89, v89, v90
	buffer_store_dword v89, off, s[0:3], 0 offset:88
.LBB100_136:
	s_or_b64 exec, exec, s[8:9]
	buffer_load_dword v89, off, s[0:3], 0 offset:84
	v_cmp_lt_u32_e64 s[6:7], 21, v0
	s_waitcnt vmcnt(0)
	ds_write_b32 v76, v89
	s_waitcnt lgkmcnt(0)
	; wave barrier
	s_waitcnt lgkmcnt(0)
	s_and_saveexec_b64 s[8:9], s[6:7]
	s_cbranch_execz .LBB100_146
; %bb.137:
	s_andn2_b64 vcc, exec, s[10:11]
	s_cbranch_vccnz .LBB100_139
; %bb.138:
	buffer_load_dword v89, v77, s[0:3], 0 offen
	ds_read_b32 v90, v76
	s_waitcnt vmcnt(0) lgkmcnt(0)
	v_mul_f32_e32 v89, v89, v90
	s_cbranch_execz .LBB100_140
	s_branch .LBB100_141
.LBB100_139:
                                        ; implicit-def: $vgpr89
.LBB100_140:
	ds_read_b32 v89, v76
.LBB100_141:
	s_and_saveexec_b64 s[12:13], s[4:5]
	s_cbranch_execz .LBB100_145
; %bb.142:
	v_subrev_u32_e32 v90, 22, v0
	s_movk_i32 s14, 0xf8
	s_mov_b64 s[4:5], 0
.LBB100_143:                            ; =>This Inner Loop Header: Depth=1
	buffer_load_dword v91, v88, s[0:3], 0 offen
	v_mov_b32_e32 v92, s14
	ds_read_b32 v92, v92
	v_add_u32_e32 v90, -1, v90
	s_add_i32 s14, s14, 4
	v_cmp_eq_u32_e32 vcc, 0, v90
	v_add_u32_e32 v88, 4, v88
	s_or_b64 s[4:5], vcc, s[4:5]
	s_waitcnt vmcnt(0) lgkmcnt(0)
	v_fmac_f32_e32 v89, v91, v92
	s_andn2_b64 exec, exec, s[4:5]
	s_cbranch_execnz .LBB100_143
; %bb.144:
	s_or_b64 exec, exec, s[4:5]
.LBB100_145:
	s_or_b64 exec, exec, s[12:13]
	v_mov_b32_e32 v88, 0
	ds_read_b32 v88, v88 offset:84
	s_waitcnt lgkmcnt(0)
	v_mul_f32_e32 v88, v89, v88
	buffer_store_dword v88, off, s[0:3], 0 offset:84
.LBB100_146:
	s_or_b64 exec, exec, s[8:9]
	buffer_load_dword v88, off, s[0:3], 0 offset:80
	v_cmp_lt_u32_e64 s[4:5], 20, v0
	s_waitcnt vmcnt(0)
	ds_write_b32 v76, v88
	s_waitcnt lgkmcnt(0)
	; wave barrier
	s_waitcnt lgkmcnt(0)
	s_and_saveexec_b64 s[8:9], s[4:5]
	s_cbranch_execz .LBB100_156
; %bb.147:
	s_andn2_b64 vcc, exec, s[10:11]
	s_cbranch_vccnz .LBB100_149
; %bb.148:
	buffer_load_dword v88, v77, s[0:3], 0 offen
	ds_read_b32 v89, v76
	s_waitcnt vmcnt(0) lgkmcnt(0)
	v_mul_f32_e32 v88, v88, v89
	s_cbranch_execz .LBB100_150
	s_branch .LBB100_151
.LBB100_149:
                                        ; implicit-def: $vgpr88
.LBB100_150:
	ds_read_b32 v88, v76
.LBB100_151:
	s_and_saveexec_b64 s[12:13], s[6:7]
	s_cbranch_execz .LBB100_155
; %bb.152:
	v_mov_b32_e32 v89, 0
	v_add_u32_e32 v89, 0x54, v89
	v_subrev_u32_e32 v90, 21, v0
	s_movk_i32 s14, 0xf4
	s_mov_b64 s[6:7], 0
.LBB100_153:                            ; =>This Inner Loop Header: Depth=1
	buffer_load_dword v91, v89, s[0:3], 0 offen
	v_mov_b32_e32 v92, s14
	ds_read_b32 v92, v92
	v_add_u32_e32 v90, -1, v90
	s_add_i32 s14, s14, 4
	v_cmp_eq_u32_e32 vcc, 0, v90
	v_add_u32_e32 v89, 4, v89
	s_or_b64 s[6:7], vcc, s[6:7]
	s_waitcnt vmcnt(0) lgkmcnt(0)
	v_fmac_f32_e32 v88, v91, v92
	s_andn2_b64 exec, exec, s[6:7]
	s_cbranch_execnz .LBB100_153
; %bb.154:
	s_or_b64 exec, exec, s[6:7]
.LBB100_155:
	s_or_b64 exec, exec, s[12:13]
	v_mov_b32_e32 v89, 0
	ds_read_b32 v89, v89 offset:80
	s_waitcnt lgkmcnt(0)
	v_mul_f32_e32 v88, v88, v89
	buffer_store_dword v88, off, s[0:3], 0 offset:80
.LBB100_156:
	s_or_b64 exec, exec, s[8:9]
	buffer_load_dword v88, off, s[0:3], 0 offset:76
	v_cmp_lt_u32_e64 s[6:7], 19, v0
	s_waitcnt vmcnt(0)
	ds_write_b32 v76, v88
	s_waitcnt lgkmcnt(0)
	; wave barrier
	s_waitcnt lgkmcnt(0)
	s_and_saveexec_b64 s[8:9], s[6:7]
	s_cbranch_execz .LBB100_166
; %bb.157:
	s_andn2_b64 vcc, exec, s[10:11]
	s_cbranch_vccnz .LBB100_159
; %bb.158:
	buffer_load_dword v88, v77, s[0:3], 0 offen
	ds_read_b32 v89, v76
	s_waitcnt vmcnt(0) lgkmcnt(0)
	v_mul_f32_e32 v88, v88, v89
	s_cbranch_execz .LBB100_160
	s_branch .LBB100_161
.LBB100_159:
                                        ; implicit-def: $vgpr88
.LBB100_160:
	ds_read_b32 v88, v76
.LBB100_161:
	s_and_saveexec_b64 s[12:13], s[4:5]
	s_cbranch_execz .LBB100_165
; %bb.162:
	v_subrev_u32_e32 v89, 20, v0
	s_movk_i32 s14, 0xf0
	s_mov_b64 s[4:5], 0
.LBB100_163:                            ; =>This Inner Loop Header: Depth=1
	buffer_load_dword v90, v87, s[0:3], 0 offen
	v_mov_b32_e32 v91, s14
	ds_read_b32 v91, v91
	v_add_u32_e32 v89, -1, v89
	s_add_i32 s14, s14, 4
	v_cmp_eq_u32_e32 vcc, 0, v89
	v_add_u32_e32 v87, 4, v87
	s_or_b64 s[4:5], vcc, s[4:5]
	s_waitcnt vmcnt(0) lgkmcnt(0)
	v_fmac_f32_e32 v88, v90, v91
	s_andn2_b64 exec, exec, s[4:5]
	s_cbranch_execnz .LBB100_163
; %bb.164:
	s_or_b64 exec, exec, s[4:5]
.LBB100_165:
	s_or_b64 exec, exec, s[12:13]
	v_mov_b32_e32 v87, 0
	ds_read_b32 v87, v87 offset:76
	s_waitcnt lgkmcnt(0)
	v_mul_f32_e32 v87, v88, v87
	buffer_store_dword v87, off, s[0:3], 0 offset:76
.LBB100_166:
	s_or_b64 exec, exec, s[8:9]
	buffer_load_dword v87, off, s[0:3], 0 offset:72
	v_cmp_lt_u32_e64 s[4:5], 18, v0
	s_waitcnt vmcnt(0)
	ds_write_b32 v76, v87
	s_waitcnt lgkmcnt(0)
	; wave barrier
	s_waitcnt lgkmcnt(0)
	s_and_saveexec_b64 s[8:9], s[4:5]
	s_cbranch_execz .LBB100_176
; %bb.167:
	s_andn2_b64 vcc, exec, s[10:11]
	s_cbranch_vccnz .LBB100_169
; %bb.168:
	buffer_load_dword v87, v77, s[0:3], 0 offen
	ds_read_b32 v88, v76
	s_waitcnt vmcnt(0) lgkmcnt(0)
	v_mul_f32_e32 v87, v87, v88
	s_cbranch_execz .LBB100_170
	s_branch .LBB100_171
.LBB100_169:
                                        ; implicit-def: $vgpr87
.LBB100_170:
	ds_read_b32 v87, v76
.LBB100_171:
	s_and_saveexec_b64 s[12:13], s[6:7]
	s_cbranch_execz .LBB100_175
; %bb.172:
	v_mov_b32_e32 v88, 0
	v_add_u32_e32 v88, 0x4c, v88
	v_subrev_u32_e32 v89, 19, v0
	s_movk_i32 s14, 0xec
	s_mov_b64 s[6:7], 0
.LBB100_173:                            ; =>This Inner Loop Header: Depth=1
	buffer_load_dword v90, v88, s[0:3], 0 offen
	v_mov_b32_e32 v91, s14
	ds_read_b32 v91, v91
	v_add_u32_e32 v89, -1, v89
	s_add_i32 s14, s14, 4
	v_cmp_eq_u32_e32 vcc, 0, v89
	v_add_u32_e32 v88, 4, v88
	s_or_b64 s[6:7], vcc, s[6:7]
	s_waitcnt vmcnt(0) lgkmcnt(0)
	v_fmac_f32_e32 v87, v90, v91
	s_andn2_b64 exec, exec, s[6:7]
	s_cbranch_execnz .LBB100_173
; %bb.174:
	s_or_b64 exec, exec, s[6:7]
.LBB100_175:
	s_or_b64 exec, exec, s[12:13]
	v_mov_b32_e32 v88, 0
	ds_read_b32 v88, v88 offset:72
	s_waitcnt lgkmcnt(0)
	v_mul_f32_e32 v87, v87, v88
	buffer_store_dword v87, off, s[0:3], 0 offset:72
.LBB100_176:
	s_or_b64 exec, exec, s[8:9]
	buffer_load_dword v87, off, s[0:3], 0 offset:68
	v_cmp_lt_u32_e64 s[6:7], 17, v0
	s_waitcnt vmcnt(0)
	ds_write_b32 v76, v87
	s_waitcnt lgkmcnt(0)
	; wave barrier
	s_waitcnt lgkmcnt(0)
	s_and_saveexec_b64 s[8:9], s[6:7]
	s_cbranch_execz .LBB100_186
; %bb.177:
	s_andn2_b64 vcc, exec, s[10:11]
	s_cbranch_vccnz .LBB100_179
; %bb.178:
	buffer_load_dword v87, v77, s[0:3], 0 offen
	ds_read_b32 v88, v76
	s_waitcnt vmcnt(0) lgkmcnt(0)
	v_mul_f32_e32 v87, v87, v88
	s_cbranch_execz .LBB100_180
	s_branch .LBB100_181
.LBB100_179:
                                        ; implicit-def: $vgpr87
.LBB100_180:
	ds_read_b32 v87, v76
.LBB100_181:
	s_and_saveexec_b64 s[12:13], s[4:5]
	s_cbranch_execz .LBB100_185
; %bb.182:
	v_subrev_u32_e32 v88, 18, v0
	s_movk_i32 s14, 0xe8
	s_mov_b64 s[4:5], 0
.LBB100_183:                            ; =>This Inner Loop Header: Depth=1
	buffer_load_dword v89, v86, s[0:3], 0 offen
	v_mov_b32_e32 v90, s14
	ds_read_b32 v90, v90
	v_add_u32_e32 v88, -1, v88
	s_add_i32 s14, s14, 4
	v_cmp_eq_u32_e32 vcc, 0, v88
	v_add_u32_e32 v86, 4, v86
	s_or_b64 s[4:5], vcc, s[4:5]
	s_waitcnt vmcnt(0) lgkmcnt(0)
	v_fmac_f32_e32 v87, v89, v90
	s_andn2_b64 exec, exec, s[4:5]
	s_cbranch_execnz .LBB100_183
; %bb.184:
	s_or_b64 exec, exec, s[4:5]
.LBB100_185:
	s_or_b64 exec, exec, s[12:13]
	v_mov_b32_e32 v86, 0
	ds_read_b32 v86, v86 offset:68
	s_waitcnt lgkmcnt(0)
	v_mul_f32_e32 v86, v87, v86
	buffer_store_dword v86, off, s[0:3], 0 offset:68
.LBB100_186:
	s_or_b64 exec, exec, s[8:9]
	buffer_load_dword v86, off, s[0:3], 0 offset:64
	v_cmp_lt_u32_e64 s[4:5], 16, v0
	s_waitcnt vmcnt(0)
	ds_write_b32 v76, v86
	s_waitcnt lgkmcnt(0)
	; wave barrier
	s_waitcnt lgkmcnt(0)
	s_and_saveexec_b64 s[8:9], s[4:5]
	s_cbranch_execz .LBB100_196
; %bb.187:
	s_andn2_b64 vcc, exec, s[10:11]
	s_cbranch_vccnz .LBB100_189
; %bb.188:
	buffer_load_dword v86, v77, s[0:3], 0 offen
	ds_read_b32 v87, v76
	s_waitcnt vmcnt(0) lgkmcnt(0)
	v_mul_f32_e32 v86, v86, v87
	s_cbranch_execz .LBB100_190
	s_branch .LBB100_191
.LBB100_189:
                                        ; implicit-def: $vgpr86
.LBB100_190:
	ds_read_b32 v86, v76
.LBB100_191:
	s_and_saveexec_b64 s[12:13], s[6:7]
	s_cbranch_execz .LBB100_195
; %bb.192:
	v_mov_b32_e32 v87, 0
	v_add_u32_e32 v87, 0x44, v87
	v_subrev_u32_e32 v88, 17, v0
	s_movk_i32 s14, 0xe4
	s_mov_b64 s[6:7], 0
.LBB100_193:                            ; =>This Inner Loop Header: Depth=1
	buffer_load_dword v89, v87, s[0:3], 0 offen
	v_mov_b32_e32 v90, s14
	ds_read_b32 v90, v90
	v_add_u32_e32 v88, -1, v88
	s_add_i32 s14, s14, 4
	v_cmp_eq_u32_e32 vcc, 0, v88
	v_add_u32_e32 v87, 4, v87
	s_or_b64 s[6:7], vcc, s[6:7]
	s_waitcnt vmcnt(0) lgkmcnt(0)
	v_fmac_f32_e32 v86, v89, v90
	s_andn2_b64 exec, exec, s[6:7]
	s_cbranch_execnz .LBB100_193
; %bb.194:
	s_or_b64 exec, exec, s[6:7]
.LBB100_195:
	s_or_b64 exec, exec, s[12:13]
	v_mov_b32_e32 v87, 0
	ds_read_b32 v87, v87 offset:64
	s_waitcnt lgkmcnt(0)
	v_mul_f32_e32 v86, v86, v87
	buffer_store_dword v86, off, s[0:3], 0 offset:64
.LBB100_196:
	s_or_b64 exec, exec, s[8:9]
	buffer_load_dword v86, off, s[0:3], 0 offset:60
	v_cmp_lt_u32_e64 s[6:7], 15, v0
	s_waitcnt vmcnt(0)
	ds_write_b32 v76, v86
	s_waitcnt lgkmcnt(0)
	; wave barrier
	s_waitcnt lgkmcnt(0)
	s_and_saveexec_b64 s[8:9], s[6:7]
	s_cbranch_execz .LBB100_206
; %bb.197:
	s_andn2_b64 vcc, exec, s[10:11]
	s_cbranch_vccnz .LBB100_199
; %bb.198:
	buffer_load_dword v86, v77, s[0:3], 0 offen
	ds_read_b32 v87, v76
	s_waitcnt vmcnt(0) lgkmcnt(0)
	v_mul_f32_e32 v86, v86, v87
	s_cbranch_execz .LBB100_200
	s_branch .LBB100_201
.LBB100_199:
                                        ; implicit-def: $vgpr86
.LBB100_200:
	ds_read_b32 v86, v76
.LBB100_201:
	s_and_saveexec_b64 s[12:13], s[4:5]
	s_cbranch_execz .LBB100_205
; %bb.202:
	v_add_u32_e32 v87, -16, v0
	s_movk_i32 s14, 0xe0
	s_mov_b64 s[4:5], 0
.LBB100_203:                            ; =>This Inner Loop Header: Depth=1
	buffer_load_dword v88, v85, s[0:3], 0 offen
	v_mov_b32_e32 v89, s14
	ds_read_b32 v89, v89
	v_add_u32_e32 v87, -1, v87
	s_add_i32 s14, s14, 4
	v_cmp_eq_u32_e32 vcc, 0, v87
	v_add_u32_e32 v85, 4, v85
	s_or_b64 s[4:5], vcc, s[4:5]
	s_waitcnt vmcnt(0) lgkmcnt(0)
	v_fmac_f32_e32 v86, v88, v89
	s_andn2_b64 exec, exec, s[4:5]
	s_cbranch_execnz .LBB100_203
; %bb.204:
	s_or_b64 exec, exec, s[4:5]
.LBB100_205:
	s_or_b64 exec, exec, s[12:13]
	v_mov_b32_e32 v85, 0
	ds_read_b32 v85, v85 offset:60
	s_waitcnt lgkmcnt(0)
	v_mul_f32_e32 v85, v86, v85
	buffer_store_dword v85, off, s[0:3], 0 offset:60
.LBB100_206:
	s_or_b64 exec, exec, s[8:9]
	buffer_load_dword v85, off, s[0:3], 0 offset:56
	v_cmp_lt_u32_e64 s[4:5], 14, v0
	s_waitcnt vmcnt(0)
	ds_write_b32 v76, v85
	s_waitcnt lgkmcnt(0)
	; wave barrier
	s_waitcnt lgkmcnt(0)
	s_and_saveexec_b64 s[8:9], s[4:5]
	s_cbranch_execz .LBB100_216
; %bb.207:
	s_andn2_b64 vcc, exec, s[10:11]
	s_cbranch_vccnz .LBB100_209
; %bb.208:
	buffer_load_dword v85, v77, s[0:3], 0 offen
	ds_read_b32 v86, v76
	s_waitcnt vmcnt(0) lgkmcnt(0)
	v_mul_f32_e32 v85, v85, v86
	s_cbranch_execz .LBB100_210
	s_branch .LBB100_211
.LBB100_209:
                                        ; implicit-def: $vgpr85
.LBB100_210:
	ds_read_b32 v85, v76
.LBB100_211:
	s_and_saveexec_b64 s[12:13], s[6:7]
	s_cbranch_execz .LBB100_215
; %bb.212:
	v_mov_b32_e32 v86, 0
	v_add_u32_e32 v86, 60, v86
	v_add_u32_e32 v87, -15, v0
	s_movk_i32 s14, 0xdc
	s_mov_b64 s[6:7], 0
.LBB100_213:                            ; =>This Inner Loop Header: Depth=1
	buffer_load_dword v88, v86, s[0:3], 0 offen
	v_mov_b32_e32 v89, s14
	ds_read_b32 v89, v89
	v_add_u32_e32 v87, -1, v87
	s_add_i32 s14, s14, 4
	v_cmp_eq_u32_e32 vcc, 0, v87
	v_add_u32_e32 v86, 4, v86
	s_or_b64 s[6:7], vcc, s[6:7]
	s_waitcnt vmcnt(0) lgkmcnt(0)
	v_fmac_f32_e32 v85, v88, v89
	s_andn2_b64 exec, exec, s[6:7]
	s_cbranch_execnz .LBB100_213
; %bb.214:
	s_or_b64 exec, exec, s[6:7]
.LBB100_215:
	s_or_b64 exec, exec, s[12:13]
	v_mov_b32_e32 v86, 0
	ds_read_b32 v86, v86 offset:56
	s_waitcnt lgkmcnt(0)
	v_mul_f32_e32 v85, v85, v86
	buffer_store_dword v85, off, s[0:3], 0 offset:56
.LBB100_216:
	s_or_b64 exec, exec, s[8:9]
	buffer_load_dword v85, off, s[0:3], 0 offset:52
	v_cmp_lt_u32_e64 s[6:7], 13, v0
	s_waitcnt vmcnt(0)
	ds_write_b32 v76, v85
	s_waitcnt lgkmcnt(0)
	; wave barrier
	s_waitcnt lgkmcnt(0)
	s_and_saveexec_b64 s[8:9], s[6:7]
	s_cbranch_execz .LBB100_226
; %bb.217:
	s_andn2_b64 vcc, exec, s[10:11]
	s_cbranch_vccnz .LBB100_219
; %bb.218:
	buffer_load_dword v85, v77, s[0:3], 0 offen
	ds_read_b32 v86, v76
	s_waitcnt vmcnt(0) lgkmcnt(0)
	v_mul_f32_e32 v85, v85, v86
	s_cbranch_execz .LBB100_220
	s_branch .LBB100_221
.LBB100_219:
                                        ; implicit-def: $vgpr85
.LBB100_220:
	ds_read_b32 v85, v76
.LBB100_221:
	s_and_saveexec_b64 s[12:13], s[4:5]
	s_cbranch_execz .LBB100_225
; %bb.222:
	v_add_u32_e32 v86, -14, v0
	s_movk_i32 s14, 0xd8
	s_mov_b64 s[4:5], 0
.LBB100_223:                            ; =>This Inner Loop Header: Depth=1
	buffer_load_dword v87, v84, s[0:3], 0 offen
	v_mov_b32_e32 v88, s14
	ds_read_b32 v88, v88
	v_add_u32_e32 v86, -1, v86
	s_add_i32 s14, s14, 4
	v_cmp_eq_u32_e32 vcc, 0, v86
	v_add_u32_e32 v84, 4, v84
	s_or_b64 s[4:5], vcc, s[4:5]
	s_waitcnt vmcnt(0) lgkmcnt(0)
	v_fmac_f32_e32 v85, v87, v88
	s_andn2_b64 exec, exec, s[4:5]
	s_cbranch_execnz .LBB100_223
; %bb.224:
	s_or_b64 exec, exec, s[4:5]
.LBB100_225:
	s_or_b64 exec, exec, s[12:13]
	v_mov_b32_e32 v84, 0
	ds_read_b32 v84, v84 offset:52
	s_waitcnt lgkmcnt(0)
	v_mul_f32_e32 v84, v85, v84
	buffer_store_dword v84, off, s[0:3], 0 offset:52
.LBB100_226:
	s_or_b64 exec, exec, s[8:9]
	buffer_load_dword v84, off, s[0:3], 0 offset:48
	v_cmp_lt_u32_e64 s[4:5], 12, v0
	s_waitcnt vmcnt(0)
	ds_write_b32 v76, v84
	s_waitcnt lgkmcnt(0)
	; wave barrier
	s_waitcnt lgkmcnt(0)
	s_and_saveexec_b64 s[8:9], s[4:5]
	s_cbranch_execz .LBB100_236
; %bb.227:
	s_andn2_b64 vcc, exec, s[10:11]
	s_cbranch_vccnz .LBB100_229
; %bb.228:
	buffer_load_dword v84, v77, s[0:3], 0 offen
	ds_read_b32 v85, v76
	s_waitcnt vmcnt(0) lgkmcnt(0)
	v_mul_f32_e32 v84, v84, v85
	s_cbranch_execz .LBB100_230
	s_branch .LBB100_231
.LBB100_229:
                                        ; implicit-def: $vgpr84
.LBB100_230:
	ds_read_b32 v84, v76
.LBB100_231:
	s_and_saveexec_b64 s[12:13], s[6:7]
	s_cbranch_execz .LBB100_235
; %bb.232:
	v_mov_b32_e32 v85, 0
	v_add_u32_e32 v85, 52, v85
	v_add_u32_e32 v86, -13, v0
	s_movk_i32 s14, 0xd4
	s_mov_b64 s[6:7], 0
.LBB100_233:                            ; =>This Inner Loop Header: Depth=1
	buffer_load_dword v87, v85, s[0:3], 0 offen
	v_mov_b32_e32 v88, s14
	ds_read_b32 v88, v88
	v_add_u32_e32 v86, -1, v86
	s_add_i32 s14, s14, 4
	v_cmp_eq_u32_e32 vcc, 0, v86
	v_add_u32_e32 v85, 4, v85
	s_or_b64 s[6:7], vcc, s[6:7]
	s_waitcnt vmcnt(0) lgkmcnt(0)
	v_fmac_f32_e32 v84, v87, v88
	s_andn2_b64 exec, exec, s[6:7]
	s_cbranch_execnz .LBB100_233
; %bb.234:
	s_or_b64 exec, exec, s[6:7]
.LBB100_235:
	s_or_b64 exec, exec, s[12:13]
	v_mov_b32_e32 v85, 0
	ds_read_b32 v85, v85 offset:48
	s_waitcnt lgkmcnt(0)
	v_mul_f32_e32 v84, v84, v85
	buffer_store_dword v84, off, s[0:3], 0 offset:48
.LBB100_236:
	s_or_b64 exec, exec, s[8:9]
	buffer_load_dword v84, off, s[0:3], 0 offset:44
	v_cmp_lt_u32_e64 s[6:7], 11, v0
	s_waitcnt vmcnt(0)
	ds_write_b32 v76, v84
	s_waitcnt lgkmcnt(0)
	; wave barrier
	s_waitcnt lgkmcnt(0)
	s_and_saveexec_b64 s[8:9], s[6:7]
	s_cbranch_execz .LBB100_246
; %bb.237:
	s_andn2_b64 vcc, exec, s[10:11]
	s_cbranch_vccnz .LBB100_239
; %bb.238:
	buffer_load_dword v84, v77, s[0:3], 0 offen
	ds_read_b32 v85, v76
	s_waitcnt vmcnt(0) lgkmcnt(0)
	v_mul_f32_e32 v84, v84, v85
	s_cbranch_execz .LBB100_240
	s_branch .LBB100_241
.LBB100_239:
                                        ; implicit-def: $vgpr84
.LBB100_240:
	ds_read_b32 v84, v76
.LBB100_241:
	s_and_saveexec_b64 s[12:13], s[4:5]
	s_cbranch_execz .LBB100_245
; %bb.242:
	v_add_u32_e32 v85, -12, v0
	s_movk_i32 s14, 0xd0
	s_mov_b64 s[4:5], 0
.LBB100_243:                            ; =>This Inner Loop Header: Depth=1
	buffer_load_dword v86, v83, s[0:3], 0 offen
	v_mov_b32_e32 v87, s14
	ds_read_b32 v87, v87
	v_add_u32_e32 v85, -1, v85
	s_add_i32 s14, s14, 4
	v_cmp_eq_u32_e32 vcc, 0, v85
	v_add_u32_e32 v83, 4, v83
	s_or_b64 s[4:5], vcc, s[4:5]
	s_waitcnt vmcnt(0) lgkmcnt(0)
	v_fmac_f32_e32 v84, v86, v87
	s_andn2_b64 exec, exec, s[4:5]
	s_cbranch_execnz .LBB100_243
; %bb.244:
	s_or_b64 exec, exec, s[4:5]
.LBB100_245:
	s_or_b64 exec, exec, s[12:13]
	v_mov_b32_e32 v83, 0
	ds_read_b32 v83, v83 offset:44
	s_waitcnt lgkmcnt(0)
	v_mul_f32_e32 v83, v84, v83
	buffer_store_dword v83, off, s[0:3], 0 offset:44
.LBB100_246:
	s_or_b64 exec, exec, s[8:9]
	buffer_load_dword v83, off, s[0:3], 0 offset:40
	v_cmp_lt_u32_e64 s[4:5], 10, v0
	s_waitcnt vmcnt(0)
	ds_write_b32 v76, v83
	s_waitcnt lgkmcnt(0)
	; wave barrier
	s_waitcnt lgkmcnt(0)
	s_and_saveexec_b64 s[8:9], s[4:5]
	s_cbranch_execz .LBB100_256
; %bb.247:
	s_andn2_b64 vcc, exec, s[10:11]
	s_cbranch_vccnz .LBB100_249
; %bb.248:
	buffer_load_dword v83, v77, s[0:3], 0 offen
	ds_read_b32 v84, v76
	s_waitcnt vmcnt(0) lgkmcnt(0)
	v_mul_f32_e32 v83, v83, v84
	s_cbranch_execz .LBB100_250
	s_branch .LBB100_251
.LBB100_249:
                                        ; implicit-def: $vgpr83
.LBB100_250:
	ds_read_b32 v83, v76
.LBB100_251:
	s_and_saveexec_b64 s[12:13], s[6:7]
	s_cbranch_execz .LBB100_255
; %bb.252:
	v_mov_b32_e32 v84, 0
	v_add_u32_e32 v84, 44, v84
	v_add_u32_e32 v85, -11, v0
	s_movk_i32 s14, 0xcc
	s_mov_b64 s[6:7], 0
.LBB100_253:                            ; =>This Inner Loop Header: Depth=1
	buffer_load_dword v86, v84, s[0:3], 0 offen
	v_mov_b32_e32 v87, s14
	ds_read_b32 v87, v87
	v_add_u32_e32 v85, -1, v85
	s_add_i32 s14, s14, 4
	v_cmp_eq_u32_e32 vcc, 0, v85
	v_add_u32_e32 v84, 4, v84
	s_or_b64 s[6:7], vcc, s[6:7]
	s_waitcnt vmcnt(0) lgkmcnt(0)
	v_fmac_f32_e32 v83, v86, v87
	s_andn2_b64 exec, exec, s[6:7]
	s_cbranch_execnz .LBB100_253
; %bb.254:
	s_or_b64 exec, exec, s[6:7]
.LBB100_255:
	s_or_b64 exec, exec, s[12:13]
	v_mov_b32_e32 v84, 0
	ds_read_b32 v84, v84 offset:40
	s_waitcnt lgkmcnt(0)
	v_mul_f32_e32 v83, v83, v84
	buffer_store_dword v83, off, s[0:3], 0 offset:40
.LBB100_256:
	s_or_b64 exec, exec, s[8:9]
	buffer_load_dword v83, off, s[0:3], 0 offset:36
	v_cmp_lt_u32_e64 s[6:7], 9, v0
	s_waitcnt vmcnt(0)
	ds_write_b32 v76, v83
	s_waitcnt lgkmcnt(0)
	; wave barrier
	s_waitcnt lgkmcnt(0)
	s_and_saveexec_b64 s[8:9], s[6:7]
	s_cbranch_execz .LBB100_266
; %bb.257:
	s_andn2_b64 vcc, exec, s[10:11]
	s_cbranch_vccnz .LBB100_259
; %bb.258:
	buffer_load_dword v83, v77, s[0:3], 0 offen
	ds_read_b32 v84, v76
	s_waitcnt vmcnt(0) lgkmcnt(0)
	v_mul_f32_e32 v83, v83, v84
	s_cbranch_execz .LBB100_260
	s_branch .LBB100_261
.LBB100_259:
                                        ; implicit-def: $vgpr83
.LBB100_260:
	ds_read_b32 v83, v76
.LBB100_261:
	s_and_saveexec_b64 s[12:13], s[4:5]
	s_cbranch_execz .LBB100_265
; %bb.262:
	v_add_u32_e32 v84, -10, v0
	s_movk_i32 s14, 0xc8
	s_mov_b64 s[4:5], 0
.LBB100_263:                            ; =>This Inner Loop Header: Depth=1
	buffer_load_dword v85, v82, s[0:3], 0 offen
	v_mov_b32_e32 v86, s14
	ds_read_b32 v86, v86
	v_add_u32_e32 v84, -1, v84
	s_add_i32 s14, s14, 4
	v_cmp_eq_u32_e32 vcc, 0, v84
	v_add_u32_e32 v82, 4, v82
	s_or_b64 s[4:5], vcc, s[4:5]
	s_waitcnt vmcnt(0) lgkmcnt(0)
	v_fmac_f32_e32 v83, v85, v86
	s_andn2_b64 exec, exec, s[4:5]
	s_cbranch_execnz .LBB100_263
; %bb.264:
	s_or_b64 exec, exec, s[4:5]
.LBB100_265:
	s_or_b64 exec, exec, s[12:13]
	v_mov_b32_e32 v82, 0
	ds_read_b32 v82, v82 offset:36
	s_waitcnt lgkmcnt(0)
	v_mul_f32_e32 v82, v83, v82
	buffer_store_dword v82, off, s[0:3], 0 offset:36
.LBB100_266:
	s_or_b64 exec, exec, s[8:9]
	buffer_load_dword v82, off, s[0:3], 0 offset:32
	v_cmp_lt_u32_e64 s[4:5], 8, v0
	s_waitcnt vmcnt(0)
	ds_write_b32 v76, v82
	s_waitcnt lgkmcnt(0)
	; wave barrier
	s_waitcnt lgkmcnt(0)
	s_and_saveexec_b64 s[8:9], s[4:5]
	s_cbranch_execz .LBB100_276
; %bb.267:
	s_andn2_b64 vcc, exec, s[10:11]
	s_cbranch_vccnz .LBB100_269
; %bb.268:
	buffer_load_dword v82, v77, s[0:3], 0 offen
	ds_read_b32 v83, v76
	s_waitcnt vmcnt(0) lgkmcnt(0)
	v_mul_f32_e32 v82, v82, v83
	s_cbranch_execz .LBB100_270
	s_branch .LBB100_271
.LBB100_269:
                                        ; implicit-def: $vgpr82
.LBB100_270:
	ds_read_b32 v82, v76
.LBB100_271:
	s_and_saveexec_b64 s[12:13], s[6:7]
	s_cbranch_execz .LBB100_275
; %bb.272:
	v_mov_b32_e32 v83, 0
	v_add_u32_e32 v83, 36, v83
	v_add_u32_e32 v84, -9, v0
	s_movk_i32 s14, 0xc4
	s_mov_b64 s[6:7], 0
.LBB100_273:                            ; =>This Inner Loop Header: Depth=1
	buffer_load_dword v85, v83, s[0:3], 0 offen
	v_mov_b32_e32 v86, s14
	ds_read_b32 v86, v86
	v_add_u32_e32 v84, -1, v84
	s_add_i32 s14, s14, 4
	v_cmp_eq_u32_e32 vcc, 0, v84
	v_add_u32_e32 v83, 4, v83
	s_or_b64 s[6:7], vcc, s[6:7]
	s_waitcnt vmcnt(0) lgkmcnt(0)
	v_fmac_f32_e32 v82, v85, v86
	s_andn2_b64 exec, exec, s[6:7]
	s_cbranch_execnz .LBB100_273
; %bb.274:
	s_or_b64 exec, exec, s[6:7]
.LBB100_275:
	s_or_b64 exec, exec, s[12:13]
	v_mov_b32_e32 v83, 0
	ds_read_b32 v83, v83 offset:32
	s_waitcnt lgkmcnt(0)
	v_mul_f32_e32 v82, v82, v83
	buffer_store_dword v82, off, s[0:3], 0 offset:32
.LBB100_276:
	s_or_b64 exec, exec, s[8:9]
	buffer_load_dword v82, off, s[0:3], 0 offset:28
	v_cmp_lt_u32_e64 s[6:7], 7, v0
	s_waitcnt vmcnt(0)
	ds_write_b32 v76, v82
	s_waitcnt lgkmcnt(0)
	; wave barrier
	s_waitcnt lgkmcnt(0)
	s_and_saveexec_b64 s[8:9], s[6:7]
	s_cbranch_execz .LBB100_286
; %bb.277:
	s_andn2_b64 vcc, exec, s[10:11]
	s_cbranch_vccnz .LBB100_279
; %bb.278:
	buffer_load_dword v82, v77, s[0:3], 0 offen
	ds_read_b32 v83, v76
	s_waitcnt vmcnt(0) lgkmcnt(0)
	v_mul_f32_e32 v82, v82, v83
	s_cbranch_execz .LBB100_280
	s_branch .LBB100_281
.LBB100_279:
                                        ; implicit-def: $vgpr82
.LBB100_280:
	ds_read_b32 v82, v76
.LBB100_281:
	s_and_saveexec_b64 s[12:13], s[4:5]
	s_cbranch_execz .LBB100_285
; %bb.282:
	v_add_u32_e32 v83, -8, v0
	s_movk_i32 s14, 0xc0
	s_mov_b64 s[4:5], 0
.LBB100_283:                            ; =>This Inner Loop Header: Depth=1
	buffer_load_dword v84, v81, s[0:3], 0 offen
	v_mov_b32_e32 v85, s14
	ds_read_b32 v85, v85
	v_add_u32_e32 v83, -1, v83
	s_add_i32 s14, s14, 4
	v_cmp_eq_u32_e32 vcc, 0, v83
	v_add_u32_e32 v81, 4, v81
	s_or_b64 s[4:5], vcc, s[4:5]
	s_waitcnt vmcnt(0) lgkmcnt(0)
	v_fmac_f32_e32 v82, v84, v85
	s_andn2_b64 exec, exec, s[4:5]
	s_cbranch_execnz .LBB100_283
; %bb.284:
	s_or_b64 exec, exec, s[4:5]
.LBB100_285:
	s_or_b64 exec, exec, s[12:13]
	v_mov_b32_e32 v81, 0
	ds_read_b32 v81, v81 offset:28
	s_waitcnt lgkmcnt(0)
	v_mul_f32_e32 v81, v82, v81
	buffer_store_dword v81, off, s[0:3], 0 offset:28
.LBB100_286:
	s_or_b64 exec, exec, s[8:9]
	buffer_load_dword v81, off, s[0:3], 0 offset:24
	v_cmp_lt_u32_e64 s[4:5], 6, v0
	s_waitcnt vmcnt(0)
	ds_write_b32 v76, v81
	s_waitcnt lgkmcnt(0)
	; wave barrier
	s_waitcnt lgkmcnt(0)
	s_and_saveexec_b64 s[8:9], s[4:5]
	s_cbranch_execz .LBB100_296
; %bb.287:
	s_andn2_b64 vcc, exec, s[10:11]
	s_cbranch_vccnz .LBB100_289
; %bb.288:
	buffer_load_dword v81, v77, s[0:3], 0 offen
	ds_read_b32 v82, v76
	s_waitcnt vmcnt(0) lgkmcnt(0)
	v_mul_f32_e32 v81, v81, v82
	s_cbranch_execz .LBB100_290
	s_branch .LBB100_291
.LBB100_289:
                                        ; implicit-def: $vgpr81
.LBB100_290:
	ds_read_b32 v81, v76
.LBB100_291:
	s_and_saveexec_b64 s[12:13], s[6:7]
	s_cbranch_execz .LBB100_295
; %bb.292:
	v_mov_b32_e32 v82, 0
	v_add_u32_e32 v82, 28, v82
	v_add_u32_e32 v83, -7, v0
	s_movk_i32 s14, 0xbc
	s_mov_b64 s[6:7], 0
.LBB100_293:                            ; =>This Inner Loop Header: Depth=1
	buffer_load_dword v84, v82, s[0:3], 0 offen
	v_mov_b32_e32 v85, s14
	ds_read_b32 v85, v85
	v_add_u32_e32 v83, -1, v83
	s_add_i32 s14, s14, 4
	v_cmp_eq_u32_e32 vcc, 0, v83
	v_add_u32_e32 v82, 4, v82
	s_or_b64 s[6:7], vcc, s[6:7]
	s_waitcnt vmcnt(0) lgkmcnt(0)
	v_fmac_f32_e32 v81, v84, v85
	s_andn2_b64 exec, exec, s[6:7]
	s_cbranch_execnz .LBB100_293
; %bb.294:
	s_or_b64 exec, exec, s[6:7]
.LBB100_295:
	s_or_b64 exec, exec, s[12:13]
	v_mov_b32_e32 v82, 0
	ds_read_b32 v82, v82 offset:24
	s_waitcnt lgkmcnt(0)
	v_mul_f32_e32 v81, v81, v82
	buffer_store_dword v81, off, s[0:3], 0 offset:24
.LBB100_296:
	s_or_b64 exec, exec, s[8:9]
	buffer_load_dword v81, off, s[0:3], 0 offset:20
	v_cmp_lt_u32_e64 s[6:7], 5, v0
	s_waitcnt vmcnt(0)
	ds_write_b32 v76, v81
	s_waitcnt lgkmcnt(0)
	; wave barrier
	s_waitcnt lgkmcnt(0)
	s_and_saveexec_b64 s[8:9], s[6:7]
	s_cbranch_execz .LBB100_306
; %bb.297:
	s_andn2_b64 vcc, exec, s[10:11]
	s_cbranch_vccnz .LBB100_299
; %bb.298:
	buffer_load_dword v81, v77, s[0:3], 0 offen
	ds_read_b32 v82, v76
	s_waitcnt vmcnt(0) lgkmcnt(0)
	v_mul_f32_e32 v81, v81, v82
	s_cbranch_execz .LBB100_300
	s_branch .LBB100_301
.LBB100_299:
                                        ; implicit-def: $vgpr81
.LBB100_300:
	ds_read_b32 v81, v76
.LBB100_301:
	s_and_saveexec_b64 s[12:13], s[4:5]
	s_cbranch_execz .LBB100_305
; %bb.302:
	v_add_u32_e32 v82, -6, v0
	s_movk_i32 s14, 0xb8
	s_mov_b64 s[4:5], 0
.LBB100_303:                            ; =>This Inner Loop Header: Depth=1
	buffer_load_dword v83, v80, s[0:3], 0 offen
	v_mov_b32_e32 v84, s14
	ds_read_b32 v84, v84
	v_add_u32_e32 v82, -1, v82
	s_add_i32 s14, s14, 4
	v_cmp_eq_u32_e32 vcc, 0, v82
	v_add_u32_e32 v80, 4, v80
	s_or_b64 s[4:5], vcc, s[4:5]
	s_waitcnt vmcnt(0) lgkmcnt(0)
	v_fmac_f32_e32 v81, v83, v84
	s_andn2_b64 exec, exec, s[4:5]
	s_cbranch_execnz .LBB100_303
; %bb.304:
	s_or_b64 exec, exec, s[4:5]
.LBB100_305:
	s_or_b64 exec, exec, s[12:13]
	v_mov_b32_e32 v80, 0
	ds_read_b32 v80, v80 offset:20
	s_waitcnt lgkmcnt(0)
	v_mul_f32_e32 v80, v81, v80
	buffer_store_dword v80, off, s[0:3], 0 offset:20
.LBB100_306:
	s_or_b64 exec, exec, s[8:9]
	buffer_load_dword v80, off, s[0:3], 0 offset:16
	v_cmp_lt_u32_e64 s[4:5], 4, v0
	s_waitcnt vmcnt(0)
	ds_write_b32 v76, v80
	s_waitcnt lgkmcnt(0)
	; wave barrier
	s_waitcnt lgkmcnt(0)
	s_and_saveexec_b64 s[8:9], s[4:5]
	s_cbranch_execz .LBB100_316
; %bb.307:
	s_andn2_b64 vcc, exec, s[10:11]
	s_cbranch_vccnz .LBB100_309
; %bb.308:
	buffer_load_dword v80, v77, s[0:3], 0 offen
	ds_read_b32 v81, v76
	s_waitcnt vmcnt(0) lgkmcnt(0)
	v_mul_f32_e32 v80, v80, v81
	s_cbranch_execz .LBB100_310
	s_branch .LBB100_311
.LBB100_309:
                                        ; implicit-def: $vgpr80
.LBB100_310:
	ds_read_b32 v80, v76
.LBB100_311:
	s_and_saveexec_b64 s[12:13], s[6:7]
	s_cbranch_execz .LBB100_315
; %bb.312:
	v_mov_b32_e32 v81, 0
	v_add_u32_e32 v81, 20, v81
	v_add_u32_e32 v82, -5, v0
	s_movk_i32 s14, 0xb4
	s_mov_b64 s[6:7], 0
.LBB100_313:                            ; =>This Inner Loop Header: Depth=1
	buffer_load_dword v83, v81, s[0:3], 0 offen
	v_mov_b32_e32 v84, s14
	ds_read_b32 v84, v84
	v_add_u32_e32 v82, -1, v82
	s_add_i32 s14, s14, 4
	v_cmp_eq_u32_e32 vcc, 0, v82
	v_add_u32_e32 v81, 4, v81
	s_or_b64 s[6:7], vcc, s[6:7]
	s_waitcnt vmcnt(0) lgkmcnt(0)
	v_fmac_f32_e32 v80, v83, v84
	s_andn2_b64 exec, exec, s[6:7]
	s_cbranch_execnz .LBB100_313
; %bb.314:
	s_or_b64 exec, exec, s[6:7]
.LBB100_315:
	s_or_b64 exec, exec, s[12:13]
	v_mov_b32_e32 v81, 0
	ds_read_b32 v81, v81 offset:16
	s_waitcnt lgkmcnt(0)
	v_mul_f32_e32 v80, v80, v81
	buffer_store_dword v80, off, s[0:3], 0 offset:16
.LBB100_316:
	s_or_b64 exec, exec, s[8:9]
	buffer_load_dword v80, off, s[0:3], 0 offset:12
	v_cmp_lt_u32_e64 s[6:7], 3, v0
	s_waitcnt vmcnt(0)
	ds_write_b32 v76, v80
	s_waitcnt lgkmcnt(0)
	; wave barrier
	s_waitcnt lgkmcnt(0)
	s_and_saveexec_b64 s[8:9], s[6:7]
	s_cbranch_execz .LBB100_326
; %bb.317:
	s_andn2_b64 vcc, exec, s[10:11]
	s_cbranch_vccnz .LBB100_319
; %bb.318:
	buffer_load_dword v80, v77, s[0:3], 0 offen
	ds_read_b32 v81, v76
	s_waitcnt vmcnt(0) lgkmcnt(0)
	v_mul_f32_e32 v80, v80, v81
	s_cbranch_execz .LBB100_320
	s_branch .LBB100_321
.LBB100_319:
                                        ; implicit-def: $vgpr80
.LBB100_320:
	ds_read_b32 v80, v76
.LBB100_321:
	s_and_saveexec_b64 s[12:13], s[4:5]
	s_cbranch_execz .LBB100_325
; %bb.322:
	v_add_u32_e32 v81, -4, v0
	s_movk_i32 s14, 0xb0
	s_mov_b64 s[4:5], 0
.LBB100_323:                            ; =>This Inner Loop Header: Depth=1
	buffer_load_dword v82, v79, s[0:3], 0 offen
	v_mov_b32_e32 v83, s14
	ds_read_b32 v83, v83
	v_add_u32_e32 v81, -1, v81
	s_add_i32 s14, s14, 4
	v_cmp_eq_u32_e32 vcc, 0, v81
	v_add_u32_e32 v79, 4, v79
	s_or_b64 s[4:5], vcc, s[4:5]
	s_waitcnt vmcnt(0) lgkmcnt(0)
	v_fmac_f32_e32 v80, v82, v83
	s_andn2_b64 exec, exec, s[4:5]
	s_cbranch_execnz .LBB100_323
; %bb.324:
	s_or_b64 exec, exec, s[4:5]
.LBB100_325:
	s_or_b64 exec, exec, s[12:13]
	v_mov_b32_e32 v79, 0
	ds_read_b32 v79, v79 offset:12
	s_waitcnt lgkmcnt(0)
	v_mul_f32_e32 v79, v80, v79
	buffer_store_dword v79, off, s[0:3], 0 offset:12
.LBB100_326:
	s_or_b64 exec, exec, s[8:9]
	buffer_load_dword v79, off, s[0:3], 0 offset:8
	v_cmp_lt_u32_e64 s[4:5], 2, v0
	s_waitcnt vmcnt(0)
	ds_write_b32 v76, v79
	s_waitcnt lgkmcnt(0)
	; wave barrier
	s_waitcnt lgkmcnt(0)
	s_and_saveexec_b64 s[8:9], s[4:5]
	s_cbranch_execz .LBB100_336
; %bb.327:
	s_andn2_b64 vcc, exec, s[10:11]
	s_cbranch_vccnz .LBB100_329
; %bb.328:
	buffer_load_dword v79, v77, s[0:3], 0 offen
	ds_read_b32 v80, v76
	s_waitcnt vmcnt(0) lgkmcnt(0)
	v_mul_f32_e32 v79, v79, v80
	s_cbranch_execz .LBB100_330
	s_branch .LBB100_331
.LBB100_329:
                                        ; implicit-def: $vgpr79
.LBB100_330:
	ds_read_b32 v79, v76
.LBB100_331:
	s_and_saveexec_b64 s[12:13], s[6:7]
	s_cbranch_execz .LBB100_335
; %bb.332:
	v_mov_b32_e32 v80, 0
	v_or_b32_e32 v80, 12, v80
	v_add_u32_e32 v81, -3, v0
	s_movk_i32 s14, 0xac
	s_mov_b64 s[6:7], 0
.LBB100_333:                            ; =>This Inner Loop Header: Depth=1
	buffer_load_dword v82, v80, s[0:3], 0 offen
	v_mov_b32_e32 v83, s14
	ds_read_b32 v83, v83
	v_add_u32_e32 v81, -1, v81
	s_add_i32 s14, s14, 4
	v_cmp_eq_u32_e32 vcc, 0, v81
	v_add_u32_e32 v80, 4, v80
	s_or_b64 s[6:7], vcc, s[6:7]
	s_waitcnt vmcnt(0) lgkmcnt(0)
	v_fmac_f32_e32 v79, v82, v83
	s_andn2_b64 exec, exec, s[6:7]
	s_cbranch_execnz .LBB100_333
; %bb.334:
	s_or_b64 exec, exec, s[6:7]
.LBB100_335:
	s_or_b64 exec, exec, s[12:13]
	v_mov_b32_e32 v80, 0
	ds_read_b32 v80, v80 offset:8
	s_waitcnt lgkmcnt(0)
	v_mul_f32_e32 v79, v79, v80
	buffer_store_dword v79, off, s[0:3], 0 offset:8
.LBB100_336:
	s_or_b64 exec, exec, s[8:9]
	buffer_load_dword v79, off, s[0:3], 0 offset:4
	v_cmp_lt_u32_e64 s[6:7], 1, v0
	s_waitcnt vmcnt(0)
	ds_write_b32 v76, v79
	s_waitcnt lgkmcnt(0)
	; wave barrier
	s_waitcnt lgkmcnt(0)
	s_and_saveexec_b64 s[8:9], s[6:7]
	s_cbranch_execz .LBB100_346
; %bb.337:
	s_andn2_b64 vcc, exec, s[10:11]
	s_cbranch_vccnz .LBB100_339
; %bb.338:
	buffer_load_dword v79, v77, s[0:3], 0 offen
	ds_read_b32 v80, v76
	s_waitcnt vmcnt(0) lgkmcnt(0)
	v_mul_f32_e32 v79, v79, v80
	s_cbranch_execz .LBB100_340
	s_branch .LBB100_341
.LBB100_339:
                                        ; implicit-def: $vgpr79
.LBB100_340:
	ds_read_b32 v79, v76
.LBB100_341:
	s_and_saveexec_b64 s[12:13], s[4:5]
	s_cbranch_execz .LBB100_345
; %bb.342:
	v_add_u32_e32 v80, -2, v0
	s_movk_i32 s14, 0xa8
	s_mov_b64 s[4:5], 0
.LBB100_343:                            ; =>This Inner Loop Header: Depth=1
	buffer_load_dword v81, v78, s[0:3], 0 offen
	v_mov_b32_e32 v82, s14
	ds_read_b32 v82, v82
	v_add_u32_e32 v80, -1, v80
	s_add_i32 s14, s14, 4
	v_cmp_eq_u32_e32 vcc, 0, v80
	v_add_u32_e32 v78, 4, v78
	s_or_b64 s[4:5], vcc, s[4:5]
	s_waitcnt vmcnt(0) lgkmcnt(0)
	v_fmac_f32_e32 v79, v81, v82
	s_andn2_b64 exec, exec, s[4:5]
	s_cbranch_execnz .LBB100_343
; %bb.344:
	s_or_b64 exec, exec, s[4:5]
.LBB100_345:
	s_or_b64 exec, exec, s[12:13]
	v_mov_b32_e32 v78, 0
	ds_read_b32 v78, v78 offset:4
	s_waitcnt lgkmcnt(0)
	v_mul_f32_e32 v78, v79, v78
	buffer_store_dword v78, off, s[0:3], 0 offset:4
.LBB100_346:
	s_or_b64 exec, exec, s[8:9]
	buffer_load_dword v78, off, s[0:3], 0
	v_cmp_ne_u32_e32 vcc, 0, v0
	s_waitcnt vmcnt(0)
	ds_write_b32 v76, v78
	s_waitcnt lgkmcnt(0)
	; wave barrier
	s_waitcnt lgkmcnt(0)
	s_and_saveexec_b64 s[4:5], vcc
	s_cbranch_execz .LBB100_356
; %bb.347:
	s_andn2_b64 vcc, exec, s[10:11]
	s_cbranch_vccnz .LBB100_349
; %bb.348:
	buffer_load_dword v78, v77, s[0:3], 0 offen
	ds_read_b32 v79, v76
	s_waitcnt vmcnt(0) lgkmcnt(0)
	v_mul_f32_e32 v78, v78, v79
	s_cbranch_execz .LBB100_350
	s_branch .LBB100_351
.LBB100_349:
                                        ; implicit-def: $vgpr78
.LBB100_350:
	ds_read_b32 v78, v76
.LBB100_351:
	s_and_saveexec_b64 s[8:9], s[6:7]
	s_cbranch_execz .LBB100_355
; %bb.352:
	v_mov_b32_e32 v79, 0
	v_or_b32_e32 v79, 4, v79
	v_add_u32_e32 v80, -1, v0
	s_movk_i32 s12, 0xa4
	s_mov_b64 s[6:7], 0
.LBB100_353:                            ; =>This Inner Loop Header: Depth=1
	buffer_load_dword v81, v79, s[0:3], 0 offen
	v_mov_b32_e32 v82, s12
	ds_read_b32 v82, v82
	v_add_u32_e32 v80, -1, v80
	s_add_i32 s12, s12, 4
	v_cmp_eq_u32_e32 vcc, 0, v80
	v_add_u32_e32 v79, 4, v79
	s_or_b64 s[6:7], vcc, s[6:7]
	s_waitcnt vmcnt(0) lgkmcnt(0)
	v_fmac_f32_e32 v78, v81, v82
	s_andn2_b64 exec, exec, s[6:7]
	s_cbranch_execnz .LBB100_353
; %bb.354:
	s_or_b64 exec, exec, s[6:7]
.LBB100_355:
	s_or_b64 exec, exec, s[8:9]
	v_mov_b32_e32 v79, 0
	ds_read_b32 v79, v79
	s_waitcnt lgkmcnt(0)
	v_mul_f32_e32 v78, v78, v79
	buffer_store_dword v78, off, s[0:3], 0
.LBB100_356:
	s_or_b64 exec, exec, s[4:5]
	s_mov_b64 s[4:5], 0
.LBB100_357:
	s_and_b64 vcc, exec, s[4:5]
	s_cbranch_vccz .LBB100_711
; %bb.358:
	buffer_load_dword v78, off, s[0:3], 0 offset:4
	v_cmp_eq_u32_e64 s[6:7], 0, v0
	s_waitcnt vmcnt(0)
	ds_write_b32 v76, v78
	s_waitcnt lgkmcnt(0)
	; wave barrier
	s_waitcnt lgkmcnt(0)
	s_and_saveexec_b64 s[4:5], s[6:7]
	s_cbranch_execz .LBB100_364
; %bb.359:
	s_and_b64 vcc, exec, s[10:11]
	s_cbranch_vccz .LBB100_361
; %bb.360:
	buffer_load_dword v78, v77, s[0:3], 0 offen
	ds_read_b32 v79, v76
	s_waitcnt vmcnt(0) lgkmcnt(0)
	v_mul_f32_e32 v78, v78, v79
	s_cbranch_execz .LBB100_362
	s_branch .LBB100_363
.LBB100_361:
                                        ; implicit-def: $vgpr78
.LBB100_362:
	ds_read_b32 v78, v76
.LBB100_363:
	v_mov_b32_e32 v79, 0
	ds_read_b32 v79, v79 offset:4
	s_waitcnt lgkmcnt(0)
	v_mul_f32_e32 v78, v78, v79
	buffer_store_dword v78, off, s[0:3], 0 offset:4
.LBB100_364:
	s_or_b64 exec, exec, s[4:5]
	buffer_load_dword v78, off, s[0:3], 0 offset:8
	v_cndmask_b32_e64 v79, 0, 1, s[10:11]
	v_cmp_gt_u32_e32 vcc, 2, v0
	v_cmp_ne_u32_e64 s[4:5], 1, v79
	s_waitcnt vmcnt(0)
	ds_write_b32 v76, v78
	s_waitcnt lgkmcnt(0)
	; wave barrier
	s_waitcnt lgkmcnt(0)
	s_and_saveexec_b64 s[8:9], vcc
	s_cbranch_execz .LBB100_372
; %bb.365:
	s_and_b64 vcc, exec, s[4:5]
	s_cbranch_vccnz .LBB100_367
; %bb.366:
	buffer_load_dword v78, v77, s[0:3], 0 offen
	ds_read_b32 v79, v76
	s_waitcnt vmcnt(0) lgkmcnt(0)
	v_mul_f32_e32 v78, v78, v79
	s_cbranch_execz .LBB100_368
	s_branch .LBB100_369
.LBB100_367:
                                        ; implicit-def: $vgpr78
.LBB100_368:
	ds_read_b32 v78, v76
.LBB100_369:
	s_and_saveexec_b64 s[10:11], s[6:7]
	s_cbranch_execz .LBB100_371
; %bb.370:
	buffer_load_dword v79, v77, s[0:3], 0 offen offset:4
	ds_read_b32 v80, v76 offset:4
	s_waitcnt vmcnt(0) lgkmcnt(0)
	v_fmac_f32_e32 v78, v79, v80
.LBB100_371:
	s_or_b64 exec, exec, s[10:11]
	v_mov_b32_e32 v79, 0
	ds_read_b32 v79, v79 offset:8
	s_waitcnt lgkmcnt(0)
	v_mul_f32_e32 v78, v78, v79
	buffer_store_dword v78, off, s[0:3], 0 offset:8
.LBB100_372:
	s_or_b64 exec, exec, s[8:9]
	buffer_load_dword v78, off, s[0:3], 0 offset:12
	v_cmp_gt_u32_e32 vcc, 3, v0
	s_waitcnt vmcnt(0)
	ds_write_b32 v76, v78
	s_waitcnt lgkmcnt(0)
	; wave barrier
	s_waitcnt lgkmcnt(0)
	s_and_saveexec_b64 s[8:9], vcc
	s_cbranch_execz .LBB100_380
; %bb.373:
	s_and_b64 vcc, exec, s[4:5]
	s_cbranch_vccnz .LBB100_375
; %bb.374:
	buffer_load_dword v78, v77, s[0:3], 0 offen
	ds_read_b32 v79, v76
	s_waitcnt vmcnt(0) lgkmcnt(0)
	v_mul_f32_e32 v78, v78, v79
	s_cbranch_execz .LBB100_376
	s_branch .LBB100_377
.LBB100_375:
                                        ; implicit-def: $vgpr78
.LBB100_376:
	ds_read_b32 v78, v76
.LBB100_377:
	v_cmp_ne_u32_e32 vcc, 2, v0
	s_and_saveexec_b64 s[10:11], vcc
	s_cbranch_execz .LBB100_379
; %bb.378:
	buffer_load_dword v79, v77, s[0:3], 0 offen offset:4
	buffer_load_dword v80, off, s[0:3], 0 offset:8
	v_mov_b32_e32 v81, 0
	ds_read_b32 v82, v76 offset:4
	ds_read_b32 v81, v81 offset:168
	s_waitcnt vmcnt(1) lgkmcnt(1)
	v_fmac_f32_e32 v78, v79, v82
	s_waitcnt vmcnt(0) lgkmcnt(0)
	v_fma_f32 v79, v80, v81, v78
	v_cndmask_b32_e64 v78, v78, v79, s[6:7]
.LBB100_379:
	s_or_b64 exec, exec, s[10:11]
	v_mov_b32_e32 v79, 0
	ds_read_b32 v79, v79 offset:12
	s_waitcnt lgkmcnt(0)
	v_mul_f32_e32 v78, v78, v79
	buffer_store_dword v78, off, s[0:3], 0 offset:12
.LBB100_380:
	s_or_b64 exec, exec, s[8:9]
	buffer_load_dword v78, off, s[0:3], 0 offset:16
	v_cmp_gt_u32_e32 vcc, 4, v0
	s_waitcnt vmcnt(0)
	ds_write_b32 v76, v78
	s_waitcnt lgkmcnt(0)
	; wave barrier
	s_waitcnt lgkmcnt(0)
	s_and_saveexec_b64 s[6:7], vcc
	s_cbranch_execz .LBB100_390
; %bb.381:
	s_and_b64 vcc, exec, s[4:5]
	s_cbranch_vccnz .LBB100_383
; %bb.382:
	buffer_load_dword v78, v77, s[0:3], 0 offen
	ds_read_b32 v79, v76
	s_waitcnt vmcnt(0) lgkmcnt(0)
	v_mul_f32_e32 v78, v78, v79
	s_cbranch_execz .LBB100_384
	s_branch .LBB100_385
.LBB100_383:
                                        ; implicit-def: $vgpr78
.LBB100_384:
	ds_read_b32 v78, v76
.LBB100_385:
	v_cmp_ne_u32_e32 vcc, 3, v0
	s_and_saveexec_b64 s[8:9], vcc
	s_cbranch_execz .LBB100_389
; %bb.386:
	v_mov_b32_e32 v80, 0
	v_add_u32_e32 v79, 0xa4, v1
	v_add3_u32 v80, v1, v80, 4
	s_mov_b64 s[10:11], 0
	v_mov_b32_e32 v81, v0
.LBB100_387:                            ; =>This Inner Loop Header: Depth=1
	buffer_load_dword v82, v80, s[0:3], 0 offen
	ds_read_b32 v83, v79
	v_add_u32_e32 v81, 1, v81
	v_cmp_lt_u32_e32 vcc, 2, v81
	v_add_u32_e32 v79, 4, v79
	v_add_u32_e32 v80, 4, v80
	s_or_b64 s[10:11], vcc, s[10:11]
	s_waitcnt vmcnt(0) lgkmcnt(0)
	v_fmac_f32_e32 v78, v82, v83
	s_andn2_b64 exec, exec, s[10:11]
	s_cbranch_execnz .LBB100_387
; %bb.388:
	s_or_b64 exec, exec, s[10:11]
.LBB100_389:
	s_or_b64 exec, exec, s[8:9]
	v_mov_b32_e32 v79, 0
	ds_read_b32 v79, v79 offset:16
	s_waitcnt lgkmcnt(0)
	v_mul_f32_e32 v78, v78, v79
	buffer_store_dword v78, off, s[0:3], 0 offset:16
.LBB100_390:
	s_or_b64 exec, exec, s[6:7]
	buffer_load_dword v78, off, s[0:3], 0 offset:20
	v_cmp_gt_u32_e32 vcc, 5, v0
	s_waitcnt vmcnt(0)
	ds_write_b32 v76, v78
	s_waitcnt lgkmcnt(0)
	; wave barrier
	s_waitcnt lgkmcnt(0)
	s_and_saveexec_b64 s[6:7], vcc
	s_cbranch_execz .LBB100_400
; %bb.391:
	s_and_b64 vcc, exec, s[4:5]
	s_cbranch_vccnz .LBB100_393
; %bb.392:
	buffer_load_dword v78, v77, s[0:3], 0 offen
	ds_read_b32 v79, v76
	s_waitcnt vmcnt(0) lgkmcnt(0)
	v_mul_f32_e32 v78, v78, v79
	s_cbranch_execz .LBB100_394
	s_branch .LBB100_395
.LBB100_393:
                                        ; implicit-def: $vgpr78
.LBB100_394:
	ds_read_b32 v78, v76
.LBB100_395:
	v_cmp_ne_u32_e32 vcc, 4, v0
	s_and_saveexec_b64 s[8:9], vcc
	s_cbranch_execz .LBB100_399
; %bb.396:
	v_mov_b32_e32 v80, 0
	v_add_u32_e32 v79, 0xa4, v1
	v_add3_u32 v80, v1, v80, 4
	s_mov_b64 s[10:11], 0
	v_mov_b32_e32 v81, v0
.LBB100_397:                            ; =>This Inner Loop Header: Depth=1
	buffer_load_dword v82, v80, s[0:3], 0 offen
	ds_read_b32 v83, v79
	v_add_u32_e32 v81, 1, v81
	v_cmp_lt_u32_e32 vcc, 3, v81
	v_add_u32_e32 v79, 4, v79
	v_add_u32_e32 v80, 4, v80
	s_or_b64 s[10:11], vcc, s[10:11]
	s_waitcnt vmcnt(0) lgkmcnt(0)
	v_fmac_f32_e32 v78, v82, v83
	s_andn2_b64 exec, exec, s[10:11]
	s_cbranch_execnz .LBB100_397
; %bb.398:
	s_or_b64 exec, exec, s[10:11]
.LBB100_399:
	s_or_b64 exec, exec, s[8:9]
	v_mov_b32_e32 v79, 0
	ds_read_b32 v79, v79 offset:20
	s_waitcnt lgkmcnt(0)
	v_mul_f32_e32 v78, v78, v79
	buffer_store_dword v78, off, s[0:3], 0 offset:20
.LBB100_400:
	s_or_b64 exec, exec, s[6:7]
	buffer_load_dword v78, off, s[0:3], 0 offset:24
	v_cmp_gt_u32_e32 vcc, 6, v0
	s_waitcnt vmcnt(0)
	ds_write_b32 v76, v78
	s_waitcnt lgkmcnt(0)
	; wave barrier
	s_waitcnt lgkmcnt(0)
	s_and_saveexec_b64 s[6:7], vcc
	s_cbranch_execz .LBB100_410
; %bb.401:
	s_and_b64 vcc, exec, s[4:5]
	s_cbranch_vccnz .LBB100_403
; %bb.402:
	buffer_load_dword v78, v77, s[0:3], 0 offen
	ds_read_b32 v79, v76
	s_waitcnt vmcnt(0) lgkmcnt(0)
	v_mul_f32_e32 v78, v78, v79
	s_cbranch_execz .LBB100_404
	s_branch .LBB100_405
.LBB100_403:
                                        ; implicit-def: $vgpr78
.LBB100_404:
	ds_read_b32 v78, v76
.LBB100_405:
	v_cmp_ne_u32_e32 vcc, 5, v0
	s_and_saveexec_b64 s[8:9], vcc
	s_cbranch_execz .LBB100_409
; %bb.406:
	v_mov_b32_e32 v80, 0
	v_add_u32_e32 v79, 0xa4, v1
	v_add3_u32 v80, v1, v80, 4
	s_mov_b64 s[10:11], 0
	v_mov_b32_e32 v81, v0
.LBB100_407:                            ; =>This Inner Loop Header: Depth=1
	buffer_load_dword v82, v80, s[0:3], 0 offen
	ds_read_b32 v83, v79
	v_add_u32_e32 v81, 1, v81
	v_cmp_lt_u32_e32 vcc, 4, v81
	v_add_u32_e32 v79, 4, v79
	v_add_u32_e32 v80, 4, v80
	s_or_b64 s[10:11], vcc, s[10:11]
	s_waitcnt vmcnt(0) lgkmcnt(0)
	v_fmac_f32_e32 v78, v82, v83
	s_andn2_b64 exec, exec, s[10:11]
	s_cbranch_execnz .LBB100_407
; %bb.408:
	s_or_b64 exec, exec, s[10:11]
.LBB100_409:
	s_or_b64 exec, exec, s[8:9]
	v_mov_b32_e32 v79, 0
	ds_read_b32 v79, v79 offset:24
	s_waitcnt lgkmcnt(0)
	v_mul_f32_e32 v78, v78, v79
	buffer_store_dword v78, off, s[0:3], 0 offset:24
.LBB100_410:
	s_or_b64 exec, exec, s[6:7]
	buffer_load_dword v78, off, s[0:3], 0 offset:28
	v_cmp_gt_u32_e32 vcc, 7, v0
	s_waitcnt vmcnt(0)
	ds_write_b32 v76, v78
	s_waitcnt lgkmcnt(0)
	; wave barrier
	s_waitcnt lgkmcnt(0)
	s_and_saveexec_b64 s[6:7], vcc
	s_cbranch_execz .LBB100_420
; %bb.411:
	s_and_b64 vcc, exec, s[4:5]
	s_cbranch_vccnz .LBB100_413
; %bb.412:
	buffer_load_dword v78, v77, s[0:3], 0 offen
	ds_read_b32 v79, v76
	s_waitcnt vmcnt(0) lgkmcnt(0)
	v_mul_f32_e32 v78, v78, v79
	s_cbranch_execz .LBB100_414
	s_branch .LBB100_415
.LBB100_413:
                                        ; implicit-def: $vgpr78
.LBB100_414:
	ds_read_b32 v78, v76
.LBB100_415:
	v_cmp_ne_u32_e32 vcc, 6, v0
	s_and_saveexec_b64 s[8:9], vcc
	s_cbranch_execz .LBB100_419
; %bb.416:
	v_mov_b32_e32 v80, 0
	v_add_u32_e32 v79, 0xa4, v1
	v_add3_u32 v80, v1, v80, 4
	s_mov_b64 s[10:11], 0
	v_mov_b32_e32 v81, v0
.LBB100_417:                            ; =>This Inner Loop Header: Depth=1
	buffer_load_dword v82, v80, s[0:3], 0 offen
	ds_read_b32 v83, v79
	v_add_u32_e32 v81, 1, v81
	v_cmp_lt_u32_e32 vcc, 5, v81
	v_add_u32_e32 v79, 4, v79
	v_add_u32_e32 v80, 4, v80
	s_or_b64 s[10:11], vcc, s[10:11]
	s_waitcnt vmcnt(0) lgkmcnt(0)
	v_fmac_f32_e32 v78, v82, v83
	s_andn2_b64 exec, exec, s[10:11]
	s_cbranch_execnz .LBB100_417
; %bb.418:
	s_or_b64 exec, exec, s[10:11]
.LBB100_419:
	s_or_b64 exec, exec, s[8:9]
	v_mov_b32_e32 v79, 0
	ds_read_b32 v79, v79 offset:28
	s_waitcnt lgkmcnt(0)
	v_mul_f32_e32 v78, v78, v79
	buffer_store_dword v78, off, s[0:3], 0 offset:28
.LBB100_420:
	s_or_b64 exec, exec, s[6:7]
	buffer_load_dword v78, off, s[0:3], 0 offset:32
	v_cmp_gt_u32_e32 vcc, 8, v0
	s_waitcnt vmcnt(0)
	ds_write_b32 v76, v78
	s_waitcnt lgkmcnt(0)
	; wave barrier
	s_waitcnt lgkmcnt(0)
	s_and_saveexec_b64 s[6:7], vcc
	s_cbranch_execz .LBB100_430
; %bb.421:
	s_and_b64 vcc, exec, s[4:5]
	s_cbranch_vccnz .LBB100_423
; %bb.422:
	buffer_load_dword v78, v77, s[0:3], 0 offen
	ds_read_b32 v79, v76
	s_waitcnt vmcnt(0) lgkmcnt(0)
	v_mul_f32_e32 v78, v78, v79
	s_cbranch_execz .LBB100_424
	s_branch .LBB100_425
.LBB100_423:
                                        ; implicit-def: $vgpr78
.LBB100_424:
	ds_read_b32 v78, v76
.LBB100_425:
	v_cmp_ne_u32_e32 vcc, 7, v0
	s_and_saveexec_b64 s[8:9], vcc
	s_cbranch_execz .LBB100_429
; %bb.426:
	v_mov_b32_e32 v80, 0
	v_add_u32_e32 v79, 0xa4, v1
	v_add3_u32 v80, v1, v80, 4
	s_mov_b64 s[10:11], 0
	v_mov_b32_e32 v81, v0
.LBB100_427:                            ; =>This Inner Loop Header: Depth=1
	buffer_load_dword v82, v80, s[0:3], 0 offen
	ds_read_b32 v83, v79
	v_add_u32_e32 v81, 1, v81
	v_cmp_lt_u32_e32 vcc, 6, v81
	v_add_u32_e32 v79, 4, v79
	v_add_u32_e32 v80, 4, v80
	s_or_b64 s[10:11], vcc, s[10:11]
	s_waitcnt vmcnt(0) lgkmcnt(0)
	v_fmac_f32_e32 v78, v82, v83
	s_andn2_b64 exec, exec, s[10:11]
	s_cbranch_execnz .LBB100_427
; %bb.428:
	s_or_b64 exec, exec, s[10:11]
.LBB100_429:
	s_or_b64 exec, exec, s[8:9]
	v_mov_b32_e32 v79, 0
	ds_read_b32 v79, v79 offset:32
	s_waitcnt lgkmcnt(0)
	v_mul_f32_e32 v78, v78, v79
	buffer_store_dword v78, off, s[0:3], 0 offset:32
.LBB100_430:
	s_or_b64 exec, exec, s[6:7]
	buffer_load_dword v78, off, s[0:3], 0 offset:36
	v_cmp_gt_u32_e32 vcc, 9, v0
	s_waitcnt vmcnt(0)
	ds_write_b32 v76, v78
	s_waitcnt lgkmcnt(0)
	; wave barrier
	s_waitcnt lgkmcnt(0)
	s_and_saveexec_b64 s[6:7], vcc
	s_cbranch_execz .LBB100_440
; %bb.431:
	s_and_b64 vcc, exec, s[4:5]
	s_cbranch_vccnz .LBB100_433
; %bb.432:
	buffer_load_dword v78, v77, s[0:3], 0 offen
	ds_read_b32 v79, v76
	s_waitcnt vmcnt(0) lgkmcnt(0)
	v_mul_f32_e32 v78, v78, v79
	s_cbranch_execz .LBB100_434
	s_branch .LBB100_435
.LBB100_433:
                                        ; implicit-def: $vgpr78
.LBB100_434:
	ds_read_b32 v78, v76
.LBB100_435:
	v_cmp_ne_u32_e32 vcc, 8, v0
	s_and_saveexec_b64 s[8:9], vcc
	s_cbranch_execz .LBB100_439
; %bb.436:
	v_mov_b32_e32 v80, 0
	v_add_u32_e32 v79, 0xa4, v1
	v_add3_u32 v80, v1, v80, 4
	s_mov_b64 s[10:11], 0
	v_mov_b32_e32 v81, v0
.LBB100_437:                            ; =>This Inner Loop Header: Depth=1
	buffer_load_dword v82, v80, s[0:3], 0 offen
	ds_read_b32 v83, v79
	v_add_u32_e32 v81, 1, v81
	v_cmp_lt_u32_e32 vcc, 7, v81
	v_add_u32_e32 v79, 4, v79
	v_add_u32_e32 v80, 4, v80
	s_or_b64 s[10:11], vcc, s[10:11]
	s_waitcnt vmcnt(0) lgkmcnt(0)
	v_fmac_f32_e32 v78, v82, v83
	s_andn2_b64 exec, exec, s[10:11]
	s_cbranch_execnz .LBB100_437
; %bb.438:
	s_or_b64 exec, exec, s[10:11]
.LBB100_439:
	s_or_b64 exec, exec, s[8:9]
	v_mov_b32_e32 v79, 0
	ds_read_b32 v79, v79 offset:36
	s_waitcnt lgkmcnt(0)
	v_mul_f32_e32 v78, v78, v79
	buffer_store_dword v78, off, s[0:3], 0 offset:36
.LBB100_440:
	s_or_b64 exec, exec, s[6:7]
	buffer_load_dword v78, off, s[0:3], 0 offset:40
	v_cmp_gt_u32_e32 vcc, 10, v0
	s_waitcnt vmcnt(0)
	ds_write_b32 v76, v78
	s_waitcnt lgkmcnt(0)
	; wave barrier
	s_waitcnt lgkmcnt(0)
	s_and_saveexec_b64 s[6:7], vcc
	s_cbranch_execz .LBB100_450
; %bb.441:
	s_and_b64 vcc, exec, s[4:5]
	s_cbranch_vccnz .LBB100_443
; %bb.442:
	buffer_load_dword v78, v77, s[0:3], 0 offen
	ds_read_b32 v79, v76
	s_waitcnt vmcnt(0) lgkmcnt(0)
	v_mul_f32_e32 v78, v78, v79
	s_cbranch_execz .LBB100_444
	s_branch .LBB100_445
.LBB100_443:
                                        ; implicit-def: $vgpr78
.LBB100_444:
	ds_read_b32 v78, v76
.LBB100_445:
	v_cmp_ne_u32_e32 vcc, 9, v0
	s_and_saveexec_b64 s[8:9], vcc
	s_cbranch_execz .LBB100_449
; %bb.446:
	v_mov_b32_e32 v80, 0
	v_add_u32_e32 v79, 0xa4, v1
	v_add3_u32 v80, v1, v80, 4
	s_mov_b64 s[10:11], 0
	v_mov_b32_e32 v81, v0
.LBB100_447:                            ; =>This Inner Loop Header: Depth=1
	buffer_load_dword v82, v80, s[0:3], 0 offen
	ds_read_b32 v83, v79
	v_add_u32_e32 v81, 1, v81
	v_cmp_lt_u32_e32 vcc, 8, v81
	v_add_u32_e32 v79, 4, v79
	v_add_u32_e32 v80, 4, v80
	s_or_b64 s[10:11], vcc, s[10:11]
	s_waitcnt vmcnt(0) lgkmcnt(0)
	v_fmac_f32_e32 v78, v82, v83
	s_andn2_b64 exec, exec, s[10:11]
	s_cbranch_execnz .LBB100_447
; %bb.448:
	s_or_b64 exec, exec, s[10:11]
.LBB100_449:
	s_or_b64 exec, exec, s[8:9]
	v_mov_b32_e32 v79, 0
	ds_read_b32 v79, v79 offset:40
	s_waitcnt lgkmcnt(0)
	v_mul_f32_e32 v78, v78, v79
	buffer_store_dword v78, off, s[0:3], 0 offset:40
.LBB100_450:
	s_or_b64 exec, exec, s[6:7]
	buffer_load_dword v78, off, s[0:3], 0 offset:44
	v_cmp_gt_u32_e32 vcc, 11, v0
	s_waitcnt vmcnt(0)
	ds_write_b32 v76, v78
	s_waitcnt lgkmcnt(0)
	; wave barrier
	s_waitcnt lgkmcnt(0)
	s_and_saveexec_b64 s[6:7], vcc
	s_cbranch_execz .LBB100_460
; %bb.451:
	s_and_b64 vcc, exec, s[4:5]
	s_cbranch_vccnz .LBB100_453
; %bb.452:
	buffer_load_dword v78, v77, s[0:3], 0 offen
	ds_read_b32 v79, v76
	s_waitcnt vmcnt(0) lgkmcnt(0)
	v_mul_f32_e32 v78, v78, v79
	s_cbranch_execz .LBB100_454
	s_branch .LBB100_455
.LBB100_453:
                                        ; implicit-def: $vgpr78
.LBB100_454:
	ds_read_b32 v78, v76
.LBB100_455:
	v_cmp_ne_u32_e32 vcc, 10, v0
	s_and_saveexec_b64 s[8:9], vcc
	s_cbranch_execz .LBB100_459
; %bb.456:
	v_mov_b32_e32 v80, 0
	v_add_u32_e32 v79, 0xa4, v1
	v_add3_u32 v80, v1, v80, 4
	s_mov_b64 s[10:11], 0
	v_mov_b32_e32 v81, v0
.LBB100_457:                            ; =>This Inner Loop Header: Depth=1
	buffer_load_dword v82, v80, s[0:3], 0 offen
	ds_read_b32 v83, v79
	v_add_u32_e32 v81, 1, v81
	v_cmp_lt_u32_e32 vcc, 9, v81
	v_add_u32_e32 v79, 4, v79
	v_add_u32_e32 v80, 4, v80
	s_or_b64 s[10:11], vcc, s[10:11]
	s_waitcnt vmcnt(0) lgkmcnt(0)
	v_fmac_f32_e32 v78, v82, v83
	s_andn2_b64 exec, exec, s[10:11]
	s_cbranch_execnz .LBB100_457
; %bb.458:
	s_or_b64 exec, exec, s[10:11]
.LBB100_459:
	s_or_b64 exec, exec, s[8:9]
	v_mov_b32_e32 v79, 0
	ds_read_b32 v79, v79 offset:44
	s_waitcnt lgkmcnt(0)
	v_mul_f32_e32 v78, v78, v79
	buffer_store_dword v78, off, s[0:3], 0 offset:44
.LBB100_460:
	s_or_b64 exec, exec, s[6:7]
	buffer_load_dword v78, off, s[0:3], 0 offset:48
	v_cmp_gt_u32_e32 vcc, 12, v0
	s_waitcnt vmcnt(0)
	ds_write_b32 v76, v78
	s_waitcnt lgkmcnt(0)
	; wave barrier
	s_waitcnt lgkmcnt(0)
	s_and_saveexec_b64 s[6:7], vcc
	s_cbranch_execz .LBB100_470
; %bb.461:
	s_and_b64 vcc, exec, s[4:5]
	s_cbranch_vccnz .LBB100_463
; %bb.462:
	buffer_load_dword v78, v77, s[0:3], 0 offen
	ds_read_b32 v79, v76
	s_waitcnt vmcnt(0) lgkmcnt(0)
	v_mul_f32_e32 v78, v78, v79
	s_cbranch_execz .LBB100_464
	s_branch .LBB100_465
.LBB100_463:
                                        ; implicit-def: $vgpr78
.LBB100_464:
	ds_read_b32 v78, v76
.LBB100_465:
	v_cmp_ne_u32_e32 vcc, 11, v0
	s_and_saveexec_b64 s[8:9], vcc
	s_cbranch_execz .LBB100_469
; %bb.466:
	v_mov_b32_e32 v80, 0
	v_add_u32_e32 v79, 0xa4, v1
	v_add3_u32 v80, v1, v80, 4
	s_mov_b64 s[10:11], 0
	v_mov_b32_e32 v81, v0
.LBB100_467:                            ; =>This Inner Loop Header: Depth=1
	buffer_load_dword v82, v80, s[0:3], 0 offen
	ds_read_b32 v83, v79
	v_add_u32_e32 v81, 1, v81
	v_cmp_lt_u32_e32 vcc, 10, v81
	v_add_u32_e32 v79, 4, v79
	v_add_u32_e32 v80, 4, v80
	s_or_b64 s[10:11], vcc, s[10:11]
	s_waitcnt vmcnt(0) lgkmcnt(0)
	v_fmac_f32_e32 v78, v82, v83
	s_andn2_b64 exec, exec, s[10:11]
	s_cbranch_execnz .LBB100_467
; %bb.468:
	s_or_b64 exec, exec, s[10:11]
.LBB100_469:
	s_or_b64 exec, exec, s[8:9]
	v_mov_b32_e32 v79, 0
	ds_read_b32 v79, v79 offset:48
	s_waitcnt lgkmcnt(0)
	v_mul_f32_e32 v78, v78, v79
	buffer_store_dword v78, off, s[0:3], 0 offset:48
.LBB100_470:
	s_or_b64 exec, exec, s[6:7]
	buffer_load_dword v78, off, s[0:3], 0 offset:52
	v_cmp_gt_u32_e32 vcc, 13, v0
	s_waitcnt vmcnt(0)
	ds_write_b32 v76, v78
	s_waitcnt lgkmcnt(0)
	; wave barrier
	s_waitcnt lgkmcnt(0)
	s_and_saveexec_b64 s[6:7], vcc
	s_cbranch_execz .LBB100_480
; %bb.471:
	s_and_b64 vcc, exec, s[4:5]
	s_cbranch_vccnz .LBB100_473
; %bb.472:
	buffer_load_dword v78, v77, s[0:3], 0 offen
	ds_read_b32 v79, v76
	s_waitcnt vmcnt(0) lgkmcnt(0)
	v_mul_f32_e32 v78, v78, v79
	s_cbranch_execz .LBB100_474
	s_branch .LBB100_475
.LBB100_473:
                                        ; implicit-def: $vgpr78
.LBB100_474:
	ds_read_b32 v78, v76
.LBB100_475:
	v_cmp_ne_u32_e32 vcc, 12, v0
	s_and_saveexec_b64 s[8:9], vcc
	s_cbranch_execz .LBB100_479
; %bb.476:
	v_mov_b32_e32 v80, 0
	v_add_u32_e32 v79, 0xa4, v1
	v_add3_u32 v80, v1, v80, 4
	s_mov_b64 s[10:11], 0
	v_mov_b32_e32 v81, v0
.LBB100_477:                            ; =>This Inner Loop Header: Depth=1
	buffer_load_dword v82, v80, s[0:3], 0 offen
	ds_read_b32 v83, v79
	v_add_u32_e32 v81, 1, v81
	v_cmp_lt_u32_e32 vcc, 11, v81
	v_add_u32_e32 v79, 4, v79
	v_add_u32_e32 v80, 4, v80
	s_or_b64 s[10:11], vcc, s[10:11]
	s_waitcnt vmcnt(0) lgkmcnt(0)
	v_fmac_f32_e32 v78, v82, v83
	s_andn2_b64 exec, exec, s[10:11]
	s_cbranch_execnz .LBB100_477
; %bb.478:
	s_or_b64 exec, exec, s[10:11]
.LBB100_479:
	s_or_b64 exec, exec, s[8:9]
	v_mov_b32_e32 v79, 0
	ds_read_b32 v79, v79 offset:52
	s_waitcnt lgkmcnt(0)
	v_mul_f32_e32 v78, v78, v79
	buffer_store_dword v78, off, s[0:3], 0 offset:52
.LBB100_480:
	s_or_b64 exec, exec, s[6:7]
	buffer_load_dword v78, off, s[0:3], 0 offset:56
	v_cmp_gt_u32_e32 vcc, 14, v0
	s_waitcnt vmcnt(0)
	ds_write_b32 v76, v78
	s_waitcnt lgkmcnt(0)
	; wave barrier
	s_waitcnt lgkmcnt(0)
	s_and_saveexec_b64 s[6:7], vcc
	s_cbranch_execz .LBB100_490
; %bb.481:
	s_and_b64 vcc, exec, s[4:5]
	s_cbranch_vccnz .LBB100_483
; %bb.482:
	buffer_load_dword v78, v77, s[0:3], 0 offen
	ds_read_b32 v79, v76
	s_waitcnt vmcnt(0) lgkmcnt(0)
	v_mul_f32_e32 v78, v78, v79
	s_cbranch_execz .LBB100_484
	s_branch .LBB100_485
.LBB100_483:
                                        ; implicit-def: $vgpr78
.LBB100_484:
	ds_read_b32 v78, v76
.LBB100_485:
	v_cmp_ne_u32_e32 vcc, 13, v0
	s_and_saveexec_b64 s[8:9], vcc
	s_cbranch_execz .LBB100_489
; %bb.486:
	v_mov_b32_e32 v80, 0
	v_add_u32_e32 v79, 0xa4, v1
	v_add3_u32 v80, v1, v80, 4
	s_mov_b64 s[10:11], 0
	v_mov_b32_e32 v81, v0
.LBB100_487:                            ; =>This Inner Loop Header: Depth=1
	buffer_load_dword v82, v80, s[0:3], 0 offen
	ds_read_b32 v83, v79
	v_add_u32_e32 v81, 1, v81
	v_cmp_lt_u32_e32 vcc, 12, v81
	v_add_u32_e32 v79, 4, v79
	v_add_u32_e32 v80, 4, v80
	s_or_b64 s[10:11], vcc, s[10:11]
	s_waitcnt vmcnt(0) lgkmcnt(0)
	v_fmac_f32_e32 v78, v82, v83
	s_andn2_b64 exec, exec, s[10:11]
	s_cbranch_execnz .LBB100_487
; %bb.488:
	s_or_b64 exec, exec, s[10:11]
.LBB100_489:
	s_or_b64 exec, exec, s[8:9]
	v_mov_b32_e32 v79, 0
	ds_read_b32 v79, v79 offset:56
	s_waitcnt lgkmcnt(0)
	v_mul_f32_e32 v78, v78, v79
	buffer_store_dword v78, off, s[0:3], 0 offset:56
.LBB100_490:
	s_or_b64 exec, exec, s[6:7]
	buffer_load_dword v78, off, s[0:3], 0 offset:60
	v_cmp_gt_u32_e32 vcc, 15, v0
	s_waitcnt vmcnt(0)
	ds_write_b32 v76, v78
	s_waitcnt lgkmcnt(0)
	; wave barrier
	s_waitcnt lgkmcnt(0)
	s_and_saveexec_b64 s[6:7], vcc
	s_cbranch_execz .LBB100_500
; %bb.491:
	s_and_b64 vcc, exec, s[4:5]
	s_cbranch_vccnz .LBB100_493
; %bb.492:
	buffer_load_dword v78, v77, s[0:3], 0 offen
	ds_read_b32 v79, v76
	s_waitcnt vmcnt(0) lgkmcnt(0)
	v_mul_f32_e32 v78, v78, v79
	s_cbranch_execz .LBB100_494
	s_branch .LBB100_495
.LBB100_493:
                                        ; implicit-def: $vgpr78
.LBB100_494:
	ds_read_b32 v78, v76
.LBB100_495:
	v_cmp_ne_u32_e32 vcc, 14, v0
	s_and_saveexec_b64 s[8:9], vcc
	s_cbranch_execz .LBB100_499
; %bb.496:
	v_mov_b32_e32 v80, 0
	v_add_u32_e32 v79, 0xa4, v1
	v_add3_u32 v80, v1, v80, 4
	s_mov_b64 s[10:11], 0
	v_mov_b32_e32 v81, v0
.LBB100_497:                            ; =>This Inner Loop Header: Depth=1
	buffer_load_dword v82, v80, s[0:3], 0 offen
	ds_read_b32 v83, v79
	v_add_u32_e32 v81, 1, v81
	v_cmp_lt_u32_e32 vcc, 13, v81
	v_add_u32_e32 v79, 4, v79
	v_add_u32_e32 v80, 4, v80
	s_or_b64 s[10:11], vcc, s[10:11]
	s_waitcnt vmcnt(0) lgkmcnt(0)
	v_fmac_f32_e32 v78, v82, v83
	s_andn2_b64 exec, exec, s[10:11]
	s_cbranch_execnz .LBB100_497
; %bb.498:
	s_or_b64 exec, exec, s[10:11]
.LBB100_499:
	s_or_b64 exec, exec, s[8:9]
	v_mov_b32_e32 v79, 0
	ds_read_b32 v79, v79 offset:60
	s_waitcnt lgkmcnt(0)
	v_mul_f32_e32 v78, v78, v79
	buffer_store_dword v78, off, s[0:3], 0 offset:60
.LBB100_500:
	s_or_b64 exec, exec, s[6:7]
	buffer_load_dword v78, off, s[0:3], 0 offset:64
	v_cmp_gt_u32_e32 vcc, 16, v0
	s_waitcnt vmcnt(0)
	ds_write_b32 v76, v78
	s_waitcnt lgkmcnt(0)
	; wave barrier
	s_waitcnt lgkmcnt(0)
	s_and_saveexec_b64 s[6:7], vcc
	s_cbranch_execz .LBB100_510
; %bb.501:
	s_and_b64 vcc, exec, s[4:5]
	s_cbranch_vccnz .LBB100_503
; %bb.502:
	buffer_load_dword v78, v77, s[0:3], 0 offen
	ds_read_b32 v79, v76
	s_waitcnt vmcnt(0) lgkmcnt(0)
	v_mul_f32_e32 v78, v78, v79
	s_cbranch_execz .LBB100_504
	s_branch .LBB100_505
.LBB100_503:
                                        ; implicit-def: $vgpr78
.LBB100_504:
	ds_read_b32 v78, v76
.LBB100_505:
	v_cmp_ne_u32_e32 vcc, 15, v0
	s_and_saveexec_b64 s[8:9], vcc
	s_cbranch_execz .LBB100_509
; %bb.506:
	v_mov_b32_e32 v80, 0
	v_add_u32_e32 v79, 0xa4, v1
	v_add3_u32 v80, v1, v80, 4
	s_mov_b64 s[10:11], 0
	v_mov_b32_e32 v81, v0
.LBB100_507:                            ; =>This Inner Loop Header: Depth=1
	buffer_load_dword v82, v80, s[0:3], 0 offen
	ds_read_b32 v83, v79
	v_add_u32_e32 v81, 1, v81
	v_cmp_lt_u32_e32 vcc, 14, v81
	v_add_u32_e32 v79, 4, v79
	v_add_u32_e32 v80, 4, v80
	s_or_b64 s[10:11], vcc, s[10:11]
	s_waitcnt vmcnt(0) lgkmcnt(0)
	v_fmac_f32_e32 v78, v82, v83
	s_andn2_b64 exec, exec, s[10:11]
	s_cbranch_execnz .LBB100_507
; %bb.508:
	s_or_b64 exec, exec, s[10:11]
.LBB100_509:
	s_or_b64 exec, exec, s[8:9]
	v_mov_b32_e32 v79, 0
	ds_read_b32 v79, v79 offset:64
	s_waitcnt lgkmcnt(0)
	v_mul_f32_e32 v78, v78, v79
	buffer_store_dword v78, off, s[0:3], 0 offset:64
.LBB100_510:
	s_or_b64 exec, exec, s[6:7]
	buffer_load_dword v78, off, s[0:3], 0 offset:68
	v_cmp_gt_u32_e32 vcc, 17, v0
	s_waitcnt vmcnt(0)
	ds_write_b32 v76, v78
	s_waitcnt lgkmcnt(0)
	; wave barrier
	s_waitcnt lgkmcnt(0)
	s_and_saveexec_b64 s[6:7], vcc
	s_cbranch_execz .LBB100_520
; %bb.511:
	s_and_b64 vcc, exec, s[4:5]
	s_cbranch_vccnz .LBB100_513
; %bb.512:
	buffer_load_dword v78, v77, s[0:3], 0 offen
	ds_read_b32 v79, v76
	s_waitcnt vmcnt(0) lgkmcnt(0)
	v_mul_f32_e32 v78, v78, v79
	s_cbranch_execz .LBB100_514
	s_branch .LBB100_515
.LBB100_513:
                                        ; implicit-def: $vgpr78
.LBB100_514:
	ds_read_b32 v78, v76
.LBB100_515:
	v_cmp_ne_u32_e32 vcc, 16, v0
	s_and_saveexec_b64 s[8:9], vcc
	s_cbranch_execz .LBB100_519
; %bb.516:
	v_mov_b32_e32 v80, 0
	v_add_u32_e32 v79, 0xa4, v1
	v_add3_u32 v80, v1, v80, 4
	s_mov_b64 s[10:11], 0
	v_mov_b32_e32 v81, v0
.LBB100_517:                            ; =>This Inner Loop Header: Depth=1
	buffer_load_dword v82, v80, s[0:3], 0 offen
	ds_read_b32 v83, v79
	v_add_u32_e32 v81, 1, v81
	v_cmp_lt_u32_e32 vcc, 15, v81
	v_add_u32_e32 v79, 4, v79
	v_add_u32_e32 v80, 4, v80
	s_or_b64 s[10:11], vcc, s[10:11]
	s_waitcnt vmcnt(0) lgkmcnt(0)
	v_fmac_f32_e32 v78, v82, v83
	s_andn2_b64 exec, exec, s[10:11]
	s_cbranch_execnz .LBB100_517
; %bb.518:
	s_or_b64 exec, exec, s[10:11]
.LBB100_519:
	s_or_b64 exec, exec, s[8:9]
	v_mov_b32_e32 v79, 0
	ds_read_b32 v79, v79 offset:68
	s_waitcnt lgkmcnt(0)
	v_mul_f32_e32 v78, v78, v79
	buffer_store_dword v78, off, s[0:3], 0 offset:68
.LBB100_520:
	s_or_b64 exec, exec, s[6:7]
	buffer_load_dword v78, off, s[0:3], 0 offset:72
	v_cmp_gt_u32_e32 vcc, 18, v0
	s_waitcnt vmcnt(0)
	ds_write_b32 v76, v78
	s_waitcnt lgkmcnt(0)
	; wave barrier
	s_waitcnt lgkmcnt(0)
	s_and_saveexec_b64 s[6:7], vcc
	s_cbranch_execz .LBB100_530
; %bb.521:
	s_and_b64 vcc, exec, s[4:5]
	s_cbranch_vccnz .LBB100_523
; %bb.522:
	buffer_load_dword v78, v77, s[0:3], 0 offen
	ds_read_b32 v79, v76
	s_waitcnt vmcnt(0) lgkmcnt(0)
	v_mul_f32_e32 v78, v78, v79
	s_cbranch_execz .LBB100_524
	s_branch .LBB100_525
.LBB100_523:
                                        ; implicit-def: $vgpr78
.LBB100_524:
	ds_read_b32 v78, v76
.LBB100_525:
	v_cmp_ne_u32_e32 vcc, 17, v0
	s_and_saveexec_b64 s[8:9], vcc
	s_cbranch_execz .LBB100_529
; %bb.526:
	v_mov_b32_e32 v80, 0
	v_add_u32_e32 v79, 0xa4, v1
	v_add3_u32 v80, v1, v80, 4
	s_mov_b64 s[10:11], 0
	v_mov_b32_e32 v81, v0
.LBB100_527:                            ; =>This Inner Loop Header: Depth=1
	buffer_load_dword v82, v80, s[0:3], 0 offen
	ds_read_b32 v83, v79
	v_add_u32_e32 v81, 1, v81
	v_cmp_lt_u32_e32 vcc, 16, v81
	v_add_u32_e32 v79, 4, v79
	v_add_u32_e32 v80, 4, v80
	s_or_b64 s[10:11], vcc, s[10:11]
	s_waitcnt vmcnt(0) lgkmcnt(0)
	v_fmac_f32_e32 v78, v82, v83
	s_andn2_b64 exec, exec, s[10:11]
	s_cbranch_execnz .LBB100_527
; %bb.528:
	s_or_b64 exec, exec, s[10:11]
.LBB100_529:
	s_or_b64 exec, exec, s[8:9]
	v_mov_b32_e32 v79, 0
	ds_read_b32 v79, v79 offset:72
	s_waitcnt lgkmcnt(0)
	v_mul_f32_e32 v78, v78, v79
	buffer_store_dword v78, off, s[0:3], 0 offset:72
.LBB100_530:
	s_or_b64 exec, exec, s[6:7]
	buffer_load_dword v78, off, s[0:3], 0 offset:76
	v_cmp_gt_u32_e32 vcc, 19, v0
	s_waitcnt vmcnt(0)
	ds_write_b32 v76, v78
	s_waitcnt lgkmcnt(0)
	; wave barrier
	s_waitcnt lgkmcnt(0)
	s_and_saveexec_b64 s[6:7], vcc
	s_cbranch_execz .LBB100_540
; %bb.531:
	s_and_b64 vcc, exec, s[4:5]
	s_cbranch_vccnz .LBB100_533
; %bb.532:
	buffer_load_dword v78, v77, s[0:3], 0 offen
	ds_read_b32 v79, v76
	s_waitcnt vmcnt(0) lgkmcnt(0)
	v_mul_f32_e32 v78, v78, v79
	s_cbranch_execz .LBB100_534
	s_branch .LBB100_535
.LBB100_533:
                                        ; implicit-def: $vgpr78
.LBB100_534:
	ds_read_b32 v78, v76
.LBB100_535:
	v_cmp_ne_u32_e32 vcc, 18, v0
	s_and_saveexec_b64 s[8:9], vcc
	s_cbranch_execz .LBB100_539
; %bb.536:
	v_mov_b32_e32 v80, 0
	v_add_u32_e32 v79, 0xa4, v1
	v_add3_u32 v80, v1, v80, 4
	s_mov_b64 s[10:11], 0
	v_mov_b32_e32 v81, v0
.LBB100_537:                            ; =>This Inner Loop Header: Depth=1
	buffer_load_dword v82, v80, s[0:3], 0 offen
	ds_read_b32 v83, v79
	v_add_u32_e32 v81, 1, v81
	v_cmp_lt_u32_e32 vcc, 17, v81
	v_add_u32_e32 v79, 4, v79
	v_add_u32_e32 v80, 4, v80
	s_or_b64 s[10:11], vcc, s[10:11]
	s_waitcnt vmcnt(0) lgkmcnt(0)
	v_fmac_f32_e32 v78, v82, v83
	s_andn2_b64 exec, exec, s[10:11]
	s_cbranch_execnz .LBB100_537
; %bb.538:
	s_or_b64 exec, exec, s[10:11]
.LBB100_539:
	s_or_b64 exec, exec, s[8:9]
	v_mov_b32_e32 v79, 0
	ds_read_b32 v79, v79 offset:76
	s_waitcnt lgkmcnt(0)
	v_mul_f32_e32 v78, v78, v79
	buffer_store_dword v78, off, s[0:3], 0 offset:76
.LBB100_540:
	s_or_b64 exec, exec, s[6:7]
	buffer_load_dword v78, off, s[0:3], 0 offset:80
	v_cmp_gt_u32_e32 vcc, 20, v0
	s_waitcnt vmcnt(0)
	ds_write_b32 v76, v78
	s_waitcnt lgkmcnt(0)
	; wave barrier
	s_waitcnt lgkmcnt(0)
	s_and_saveexec_b64 s[6:7], vcc
	s_cbranch_execz .LBB100_550
; %bb.541:
	s_and_b64 vcc, exec, s[4:5]
	s_cbranch_vccnz .LBB100_543
; %bb.542:
	buffer_load_dword v78, v77, s[0:3], 0 offen
	ds_read_b32 v79, v76
	s_waitcnt vmcnt(0) lgkmcnt(0)
	v_mul_f32_e32 v78, v78, v79
	s_cbranch_execz .LBB100_544
	s_branch .LBB100_545
.LBB100_543:
                                        ; implicit-def: $vgpr78
.LBB100_544:
	ds_read_b32 v78, v76
.LBB100_545:
	v_cmp_ne_u32_e32 vcc, 19, v0
	s_and_saveexec_b64 s[8:9], vcc
	s_cbranch_execz .LBB100_549
; %bb.546:
	v_mov_b32_e32 v80, 0
	v_add_u32_e32 v79, 0xa4, v1
	v_add3_u32 v80, v1, v80, 4
	s_mov_b64 s[10:11], 0
	v_mov_b32_e32 v81, v0
.LBB100_547:                            ; =>This Inner Loop Header: Depth=1
	buffer_load_dword v82, v80, s[0:3], 0 offen
	ds_read_b32 v83, v79
	v_add_u32_e32 v81, 1, v81
	v_cmp_lt_u32_e32 vcc, 18, v81
	v_add_u32_e32 v79, 4, v79
	v_add_u32_e32 v80, 4, v80
	s_or_b64 s[10:11], vcc, s[10:11]
	s_waitcnt vmcnt(0) lgkmcnt(0)
	v_fmac_f32_e32 v78, v82, v83
	s_andn2_b64 exec, exec, s[10:11]
	s_cbranch_execnz .LBB100_547
; %bb.548:
	s_or_b64 exec, exec, s[10:11]
.LBB100_549:
	s_or_b64 exec, exec, s[8:9]
	v_mov_b32_e32 v79, 0
	ds_read_b32 v79, v79 offset:80
	s_waitcnt lgkmcnt(0)
	v_mul_f32_e32 v78, v78, v79
	buffer_store_dword v78, off, s[0:3], 0 offset:80
.LBB100_550:
	s_or_b64 exec, exec, s[6:7]
	buffer_load_dword v78, off, s[0:3], 0 offset:84
	v_cmp_gt_u32_e32 vcc, 21, v0
	s_waitcnt vmcnt(0)
	ds_write_b32 v76, v78
	s_waitcnt lgkmcnt(0)
	; wave barrier
	s_waitcnt lgkmcnt(0)
	s_and_saveexec_b64 s[6:7], vcc
	s_cbranch_execz .LBB100_560
; %bb.551:
	s_and_b64 vcc, exec, s[4:5]
	s_cbranch_vccnz .LBB100_553
; %bb.552:
	buffer_load_dword v78, v77, s[0:3], 0 offen
	ds_read_b32 v79, v76
	s_waitcnt vmcnt(0) lgkmcnt(0)
	v_mul_f32_e32 v78, v78, v79
	s_cbranch_execz .LBB100_554
	s_branch .LBB100_555
.LBB100_553:
                                        ; implicit-def: $vgpr78
.LBB100_554:
	ds_read_b32 v78, v76
.LBB100_555:
	v_cmp_ne_u32_e32 vcc, 20, v0
	s_and_saveexec_b64 s[8:9], vcc
	s_cbranch_execz .LBB100_559
; %bb.556:
	v_mov_b32_e32 v80, 0
	v_add_u32_e32 v79, 0xa4, v1
	v_add3_u32 v80, v1, v80, 4
	s_mov_b64 s[10:11], 0
	v_mov_b32_e32 v81, v0
.LBB100_557:                            ; =>This Inner Loop Header: Depth=1
	buffer_load_dword v82, v80, s[0:3], 0 offen
	ds_read_b32 v83, v79
	v_add_u32_e32 v81, 1, v81
	v_cmp_lt_u32_e32 vcc, 19, v81
	v_add_u32_e32 v79, 4, v79
	v_add_u32_e32 v80, 4, v80
	s_or_b64 s[10:11], vcc, s[10:11]
	s_waitcnt vmcnt(0) lgkmcnt(0)
	v_fmac_f32_e32 v78, v82, v83
	s_andn2_b64 exec, exec, s[10:11]
	s_cbranch_execnz .LBB100_557
; %bb.558:
	s_or_b64 exec, exec, s[10:11]
.LBB100_559:
	s_or_b64 exec, exec, s[8:9]
	v_mov_b32_e32 v79, 0
	ds_read_b32 v79, v79 offset:84
	s_waitcnt lgkmcnt(0)
	v_mul_f32_e32 v78, v78, v79
	buffer_store_dword v78, off, s[0:3], 0 offset:84
.LBB100_560:
	s_or_b64 exec, exec, s[6:7]
	buffer_load_dword v78, off, s[0:3], 0 offset:88
	v_cmp_gt_u32_e32 vcc, 22, v0
	s_waitcnt vmcnt(0)
	ds_write_b32 v76, v78
	s_waitcnt lgkmcnt(0)
	; wave barrier
	s_waitcnt lgkmcnt(0)
	s_and_saveexec_b64 s[6:7], vcc
	s_cbranch_execz .LBB100_570
; %bb.561:
	s_and_b64 vcc, exec, s[4:5]
	s_cbranch_vccnz .LBB100_563
; %bb.562:
	buffer_load_dword v78, v77, s[0:3], 0 offen
	ds_read_b32 v79, v76
	s_waitcnt vmcnt(0) lgkmcnt(0)
	v_mul_f32_e32 v78, v78, v79
	s_cbranch_execz .LBB100_564
	s_branch .LBB100_565
.LBB100_563:
                                        ; implicit-def: $vgpr78
.LBB100_564:
	ds_read_b32 v78, v76
.LBB100_565:
	v_cmp_ne_u32_e32 vcc, 21, v0
	s_and_saveexec_b64 s[8:9], vcc
	s_cbranch_execz .LBB100_569
; %bb.566:
	v_mov_b32_e32 v80, 0
	v_add_u32_e32 v79, 0xa4, v1
	v_add3_u32 v80, v1, v80, 4
	s_mov_b64 s[10:11], 0
	v_mov_b32_e32 v81, v0
.LBB100_567:                            ; =>This Inner Loop Header: Depth=1
	buffer_load_dword v82, v80, s[0:3], 0 offen
	ds_read_b32 v83, v79
	v_add_u32_e32 v81, 1, v81
	v_cmp_lt_u32_e32 vcc, 20, v81
	v_add_u32_e32 v79, 4, v79
	v_add_u32_e32 v80, 4, v80
	s_or_b64 s[10:11], vcc, s[10:11]
	s_waitcnt vmcnt(0) lgkmcnt(0)
	v_fmac_f32_e32 v78, v82, v83
	s_andn2_b64 exec, exec, s[10:11]
	s_cbranch_execnz .LBB100_567
; %bb.568:
	s_or_b64 exec, exec, s[10:11]
.LBB100_569:
	s_or_b64 exec, exec, s[8:9]
	v_mov_b32_e32 v79, 0
	ds_read_b32 v79, v79 offset:88
	s_waitcnt lgkmcnt(0)
	v_mul_f32_e32 v78, v78, v79
	buffer_store_dword v78, off, s[0:3], 0 offset:88
.LBB100_570:
	s_or_b64 exec, exec, s[6:7]
	buffer_load_dword v78, off, s[0:3], 0 offset:92
	v_cmp_gt_u32_e32 vcc, 23, v0
	s_waitcnt vmcnt(0)
	ds_write_b32 v76, v78
	s_waitcnt lgkmcnt(0)
	; wave barrier
	s_waitcnt lgkmcnt(0)
	s_and_saveexec_b64 s[6:7], vcc
	s_cbranch_execz .LBB100_580
; %bb.571:
	s_and_b64 vcc, exec, s[4:5]
	s_cbranch_vccnz .LBB100_573
; %bb.572:
	buffer_load_dword v78, v77, s[0:3], 0 offen
	ds_read_b32 v79, v76
	s_waitcnt vmcnt(0) lgkmcnt(0)
	v_mul_f32_e32 v78, v78, v79
	s_cbranch_execz .LBB100_574
	s_branch .LBB100_575
.LBB100_573:
                                        ; implicit-def: $vgpr78
.LBB100_574:
	ds_read_b32 v78, v76
.LBB100_575:
	v_cmp_ne_u32_e32 vcc, 22, v0
	s_and_saveexec_b64 s[8:9], vcc
	s_cbranch_execz .LBB100_579
; %bb.576:
	v_mov_b32_e32 v80, 0
	v_add_u32_e32 v79, 0xa4, v1
	v_add3_u32 v80, v1, v80, 4
	s_mov_b64 s[10:11], 0
	v_mov_b32_e32 v81, v0
.LBB100_577:                            ; =>This Inner Loop Header: Depth=1
	buffer_load_dword v82, v80, s[0:3], 0 offen
	ds_read_b32 v83, v79
	v_add_u32_e32 v81, 1, v81
	v_cmp_lt_u32_e32 vcc, 21, v81
	v_add_u32_e32 v79, 4, v79
	v_add_u32_e32 v80, 4, v80
	s_or_b64 s[10:11], vcc, s[10:11]
	s_waitcnt vmcnt(0) lgkmcnt(0)
	v_fmac_f32_e32 v78, v82, v83
	s_andn2_b64 exec, exec, s[10:11]
	s_cbranch_execnz .LBB100_577
; %bb.578:
	s_or_b64 exec, exec, s[10:11]
.LBB100_579:
	s_or_b64 exec, exec, s[8:9]
	v_mov_b32_e32 v79, 0
	ds_read_b32 v79, v79 offset:92
	s_waitcnt lgkmcnt(0)
	v_mul_f32_e32 v78, v78, v79
	buffer_store_dword v78, off, s[0:3], 0 offset:92
.LBB100_580:
	s_or_b64 exec, exec, s[6:7]
	buffer_load_dword v78, off, s[0:3], 0 offset:96
	v_cmp_gt_u32_e32 vcc, 24, v0
	s_waitcnt vmcnt(0)
	ds_write_b32 v76, v78
	s_waitcnt lgkmcnt(0)
	; wave barrier
	s_waitcnt lgkmcnt(0)
	s_and_saveexec_b64 s[6:7], vcc
	s_cbranch_execz .LBB100_590
; %bb.581:
	s_and_b64 vcc, exec, s[4:5]
	s_cbranch_vccnz .LBB100_583
; %bb.582:
	buffer_load_dword v78, v77, s[0:3], 0 offen
	ds_read_b32 v79, v76
	s_waitcnt vmcnt(0) lgkmcnt(0)
	v_mul_f32_e32 v78, v78, v79
	s_cbranch_execz .LBB100_584
	s_branch .LBB100_585
.LBB100_583:
                                        ; implicit-def: $vgpr78
.LBB100_584:
	ds_read_b32 v78, v76
.LBB100_585:
	v_cmp_ne_u32_e32 vcc, 23, v0
	s_and_saveexec_b64 s[8:9], vcc
	s_cbranch_execz .LBB100_589
; %bb.586:
	v_mov_b32_e32 v80, 0
	v_add_u32_e32 v79, 0xa4, v1
	v_add3_u32 v80, v1, v80, 4
	s_mov_b64 s[10:11], 0
	v_mov_b32_e32 v81, v0
.LBB100_587:                            ; =>This Inner Loop Header: Depth=1
	buffer_load_dword v82, v80, s[0:3], 0 offen
	ds_read_b32 v83, v79
	v_add_u32_e32 v81, 1, v81
	v_cmp_lt_u32_e32 vcc, 22, v81
	v_add_u32_e32 v79, 4, v79
	v_add_u32_e32 v80, 4, v80
	s_or_b64 s[10:11], vcc, s[10:11]
	s_waitcnt vmcnt(0) lgkmcnt(0)
	v_fmac_f32_e32 v78, v82, v83
	s_andn2_b64 exec, exec, s[10:11]
	s_cbranch_execnz .LBB100_587
; %bb.588:
	s_or_b64 exec, exec, s[10:11]
.LBB100_589:
	s_or_b64 exec, exec, s[8:9]
	v_mov_b32_e32 v79, 0
	ds_read_b32 v79, v79 offset:96
	s_waitcnt lgkmcnt(0)
	v_mul_f32_e32 v78, v78, v79
	buffer_store_dword v78, off, s[0:3], 0 offset:96
.LBB100_590:
	s_or_b64 exec, exec, s[6:7]
	buffer_load_dword v78, off, s[0:3], 0 offset:100
	v_cmp_gt_u32_e32 vcc, 25, v0
	s_waitcnt vmcnt(0)
	ds_write_b32 v76, v78
	s_waitcnt lgkmcnt(0)
	; wave barrier
	s_waitcnt lgkmcnt(0)
	s_and_saveexec_b64 s[6:7], vcc
	s_cbranch_execz .LBB100_600
; %bb.591:
	s_and_b64 vcc, exec, s[4:5]
	s_cbranch_vccnz .LBB100_593
; %bb.592:
	buffer_load_dword v78, v77, s[0:3], 0 offen
	ds_read_b32 v79, v76
	s_waitcnt vmcnt(0) lgkmcnt(0)
	v_mul_f32_e32 v78, v78, v79
	s_cbranch_execz .LBB100_594
	s_branch .LBB100_595
.LBB100_593:
                                        ; implicit-def: $vgpr78
.LBB100_594:
	ds_read_b32 v78, v76
.LBB100_595:
	v_cmp_ne_u32_e32 vcc, 24, v0
	s_and_saveexec_b64 s[8:9], vcc
	s_cbranch_execz .LBB100_599
; %bb.596:
	v_mov_b32_e32 v80, 0
	v_add_u32_e32 v79, 0xa4, v1
	v_add3_u32 v80, v1, v80, 4
	s_mov_b64 s[10:11], 0
	v_mov_b32_e32 v81, v0
.LBB100_597:                            ; =>This Inner Loop Header: Depth=1
	buffer_load_dword v82, v80, s[0:3], 0 offen
	ds_read_b32 v83, v79
	v_add_u32_e32 v81, 1, v81
	v_cmp_lt_u32_e32 vcc, 23, v81
	v_add_u32_e32 v79, 4, v79
	v_add_u32_e32 v80, 4, v80
	s_or_b64 s[10:11], vcc, s[10:11]
	s_waitcnt vmcnt(0) lgkmcnt(0)
	v_fmac_f32_e32 v78, v82, v83
	s_andn2_b64 exec, exec, s[10:11]
	s_cbranch_execnz .LBB100_597
; %bb.598:
	s_or_b64 exec, exec, s[10:11]
.LBB100_599:
	s_or_b64 exec, exec, s[8:9]
	v_mov_b32_e32 v79, 0
	ds_read_b32 v79, v79 offset:100
	s_waitcnt lgkmcnt(0)
	v_mul_f32_e32 v78, v78, v79
	buffer_store_dword v78, off, s[0:3], 0 offset:100
.LBB100_600:
	s_or_b64 exec, exec, s[6:7]
	buffer_load_dword v78, off, s[0:3], 0 offset:104
	v_cmp_gt_u32_e32 vcc, 26, v0
	s_waitcnt vmcnt(0)
	ds_write_b32 v76, v78
	s_waitcnt lgkmcnt(0)
	; wave barrier
	s_waitcnt lgkmcnt(0)
	s_and_saveexec_b64 s[6:7], vcc
	s_cbranch_execz .LBB100_610
; %bb.601:
	s_and_b64 vcc, exec, s[4:5]
	s_cbranch_vccnz .LBB100_603
; %bb.602:
	buffer_load_dword v78, v77, s[0:3], 0 offen
	ds_read_b32 v79, v76
	s_waitcnt vmcnt(0) lgkmcnt(0)
	v_mul_f32_e32 v78, v78, v79
	s_cbranch_execz .LBB100_604
	s_branch .LBB100_605
.LBB100_603:
                                        ; implicit-def: $vgpr78
.LBB100_604:
	ds_read_b32 v78, v76
.LBB100_605:
	v_cmp_ne_u32_e32 vcc, 25, v0
	s_and_saveexec_b64 s[8:9], vcc
	s_cbranch_execz .LBB100_609
; %bb.606:
	v_mov_b32_e32 v80, 0
	v_add_u32_e32 v79, 0xa4, v1
	v_add3_u32 v80, v1, v80, 4
	s_mov_b64 s[10:11], 0
	v_mov_b32_e32 v81, v0
.LBB100_607:                            ; =>This Inner Loop Header: Depth=1
	buffer_load_dword v82, v80, s[0:3], 0 offen
	ds_read_b32 v83, v79
	v_add_u32_e32 v81, 1, v81
	v_cmp_lt_u32_e32 vcc, 24, v81
	v_add_u32_e32 v79, 4, v79
	v_add_u32_e32 v80, 4, v80
	s_or_b64 s[10:11], vcc, s[10:11]
	s_waitcnt vmcnt(0) lgkmcnt(0)
	v_fmac_f32_e32 v78, v82, v83
	s_andn2_b64 exec, exec, s[10:11]
	s_cbranch_execnz .LBB100_607
; %bb.608:
	s_or_b64 exec, exec, s[10:11]
.LBB100_609:
	s_or_b64 exec, exec, s[8:9]
	v_mov_b32_e32 v79, 0
	ds_read_b32 v79, v79 offset:104
	s_waitcnt lgkmcnt(0)
	v_mul_f32_e32 v78, v78, v79
	buffer_store_dword v78, off, s[0:3], 0 offset:104
.LBB100_610:
	s_or_b64 exec, exec, s[6:7]
	buffer_load_dword v78, off, s[0:3], 0 offset:108
	v_cmp_gt_u32_e32 vcc, 27, v0
	s_waitcnt vmcnt(0)
	ds_write_b32 v76, v78
	s_waitcnt lgkmcnt(0)
	; wave barrier
	s_waitcnt lgkmcnt(0)
	s_and_saveexec_b64 s[6:7], vcc
	s_cbranch_execz .LBB100_620
; %bb.611:
	s_and_b64 vcc, exec, s[4:5]
	s_cbranch_vccnz .LBB100_613
; %bb.612:
	buffer_load_dword v78, v77, s[0:3], 0 offen
	ds_read_b32 v79, v76
	s_waitcnt vmcnt(0) lgkmcnt(0)
	v_mul_f32_e32 v78, v78, v79
	s_cbranch_execz .LBB100_614
	s_branch .LBB100_615
.LBB100_613:
                                        ; implicit-def: $vgpr78
.LBB100_614:
	ds_read_b32 v78, v76
.LBB100_615:
	v_cmp_ne_u32_e32 vcc, 26, v0
	s_and_saveexec_b64 s[8:9], vcc
	s_cbranch_execz .LBB100_619
; %bb.616:
	v_mov_b32_e32 v80, 0
	v_add_u32_e32 v79, 0xa4, v1
	v_add3_u32 v80, v1, v80, 4
	s_mov_b64 s[10:11], 0
	v_mov_b32_e32 v81, v0
.LBB100_617:                            ; =>This Inner Loop Header: Depth=1
	buffer_load_dword v82, v80, s[0:3], 0 offen
	ds_read_b32 v83, v79
	v_add_u32_e32 v81, 1, v81
	v_cmp_lt_u32_e32 vcc, 25, v81
	v_add_u32_e32 v79, 4, v79
	v_add_u32_e32 v80, 4, v80
	s_or_b64 s[10:11], vcc, s[10:11]
	s_waitcnt vmcnt(0) lgkmcnt(0)
	v_fmac_f32_e32 v78, v82, v83
	s_andn2_b64 exec, exec, s[10:11]
	s_cbranch_execnz .LBB100_617
; %bb.618:
	s_or_b64 exec, exec, s[10:11]
.LBB100_619:
	s_or_b64 exec, exec, s[8:9]
	v_mov_b32_e32 v79, 0
	ds_read_b32 v79, v79 offset:108
	s_waitcnt lgkmcnt(0)
	v_mul_f32_e32 v78, v78, v79
	buffer_store_dword v78, off, s[0:3], 0 offset:108
.LBB100_620:
	s_or_b64 exec, exec, s[6:7]
	buffer_load_dword v78, off, s[0:3], 0 offset:112
	v_cmp_gt_u32_e32 vcc, 28, v0
	s_waitcnt vmcnt(0)
	ds_write_b32 v76, v78
	s_waitcnt lgkmcnt(0)
	; wave barrier
	s_waitcnt lgkmcnt(0)
	s_and_saveexec_b64 s[6:7], vcc
	s_cbranch_execz .LBB100_630
; %bb.621:
	s_and_b64 vcc, exec, s[4:5]
	s_cbranch_vccnz .LBB100_623
; %bb.622:
	buffer_load_dword v78, v77, s[0:3], 0 offen
	ds_read_b32 v79, v76
	s_waitcnt vmcnt(0) lgkmcnt(0)
	v_mul_f32_e32 v78, v78, v79
	s_cbranch_execz .LBB100_624
	s_branch .LBB100_625
.LBB100_623:
                                        ; implicit-def: $vgpr78
.LBB100_624:
	ds_read_b32 v78, v76
.LBB100_625:
	v_cmp_ne_u32_e32 vcc, 27, v0
	s_and_saveexec_b64 s[8:9], vcc
	s_cbranch_execz .LBB100_629
; %bb.626:
	v_mov_b32_e32 v80, 0
	v_add_u32_e32 v79, 0xa4, v1
	v_add3_u32 v80, v1, v80, 4
	s_mov_b64 s[10:11], 0
	v_mov_b32_e32 v81, v0
.LBB100_627:                            ; =>This Inner Loop Header: Depth=1
	buffer_load_dword v82, v80, s[0:3], 0 offen
	ds_read_b32 v83, v79
	v_add_u32_e32 v81, 1, v81
	v_cmp_lt_u32_e32 vcc, 26, v81
	v_add_u32_e32 v79, 4, v79
	v_add_u32_e32 v80, 4, v80
	s_or_b64 s[10:11], vcc, s[10:11]
	s_waitcnt vmcnt(0) lgkmcnt(0)
	v_fmac_f32_e32 v78, v82, v83
	s_andn2_b64 exec, exec, s[10:11]
	s_cbranch_execnz .LBB100_627
; %bb.628:
	s_or_b64 exec, exec, s[10:11]
.LBB100_629:
	s_or_b64 exec, exec, s[8:9]
	v_mov_b32_e32 v79, 0
	ds_read_b32 v79, v79 offset:112
	s_waitcnt lgkmcnt(0)
	v_mul_f32_e32 v78, v78, v79
	buffer_store_dword v78, off, s[0:3], 0 offset:112
.LBB100_630:
	s_or_b64 exec, exec, s[6:7]
	buffer_load_dword v78, off, s[0:3], 0 offset:116
	v_cmp_gt_u32_e32 vcc, 29, v0
	s_waitcnt vmcnt(0)
	ds_write_b32 v76, v78
	s_waitcnt lgkmcnt(0)
	; wave barrier
	s_waitcnt lgkmcnt(0)
	s_and_saveexec_b64 s[6:7], vcc
	s_cbranch_execz .LBB100_640
; %bb.631:
	s_and_b64 vcc, exec, s[4:5]
	s_cbranch_vccnz .LBB100_633
; %bb.632:
	buffer_load_dword v78, v77, s[0:3], 0 offen
	ds_read_b32 v79, v76
	s_waitcnt vmcnt(0) lgkmcnt(0)
	v_mul_f32_e32 v78, v78, v79
	s_cbranch_execz .LBB100_634
	s_branch .LBB100_635
.LBB100_633:
                                        ; implicit-def: $vgpr78
.LBB100_634:
	ds_read_b32 v78, v76
.LBB100_635:
	v_cmp_ne_u32_e32 vcc, 28, v0
	s_and_saveexec_b64 s[8:9], vcc
	s_cbranch_execz .LBB100_639
; %bb.636:
	v_mov_b32_e32 v80, 0
	v_add_u32_e32 v79, 0xa4, v1
	v_add3_u32 v80, v1, v80, 4
	s_mov_b64 s[10:11], 0
	v_mov_b32_e32 v81, v0
.LBB100_637:                            ; =>This Inner Loop Header: Depth=1
	buffer_load_dword v82, v80, s[0:3], 0 offen
	ds_read_b32 v83, v79
	v_add_u32_e32 v81, 1, v81
	v_cmp_lt_u32_e32 vcc, 27, v81
	v_add_u32_e32 v79, 4, v79
	v_add_u32_e32 v80, 4, v80
	s_or_b64 s[10:11], vcc, s[10:11]
	s_waitcnt vmcnt(0) lgkmcnt(0)
	v_fmac_f32_e32 v78, v82, v83
	s_andn2_b64 exec, exec, s[10:11]
	s_cbranch_execnz .LBB100_637
; %bb.638:
	s_or_b64 exec, exec, s[10:11]
.LBB100_639:
	s_or_b64 exec, exec, s[8:9]
	v_mov_b32_e32 v79, 0
	ds_read_b32 v79, v79 offset:116
	s_waitcnt lgkmcnt(0)
	v_mul_f32_e32 v78, v78, v79
	buffer_store_dword v78, off, s[0:3], 0 offset:116
.LBB100_640:
	s_or_b64 exec, exec, s[6:7]
	buffer_load_dword v78, off, s[0:3], 0 offset:120
	v_cmp_gt_u32_e32 vcc, 30, v0
	s_waitcnt vmcnt(0)
	ds_write_b32 v76, v78
	s_waitcnt lgkmcnt(0)
	; wave barrier
	s_waitcnt lgkmcnt(0)
	s_and_saveexec_b64 s[6:7], vcc
	s_cbranch_execz .LBB100_650
; %bb.641:
	s_and_b64 vcc, exec, s[4:5]
	s_cbranch_vccnz .LBB100_643
; %bb.642:
	buffer_load_dword v78, v77, s[0:3], 0 offen
	ds_read_b32 v79, v76
	s_waitcnt vmcnt(0) lgkmcnt(0)
	v_mul_f32_e32 v78, v78, v79
	s_cbranch_execz .LBB100_644
	s_branch .LBB100_645
.LBB100_643:
                                        ; implicit-def: $vgpr78
.LBB100_644:
	ds_read_b32 v78, v76
.LBB100_645:
	v_cmp_ne_u32_e32 vcc, 29, v0
	s_and_saveexec_b64 s[8:9], vcc
	s_cbranch_execz .LBB100_649
; %bb.646:
	v_mov_b32_e32 v80, 0
	v_add_u32_e32 v79, 0xa4, v1
	v_add3_u32 v80, v1, v80, 4
	s_mov_b64 s[10:11], 0
	v_mov_b32_e32 v81, v0
.LBB100_647:                            ; =>This Inner Loop Header: Depth=1
	buffer_load_dword v82, v80, s[0:3], 0 offen
	ds_read_b32 v83, v79
	v_add_u32_e32 v81, 1, v81
	v_cmp_lt_u32_e32 vcc, 28, v81
	v_add_u32_e32 v79, 4, v79
	v_add_u32_e32 v80, 4, v80
	s_or_b64 s[10:11], vcc, s[10:11]
	s_waitcnt vmcnt(0) lgkmcnt(0)
	v_fmac_f32_e32 v78, v82, v83
	s_andn2_b64 exec, exec, s[10:11]
	s_cbranch_execnz .LBB100_647
; %bb.648:
	s_or_b64 exec, exec, s[10:11]
.LBB100_649:
	s_or_b64 exec, exec, s[8:9]
	v_mov_b32_e32 v79, 0
	ds_read_b32 v79, v79 offset:120
	s_waitcnt lgkmcnt(0)
	v_mul_f32_e32 v78, v78, v79
	buffer_store_dword v78, off, s[0:3], 0 offset:120
.LBB100_650:
	s_or_b64 exec, exec, s[6:7]
	buffer_load_dword v78, off, s[0:3], 0 offset:124
	v_cmp_gt_u32_e32 vcc, 31, v0
	s_waitcnt vmcnt(0)
	ds_write_b32 v76, v78
	s_waitcnt lgkmcnt(0)
	; wave barrier
	s_waitcnt lgkmcnt(0)
	s_and_saveexec_b64 s[6:7], vcc
	s_cbranch_execz .LBB100_660
; %bb.651:
	s_and_b64 vcc, exec, s[4:5]
	s_cbranch_vccnz .LBB100_653
; %bb.652:
	buffer_load_dword v78, v77, s[0:3], 0 offen
	ds_read_b32 v79, v76
	s_waitcnt vmcnt(0) lgkmcnt(0)
	v_mul_f32_e32 v78, v78, v79
	s_cbranch_execz .LBB100_654
	s_branch .LBB100_655
.LBB100_653:
                                        ; implicit-def: $vgpr78
.LBB100_654:
	ds_read_b32 v78, v76
.LBB100_655:
	v_cmp_ne_u32_e32 vcc, 30, v0
	s_and_saveexec_b64 s[8:9], vcc
	s_cbranch_execz .LBB100_659
; %bb.656:
	v_mov_b32_e32 v80, 0
	v_add_u32_e32 v79, 0xa4, v1
	v_add3_u32 v80, v1, v80, 4
	s_mov_b64 s[10:11], 0
	v_mov_b32_e32 v81, v0
.LBB100_657:                            ; =>This Inner Loop Header: Depth=1
	buffer_load_dword v82, v80, s[0:3], 0 offen
	ds_read_b32 v83, v79
	v_add_u32_e32 v81, 1, v81
	v_cmp_lt_u32_e32 vcc, 29, v81
	v_add_u32_e32 v79, 4, v79
	v_add_u32_e32 v80, 4, v80
	s_or_b64 s[10:11], vcc, s[10:11]
	s_waitcnt vmcnt(0) lgkmcnt(0)
	v_fmac_f32_e32 v78, v82, v83
	s_andn2_b64 exec, exec, s[10:11]
	s_cbranch_execnz .LBB100_657
; %bb.658:
	s_or_b64 exec, exec, s[10:11]
.LBB100_659:
	s_or_b64 exec, exec, s[8:9]
	v_mov_b32_e32 v79, 0
	ds_read_b32 v79, v79 offset:124
	s_waitcnt lgkmcnt(0)
	v_mul_f32_e32 v78, v78, v79
	buffer_store_dword v78, off, s[0:3], 0 offset:124
.LBB100_660:
	s_or_b64 exec, exec, s[6:7]
	buffer_load_dword v78, off, s[0:3], 0 offset:128
	v_cmp_gt_u32_e32 vcc, 32, v0
	s_waitcnt vmcnt(0)
	ds_write_b32 v76, v78
	s_waitcnt lgkmcnt(0)
	; wave barrier
	s_waitcnt lgkmcnt(0)
	s_and_saveexec_b64 s[6:7], vcc
	s_cbranch_execz .LBB100_670
; %bb.661:
	s_and_b64 vcc, exec, s[4:5]
	s_cbranch_vccnz .LBB100_663
; %bb.662:
	buffer_load_dword v78, v77, s[0:3], 0 offen
	ds_read_b32 v79, v76
	s_waitcnt vmcnt(0) lgkmcnt(0)
	v_mul_f32_e32 v78, v78, v79
	s_cbranch_execz .LBB100_664
	s_branch .LBB100_665
.LBB100_663:
                                        ; implicit-def: $vgpr78
.LBB100_664:
	ds_read_b32 v78, v76
.LBB100_665:
	v_cmp_ne_u32_e32 vcc, 31, v0
	s_and_saveexec_b64 s[8:9], vcc
	s_cbranch_execz .LBB100_669
; %bb.666:
	v_mov_b32_e32 v80, 0
	v_add_u32_e32 v79, 0xa4, v1
	v_add3_u32 v80, v1, v80, 4
	s_mov_b64 s[10:11], 0
	v_mov_b32_e32 v81, v0
.LBB100_667:                            ; =>This Inner Loop Header: Depth=1
	buffer_load_dword v82, v80, s[0:3], 0 offen
	ds_read_b32 v83, v79
	v_add_u32_e32 v81, 1, v81
	v_cmp_lt_u32_e32 vcc, 30, v81
	v_add_u32_e32 v79, 4, v79
	v_add_u32_e32 v80, 4, v80
	s_or_b64 s[10:11], vcc, s[10:11]
	s_waitcnt vmcnt(0) lgkmcnt(0)
	v_fmac_f32_e32 v78, v82, v83
	s_andn2_b64 exec, exec, s[10:11]
	s_cbranch_execnz .LBB100_667
; %bb.668:
	s_or_b64 exec, exec, s[10:11]
.LBB100_669:
	s_or_b64 exec, exec, s[8:9]
	v_mov_b32_e32 v79, 0
	ds_read_b32 v79, v79 offset:128
	s_waitcnt lgkmcnt(0)
	v_mul_f32_e32 v78, v78, v79
	buffer_store_dword v78, off, s[0:3], 0 offset:128
.LBB100_670:
	s_or_b64 exec, exec, s[6:7]
	buffer_load_dword v78, off, s[0:3], 0 offset:132
	v_cmp_gt_u32_e32 vcc, 33, v0
	s_waitcnt vmcnt(0)
	ds_write_b32 v76, v78
	s_waitcnt lgkmcnt(0)
	; wave barrier
	s_waitcnt lgkmcnt(0)
	s_and_saveexec_b64 s[6:7], vcc
	s_cbranch_execz .LBB100_680
; %bb.671:
	s_and_b64 vcc, exec, s[4:5]
	s_cbranch_vccnz .LBB100_673
; %bb.672:
	buffer_load_dword v78, v77, s[0:3], 0 offen
	ds_read_b32 v79, v76
	s_waitcnt vmcnt(0) lgkmcnt(0)
	v_mul_f32_e32 v78, v78, v79
	s_cbranch_execz .LBB100_674
	s_branch .LBB100_675
.LBB100_673:
                                        ; implicit-def: $vgpr78
.LBB100_674:
	ds_read_b32 v78, v76
.LBB100_675:
	v_cmp_ne_u32_e32 vcc, 32, v0
	s_and_saveexec_b64 s[8:9], vcc
	s_cbranch_execz .LBB100_679
; %bb.676:
	v_mov_b32_e32 v80, 0
	v_add_u32_e32 v79, 0xa4, v1
	v_add3_u32 v80, v1, v80, 4
	s_mov_b64 s[10:11], 0
	v_mov_b32_e32 v81, v0
.LBB100_677:                            ; =>This Inner Loop Header: Depth=1
	buffer_load_dword v82, v80, s[0:3], 0 offen
	ds_read_b32 v83, v79
	v_add_u32_e32 v81, 1, v81
	v_cmp_lt_u32_e32 vcc, 31, v81
	v_add_u32_e32 v79, 4, v79
	v_add_u32_e32 v80, 4, v80
	s_or_b64 s[10:11], vcc, s[10:11]
	s_waitcnt vmcnt(0) lgkmcnt(0)
	v_fmac_f32_e32 v78, v82, v83
	s_andn2_b64 exec, exec, s[10:11]
	s_cbranch_execnz .LBB100_677
; %bb.678:
	s_or_b64 exec, exec, s[10:11]
.LBB100_679:
	s_or_b64 exec, exec, s[8:9]
	v_mov_b32_e32 v79, 0
	ds_read_b32 v79, v79 offset:132
	s_waitcnt lgkmcnt(0)
	v_mul_f32_e32 v78, v78, v79
	buffer_store_dword v78, off, s[0:3], 0 offset:132
.LBB100_680:
	s_or_b64 exec, exec, s[6:7]
	buffer_load_dword v78, off, s[0:3], 0 offset:136
	v_cmp_gt_u32_e32 vcc, 34, v0
	s_waitcnt vmcnt(0)
	ds_write_b32 v76, v78
	s_waitcnt lgkmcnt(0)
	; wave barrier
	s_waitcnt lgkmcnt(0)
	s_and_saveexec_b64 s[6:7], vcc
	s_cbranch_execz .LBB100_690
; %bb.681:
	s_and_b64 vcc, exec, s[4:5]
	s_cbranch_vccnz .LBB100_683
; %bb.682:
	buffer_load_dword v78, v77, s[0:3], 0 offen
	ds_read_b32 v79, v76
	s_waitcnt vmcnt(0) lgkmcnt(0)
	v_mul_f32_e32 v78, v78, v79
	s_cbranch_execz .LBB100_684
	s_branch .LBB100_685
.LBB100_683:
                                        ; implicit-def: $vgpr78
.LBB100_684:
	ds_read_b32 v78, v76
.LBB100_685:
	v_cmp_ne_u32_e32 vcc, 33, v0
	s_and_saveexec_b64 s[8:9], vcc
	s_cbranch_execz .LBB100_689
; %bb.686:
	v_mov_b32_e32 v80, 0
	v_add_u32_e32 v79, 0xa4, v1
	v_add3_u32 v80, v1, v80, 4
	s_mov_b64 s[10:11], 0
	v_mov_b32_e32 v81, v0
.LBB100_687:                            ; =>This Inner Loop Header: Depth=1
	buffer_load_dword v82, v80, s[0:3], 0 offen
	ds_read_b32 v83, v79
	v_add_u32_e32 v81, 1, v81
	v_cmp_lt_u32_e32 vcc, 32, v81
	v_add_u32_e32 v79, 4, v79
	v_add_u32_e32 v80, 4, v80
	s_or_b64 s[10:11], vcc, s[10:11]
	s_waitcnt vmcnt(0) lgkmcnt(0)
	v_fmac_f32_e32 v78, v82, v83
	s_andn2_b64 exec, exec, s[10:11]
	s_cbranch_execnz .LBB100_687
; %bb.688:
	s_or_b64 exec, exec, s[10:11]
.LBB100_689:
	s_or_b64 exec, exec, s[8:9]
	v_mov_b32_e32 v79, 0
	ds_read_b32 v79, v79 offset:136
	s_waitcnt lgkmcnt(0)
	v_mul_f32_e32 v78, v78, v79
	buffer_store_dword v78, off, s[0:3], 0 offset:136
.LBB100_690:
	s_or_b64 exec, exec, s[6:7]
	buffer_load_dword v78, off, s[0:3], 0 offset:140
	v_cmp_gt_u32_e64 s[6:7], 35, v0
	s_waitcnt vmcnt(0)
	ds_write_b32 v76, v78
	s_waitcnt lgkmcnt(0)
	; wave barrier
	s_waitcnt lgkmcnt(0)
	s_and_saveexec_b64 s[8:9], s[6:7]
	s_cbranch_execz .LBB100_700
; %bb.691:
	s_and_b64 vcc, exec, s[4:5]
	s_cbranch_vccnz .LBB100_693
; %bb.692:
	buffer_load_dword v78, v77, s[0:3], 0 offen
	ds_read_b32 v79, v76
	s_waitcnt vmcnt(0) lgkmcnt(0)
	v_mul_f32_e32 v78, v78, v79
	s_cbranch_execz .LBB100_694
	s_branch .LBB100_695
.LBB100_693:
                                        ; implicit-def: $vgpr78
.LBB100_694:
	ds_read_b32 v78, v76
.LBB100_695:
	v_cmp_ne_u32_e32 vcc, 34, v0
	s_and_saveexec_b64 s[10:11], vcc
	s_cbranch_execz .LBB100_699
; %bb.696:
	v_mov_b32_e32 v80, 0
	v_add_u32_e32 v79, 0xa4, v1
	v_add3_u32 v80, v1, v80, 4
	s_mov_b64 s[12:13], 0
	v_mov_b32_e32 v81, v0
.LBB100_697:                            ; =>This Inner Loop Header: Depth=1
	buffer_load_dword v82, v80, s[0:3], 0 offen
	ds_read_b32 v83, v79
	v_add_u32_e32 v81, 1, v81
	v_cmp_lt_u32_e32 vcc, 33, v81
	v_add_u32_e32 v79, 4, v79
	v_add_u32_e32 v80, 4, v80
	s_or_b64 s[12:13], vcc, s[12:13]
	s_waitcnt vmcnt(0) lgkmcnt(0)
	v_fmac_f32_e32 v78, v82, v83
	s_andn2_b64 exec, exec, s[12:13]
	s_cbranch_execnz .LBB100_697
; %bb.698:
	s_or_b64 exec, exec, s[12:13]
.LBB100_699:
	s_or_b64 exec, exec, s[10:11]
	v_mov_b32_e32 v79, 0
	ds_read_b32 v79, v79 offset:140
	s_waitcnt lgkmcnt(0)
	v_mul_f32_e32 v78, v78, v79
	buffer_store_dword v78, off, s[0:3], 0 offset:140
.LBB100_700:
	s_or_b64 exec, exec, s[8:9]
	buffer_load_dword v78, off, s[0:3], 0 offset:144
	v_cmp_ne_u32_e32 vcc, 36, v0
	s_waitcnt vmcnt(0)
	ds_write_b32 v76, v78
	s_waitcnt lgkmcnt(0)
	; wave barrier
	s_waitcnt lgkmcnt(0)
	s_and_saveexec_b64 s[8:9], vcc
	s_cbranch_execz .LBB100_710
; %bb.701:
	s_and_b64 vcc, exec, s[4:5]
	s_cbranch_vccnz .LBB100_703
; %bb.702:
	buffer_load_dword v77, v77, s[0:3], 0 offen
	ds_read_b32 v78, v76
	s_waitcnt vmcnt(0) lgkmcnt(0)
	v_mul_f32_e32 v77, v77, v78
	s_cbranch_execz .LBB100_704
	s_branch .LBB100_705
.LBB100_703:
                                        ; implicit-def: $vgpr77
.LBB100_704:
	ds_read_b32 v77, v76
.LBB100_705:
	s_and_saveexec_b64 s[4:5], s[6:7]
	s_cbranch_execz .LBB100_709
; %bb.706:
	v_mov_b32_e32 v78, 0
	v_add_u32_e32 v76, 0xa4, v1
	v_add3_u32 v1, v1, v78, 4
	s_mov_b64 s[6:7], 0
.LBB100_707:                            ; =>This Inner Loop Header: Depth=1
	buffer_load_dword v78, v1, s[0:3], 0 offen
	ds_read_b32 v79, v76
	v_add_u32_e32 v0, 1, v0
	v_cmp_lt_u32_e32 vcc, 34, v0
	v_add_u32_e32 v76, 4, v76
	v_add_u32_e32 v1, 4, v1
	s_or_b64 s[6:7], vcc, s[6:7]
	s_waitcnt vmcnt(0) lgkmcnt(0)
	v_fmac_f32_e32 v77, v78, v79
	s_andn2_b64 exec, exec, s[6:7]
	s_cbranch_execnz .LBB100_707
; %bb.708:
	s_or_b64 exec, exec, s[6:7]
.LBB100_709:
	s_or_b64 exec, exec, s[4:5]
	v_mov_b32_e32 v0, 0
	ds_read_b32 v0, v0 offset:144
	s_waitcnt lgkmcnt(0)
	v_mul_f32_e32 v0, v77, v0
	buffer_store_dword v0, off, s[0:3], 0 offset:144
.LBB100_710:
	s_or_b64 exec, exec, s[8:9]
.LBB100_711:
	buffer_load_dword v0, off, s[0:3], 0
	buffer_load_dword v1, off, s[0:3], 0 offset:4
	buffer_load_dword v76, off, s[0:3], 0 offset:8
	;; [unrolled: 1-line block ×36, first 2 shown]
	s_waitcnt vmcnt(36)
	global_store_dword v[70:71], v0, off
	s_waitcnt vmcnt(36)
	global_store_dword v[72:73], v1, off
	;; [unrolled: 2-line block ×37, first 2 shown]
.LBB100_712:
	s_endpgm
	.section	.rodata,"a",@progbits
	.p2align	6, 0x0
	.amdhsa_kernel _ZN9rocsolver6v33100L18trti2_kernel_smallILi37EfPKPfEEv13rocblas_fill_17rocblas_diagonal_T1_iil
		.amdhsa_group_segment_fixed_size 308
		.amdhsa_private_segment_fixed_size 160
		.amdhsa_kernarg_size 32
		.amdhsa_user_sgpr_count 8
		.amdhsa_user_sgpr_private_segment_buffer 1
		.amdhsa_user_sgpr_dispatch_ptr 0
		.amdhsa_user_sgpr_queue_ptr 0
		.amdhsa_user_sgpr_kernarg_segment_ptr 1
		.amdhsa_user_sgpr_dispatch_id 0
		.amdhsa_user_sgpr_flat_scratch_init 1
		.amdhsa_user_sgpr_kernarg_preload_length 0
		.amdhsa_user_sgpr_kernarg_preload_offset 0
		.amdhsa_user_sgpr_private_segment_size 0
		.amdhsa_uses_dynamic_stack 0
		.amdhsa_system_sgpr_private_segment_wavefront_offset 1
		.amdhsa_system_sgpr_workgroup_id_x 1
		.amdhsa_system_sgpr_workgroup_id_y 0
		.amdhsa_system_sgpr_workgroup_id_z 0
		.amdhsa_system_sgpr_workgroup_info 0
		.amdhsa_system_vgpr_workitem_id 0
		.amdhsa_next_free_vgpr 113
		.amdhsa_next_free_sgpr 16
		.amdhsa_accum_offset 116
		.amdhsa_reserve_vcc 1
		.amdhsa_reserve_flat_scratch 0
		.amdhsa_float_round_mode_32 0
		.amdhsa_float_round_mode_16_64 0
		.amdhsa_float_denorm_mode_32 3
		.amdhsa_float_denorm_mode_16_64 3
		.amdhsa_dx10_clamp 1
		.amdhsa_ieee_mode 1
		.amdhsa_fp16_overflow 0
		.amdhsa_tg_split 0
		.amdhsa_exception_fp_ieee_invalid_op 0
		.amdhsa_exception_fp_denorm_src 0
		.amdhsa_exception_fp_ieee_div_zero 0
		.amdhsa_exception_fp_ieee_overflow 0
		.amdhsa_exception_fp_ieee_underflow 0
		.amdhsa_exception_fp_ieee_inexact 0
		.amdhsa_exception_int_div_zero 0
	.end_amdhsa_kernel
	.section	.text._ZN9rocsolver6v33100L18trti2_kernel_smallILi37EfPKPfEEv13rocblas_fill_17rocblas_diagonal_T1_iil,"axG",@progbits,_ZN9rocsolver6v33100L18trti2_kernel_smallILi37EfPKPfEEv13rocblas_fill_17rocblas_diagonal_T1_iil,comdat
.Lfunc_end100:
	.size	_ZN9rocsolver6v33100L18trti2_kernel_smallILi37EfPKPfEEv13rocblas_fill_17rocblas_diagonal_T1_iil, .Lfunc_end100-_ZN9rocsolver6v33100L18trti2_kernel_smallILi37EfPKPfEEv13rocblas_fill_17rocblas_diagonal_T1_iil
                                        ; -- End function
	.section	.AMDGPU.csdata,"",@progbits
; Kernel info:
; codeLenInByte = 17956
; NumSgprs: 20
; NumVgprs: 113
; NumAgprs: 0
; TotalNumVgprs: 113
; ScratchSize: 160
; MemoryBound: 0
; FloatMode: 240
; IeeeMode: 1
; LDSByteSize: 308 bytes/workgroup (compile time only)
; SGPRBlocks: 2
; VGPRBlocks: 14
; NumSGPRsForWavesPerEU: 20
; NumVGPRsForWavesPerEU: 113
; AccumOffset: 116
; Occupancy: 4
; WaveLimiterHint : 1
; COMPUTE_PGM_RSRC2:SCRATCH_EN: 1
; COMPUTE_PGM_RSRC2:USER_SGPR: 8
; COMPUTE_PGM_RSRC2:TRAP_HANDLER: 0
; COMPUTE_PGM_RSRC2:TGID_X_EN: 1
; COMPUTE_PGM_RSRC2:TGID_Y_EN: 0
; COMPUTE_PGM_RSRC2:TGID_Z_EN: 0
; COMPUTE_PGM_RSRC2:TIDIG_COMP_CNT: 0
; COMPUTE_PGM_RSRC3_GFX90A:ACCUM_OFFSET: 28
; COMPUTE_PGM_RSRC3_GFX90A:TG_SPLIT: 0
	.section	.text._ZN9rocsolver6v33100L18trti2_kernel_smallILi38EfPKPfEEv13rocblas_fill_17rocblas_diagonal_T1_iil,"axG",@progbits,_ZN9rocsolver6v33100L18trti2_kernel_smallILi38EfPKPfEEv13rocblas_fill_17rocblas_diagonal_T1_iil,comdat
	.globl	_ZN9rocsolver6v33100L18trti2_kernel_smallILi38EfPKPfEEv13rocblas_fill_17rocblas_diagonal_T1_iil ; -- Begin function _ZN9rocsolver6v33100L18trti2_kernel_smallILi38EfPKPfEEv13rocblas_fill_17rocblas_diagonal_T1_iil
	.p2align	8
	.type	_ZN9rocsolver6v33100L18trti2_kernel_smallILi38EfPKPfEEv13rocblas_fill_17rocblas_diagonal_T1_iil,@function
_ZN9rocsolver6v33100L18trti2_kernel_smallILi38EfPKPfEEv13rocblas_fill_17rocblas_diagonal_T1_iil: ; @_ZN9rocsolver6v33100L18trti2_kernel_smallILi38EfPKPfEEv13rocblas_fill_17rocblas_diagonal_T1_iil
; %bb.0:
	s_add_u32 s0, s0, s9
	s_addc_u32 s1, s1, 0
	v_cmp_gt_u32_e32 vcc, 38, v0
	s_and_saveexec_b64 s[6:7], vcc
	s_cbranch_execz .LBB101_732
; %bb.1:
	s_load_dwordx2 s[6:7], s[4:5], 0x10
	s_load_dwordx4 s[12:15], s[4:5], 0x0
	s_ashr_i32 s9, s8, 31
	s_lshl_b64 s[4:5], s[8:9], 3
	s_waitcnt lgkmcnt(0)
	s_ashr_i32 s9, s6, 31
	s_add_u32 s4, s14, s4
	s_addc_u32 s5, s15, s5
	s_load_dwordx2 s[4:5], s[4:5], 0x0
	s_mov_b32 s8, s6
	s_lshl_b64 s[8:9], s[8:9], 2
	s_waitcnt lgkmcnt(0)
	s_add_u32 s4, s4, s8
	s_addc_u32 s5, s5, s9
	s_add_i32 s6, s7, s7
	v_add_u32_e32 v4, s6, v0
	v_ashrrev_i32_e32 v5, 31, v4
	v_lshlrev_b64 v[2:3], 2, v[4:5]
	v_add_u32_e32 v6, s7, v4
	v_mov_b32_e32 v1, s5
	v_add_co_u32_e32 v2, vcc, s4, v2
	v_ashrrev_i32_e32 v7, 31, v6
	v_addc_co_u32_e32 v3, vcc, v1, v3, vcc
	v_lshlrev_b64 v[4:5], 2, v[6:7]
	v_add_u32_e32 v8, s7, v6
	v_add_co_u32_e32 v4, vcc, s4, v4
	v_ashrrev_i32_e32 v9, 31, v8
	v_addc_co_u32_e32 v5, vcc, v1, v5, vcc
	v_lshlrev_b64 v[6:7], 2, v[8:9]
	v_add_u32_e32 v10, s7, v8
	;; [unrolled: 5-line block ×33, first 2 shown]
	v_add_co_u32_e32 v68, vcc, s4, v68
	v_ashrrev_i32_e32 v73, 31, v72
	v_addc_co_u32_e32 v69, vcc, v1, v69, vcc
	v_lshlrev_b64 v[70:71], 2, v[72:73]
	v_add_co_u32_e32 v70, vcc, s4, v70
	v_add_u32_e32 v72, s7, v72
	v_addc_co_u32_e32 v71, vcc, v1, v71, vcc
	v_ashrrev_i32_e32 v73, 31, v72
	v_lshlrev_b32_e32 v1, 2, v0
	v_lshlrev_b64 v[76:77], 2, v[72:73]
	v_mov_b32_e32 v73, s5
	v_add_co_u32_e32 v72, vcc, s4, v1
	s_ashr_i32 s9, s7, 31
	s_mov_b32 s8, s7
	v_addc_co_u32_e32 v73, vcc, 0, v73, vcc
	s_lshl_b64 s[6:7], s[8:9], 2
	v_mov_b32_e32 v75, s7
	v_add_co_u32_e32 v74, vcc, s6, v72
	v_addc_co_u32_e32 v75, vcc, v73, v75, vcc
	v_mov_b32_e32 v78, s5
	v_add_co_u32_e32 v76, vcc, s4, v76
	global_load_dword v79, v1, s[4:5]
	global_load_dword v80, v[74:75], off
	global_load_dword v81, v[2:3], off
	;; [unrolled: 1-line block ×14, first 2 shown]
                                        ; kill: killed $sgpr5
	global_load_dword v94, v[20:21], off
	global_load_dword v95, v[18:19], off
	;; [unrolled: 1-line block ×18, first 2 shown]
	v_addc_co_u32_e32 v77, vcc, v78, v77, vcc
	global_load_dword v78, v[64:65], off
	global_load_dword v112, v[70:71], off
	;; [unrolled: 1-line block ×5, first 2 shown]
	s_cmpk_lg_i32 s13, 0x84
	s_waitcnt vmcnt(37)
	buffer_store_dword v79, off, s[0:3], 0
	s_waitcnt vmcnt(37)
	buffer_store_dword v80, off, s[0:3], 0 offset:4
	s_waitcnt vmcnt(37)
	buffer_store_dword v81, off, s[0:3], 0 offset:8
	;; [unrolled: 2-line block ×11, first 2 shown]
	buffer_store_dword v89, off, s[0:3], 0 offset:48
	buffer_store_dword v90, off, s[0:3], 0 offset:52
	;; [unrolled: 1-line block ×5, first 2 shown]
	s_waitcnt vmcnt(37)
	buffer_store_dword v96, off, s[0:3], 0 offset:68
	s_waitcnt vmcnt(37)
	buffer_store_dword v97, off, s[0:3], 0 offset:72
	;; [unrolled: 2-line block ×5, first 2 shown]
	buffer_store_dword v100, off, s[0:3], 0 offset:92
	buffer_store_dword v101, off, s[0:3], 0 offset:88
	s_waitcnt vmcnt(36)
	buffer_store_dword v104, off, s[0:3], 0 offset:100
	buffer_store_dword v99, off, s[0:3], 0 offset:96
	s_waitcnt vmcnt(32)
	buffer_store_dword v110, off, s[0:3], 0 offset:108
	s_waitcnt vmcnt(32)
	buffer_store_dword v111, off, s[0:3], 0 offset:104
	buffer_store_dword v108, off, s[0:3], 0 offset:116
	;; [unrolled: 1-line block ×5, first 2 shown]
	s_waitcnt vmcnt(36)
	buffer_store_dword v78, off, s[0:3], 0 offset:132
	buffer_store_dword v105, off, s[0:3], 0 offset:128
	s_waitcnt vmcnt(36)
	buffer_store_dword v113, off, s[0:3], 0 offset:140
	s_waitcnt vmcnt(36)
	;; [unrolled: 2-line block ×3, first 2 shown]
	buffer_store_dword v115, off, s[0:3], 0 offset:148
	buffer_store_dword v112, off, s[0:3], 0 offset:144
	s_cselect_b64 s[8:9], -1, 0
	s_cmpk_eq_i32 s13, 0x84
	v_mov_b32_e32 v96, 0
	v_mov_b32_e32 v78, -1.0
	s_cbranch_scc1 .LBB101_3
; %bb.2:
	v_lshl_add_u32 v78, v0, 2, v96
	buffer_load_dword v79, v78, s[0:3], 0 offen
	s_waitcnt vmcnt(0)
	v_div_scale_f32 v80, s[4:5], v79, v79, 1.0
	v_rcp_f32_e32 v81, v80
	v_div_scale_f32 v82, vcc, 1.0, v79, 1.0
	v_fma_f32 v83, -v80, v81, 1.0
	v_fmac_f32_e32 v81, v83, v81
	v_mul_f32_e32 v83, v82, v81
	v_fma_f32 v84, -v80, v83, v82
	v_fmac_f32_e32 v83, v84, v81
	v_fma_f32 v80, -v80, v83, v82
	v_div_fmas_f32 v80, v80, v81, v83
	v_div_fixup_f32 v79, v80, v79, 1.0
	buffer_store_dword v79, v78, s[0:3], 0 offen
	v_xor_b32_e32 v78, 0x80000000, v79
.LBB101_3:
	ds_write_b32 v1, v78
	s_cmpk_eq_i32 s12, 0x79
	v_add_u32_e32 v78, 0xa0, v1
	v_add_u32_e32 v79, 0, v1
	s_mov_b64 s[4:5], -1
	s_cbranch_scc1 .LBB101_367
; %bb.4:
	buffer_load_dword v80, off, s[0:3], 0 offset:144
	v_cmp_eq_u32_e64 s[4:5], 37, v0
	s_waitcnt vmcnt(0)
	ds_write_b32 v78, v80
	s_waitcnt lgkmcnt(0)
	; wave barrier
	s_waitcnt lgkmcnt(0)
	s_and_saveexec_b64 s[6:7], s[4:5]
	s_cbranch_execz .LBB101_10
; %bb.5:
	s_and_b64 vcc, exec, s[8:9]
	s_cbranch_vccz .LBB101_7
; %bb.6:
	buffer_load_dword v80, v79, s[0:3], 0 offen
	ds_read_b32 v81, v78
	s_waitcnt vmcnt(0) lgkmcnt(0)
	v_mul_f32_e32 v80, v80, v81
	s_cbranch_execz .LBB101_8
	s_branch .LBB101_9
.LBB101_7:
                                        ; implicit-def: $vgpr80
.LBB101_8:
	ds_read_b32 v80, v78
.LBB101_9:
	v_mov_b32_e32 v81, 0
	ds_read_b32 v81, v81 offset:144
	s_waitcnt lgkmcnt(0)
	v_mul_f32_e32 v80, v80, v81
	buffer_store_dword v80, off, s[0:3], 0 offset:144
.LBB101_10:
	s_or_b64 exec, exec, s[6:7]
	buffer_load_dword v97, off, s[0:3], 0 offset:140
	v_or_b32_e32 v80, 8, v96
	v_add_u32_e32 v81, 16, v96
	v_add_u32_e32 v82, 24, v96
	;; [unrolled: 1-line block ×16, first 2 shown]
	v_cmp_lt_u32_e64 s[6:7], 35, v0
	s_waitcnt vmcnt(0)
	ds_write_b32 v78, v97
	s_waitcnt lgkmcnt(0)
	; wave barrier
	s_waitcnt lgkmcnt(0)
	s_and_saveexec_b64 s[10:11], s[6:7]
	s_cbranch_execz .LBB101_16
; %bb.11:
	s_andn2_b64 vcc, exec, s[8:9]
	s_cbranch_vccnz .LBB101_13
; %bb.12:
	buffer_load_dword v97, v79, s[0:3], 0 offen
	ds_read_b32 v98, v78
	s_waitcnt vmcnt(0) lgkmcnt(0)
	v_mul_f32_e32 v97, v97, v98
	s_cbranch_execz .LBB101_14
	s_branch .LBB101_15
.LBB101_13:
                                        ; implicit-def: $vgpr97
.LBB101_14:
	ds_read_b32 v97, v78
.LBB101_15:
	buffer_load_dword v100, off, s[0:3], 0 offset:144
	v_mov_b32_e32 v98, 0
	ds_read2_b32 v[98:99], v98 offset0:35 offset1:76
	s_waitcnt vmcnt(0) lgkmcnt(0)
	v_fma_f32 v99, v100, v99, v97
	v_cndmask_b32_e64 v97, v97, v99, s[4:5]
	v_mul_f32_e32 v97, v97, v98
	buffer_store_dword v97, off, s[0:3], 0 offset:140
.LBB101_16:
	s_or_b64 exec, exec, s[10:11]
	buffer_load_dword v97, off, s[0:3], 0 offset:136
	v_cmp_lt_u32_e64 s[4:5], 34, v0
	s_waitcnt vmcnt(0)
	ds_write_b32 v78, v97
	s_waitcnt lgkmcnt(0)
	; wave barrier
	s_waitcnt lgkmcnt(0)
	s_and_saveexec_b64 s[10:11], s[4:5]
	s_cbranch_execz .LBB101_26
; %bb.17:
	s_andn2_b64 vcc, exec, s[8:9]
	s_cbranch_vccnz .LBB101_19
; %bb.18:
	buffer_load_dword v97, v79, s[0:3], 0 offen
	ds_read_b32 v98, v78
	s_waitcnt vmcnt(0) lgkmcnt(0)
	v_mul_f32_e32 v97, v97, v98
	s_cbranch_execz .LBB101_20
	s_branch .LBB101_21
.LBB101_19:
                                        ; implicit-def: $vgpr97
.LBB101_20:
	ds_read_b32 v97, v78
.LBB101_21:
	s_and_saveexec_b64 s[12:13], s[6:7]
	s_cbranch_execz .LBB101_25
; %bb.22:
	v_mov_b32_e32 v98, 0
	v_add_u32_e32 v98, 0x8c, v98
	v_subrev_u32_e32 v99, 35, v0
	s_movk_i32 s14, 0x12c
	s_mov_b64 s[6:7], 0
.LBB101_23:                             ; =>This Inner Loop Header: Depth=1
	buffer_load_dword v100, v98, s[0:3], 0 offen
	v_mov_b32_e32 v101, s14
	ds_read_b32 v101, v101
	v_add_u32_e32 v99, -1, v99
	s_add_i32 s14, s14, 4
	v_cmp_eq_u32_e32 vcc, 0, v99
	v_add_u32_e32 v98, 4, v98
	s_or_b64 s[6:7], vcc, s[6:7]
	s_waitcnt vmcnt(0) lgkmcnt(0)
	v_fmac_f32_e32 v97, v100, v101
	s_andn2_b64 exec, exec, s[6:7]
	s_cbranch_execnz .LBB101_23
; %bb.24:
	s_or_b64 exec, exec, s[6:7]
.LBB101_25:
	s_or_b64 exec, exec, s[12:13]
	v_mov_b32_e32 v98, 0
	ds_read_b32 v98, v98 offset:136
	s_waitcnt lgkmcnt(0)
	v_mul_f32_e32 v97, v97, v98
	buffer_store_dword v97, off, s[0:3], 0 offset:136
.LBB101_26:
	s_or_b64 exec, exec, s[10:11]
	buffer_load_dword v97, off, s[0:3], 0 offset:132
	v_cmp_lt_u32_e64 s[6:7], 33, v0
	s_waitcnt vmcnt(0)
	ds_write_b32 v78, v97
	s_waitcnt lgkmcnt(0)
	; wave barrier
	s_waitcnt lgkmcnt(0)
	s_and_saveexec_b64 s[10:11], s[6:7]
	s_cbranch_execz .LBB101_36
; %bb.27:
	s_andn2_b64 vcc, exec, s[8:9]
	s_cbranch_vccnz .LBB101_29
; %bb.28:
	buffer_load_dword v97, v79, s[0:3], 0 offen
	ds_read_b32 v98, v78
	s_waitcnt vmcnt(0) lgkmcnt(0)
	v_mul_f32_e32 v97, v97, v98
	s_cbranch_execz .LBB101_30
	s_branch .LBB101_31
.LBB101_29:
                                        ; implicit-def: $vgpr97
.LBB101_30:
	ds_read_b32 v97, v78
.LBB101_31:
	s_and_saveexec_b64 s[12:13], s[4:5]
	s_cbranch_execz .LBB101_35
; %bb.32:
	v_subrev_u32_e32 v98, 34, v0
	s_movk_i32 s14, 0x128
	s_mov_b64 s[4:5], 0
.LBB101_33:                             ; =>This Inner Loop Header: Depth=1
	buffer_load_dword v99, v96, s[0:3], 0 offen
	v_mov_b32_e32 v100, s14
	ds_read_b32 v100, v100
	v_add_u32_e32 v98, -1, v98
	s_add_i32 s14, s14, 4
	v_cmp_eq_u32_e32 vcc, 0, v98
	v_add_u32_e32 v96, 4, v96
	s_or_b64 s[4:5], vcc, s[4:5]
	s_waitcnt vmcnt(0) lgkmcnt(0)
	v_fmac_f32_e32 v97, v99, v100
	s_andn2_b64 exec, exec, s[4:5]
	s_cbranch_execnz .LBB101_33
; %bb.34:
	s_or_b64 exec, exec, s[4:5]
.LBB101_35:
	s_or_b64 exec, exec, s[12:13]
	v_mov_b32_e32 v96, 0
	ds_read_b32 v96, v96 offset:132
	s_waitcnt lgkmcnt(0)
	v_mul_f32_e32 v96, v97, v96
	buffer_store_dword v96, off, s[0:3], 0 offset:132
.LBB101_36:
	s_or_b64 exec, exec, s[10:11]
	buffer_load_dword v96, off, s[0:3], 0 offset:128
	v_cmp_lt_u32_e64 s[4:5], 32, v0
	s_waitcnt vmcnt(0)
	ds_write_b32 v78, v96
	s_waitcnt lgkmcnt(0)
	; wave barrier
	s_waitcnt lgkmcnt(0)
	s_and_saveexec_b64 s[10:11], s[4:5]
	s_cbranch_execz .LBB101_46
; %bb.37:
	s_andn2_b64 vcc, exec, s[8:9]
	s_cbranch_vccnz .LBB101_39
; %bb.38:
	buffer_load_dword v96, v79, s[0:3], 0 offen
	ds_read_b32 v97, v78
	s_waitcnt vmcnt(0) lgkmcnt(0)
	v_mul_f32_e32 v96, v96, v97
	s_cbranch_execz .LBB101_40
	s_branch .LBB101_41
.LBB101_39:
                                        ; implicit-def: $vgpr96
.LBB101_40:
	ds_read_b32 v96, v78
.LBB101_41:
	s_and_saveexec_b64 s[12:13], s[6:7]
	s_cbranch_execz .LBB101_45
; %bb.42:
	v_mov_b32_e32 v97, 0
	v_add_u32_e32 v97, 0x84, v97
	v_subrev_u32_e32 v98, 33, v0
	s_movk_i32 s14, 0x124
	s_mov_b64 s[6:7], 0
.LBB101_43:                             ; =>This Inner Loop Header: Depth=1
	buffer_load_dword v99, v97, s[0:3], 0 offen
	v_mov_b32_e32 v100, s14
	ds_read_b32 v100, v100
	v_add_u32_e32 v98, -1, v98
	s_add_i32 s14, s14, 4
	v_cmp_eq_u32_e32 vcc, 0, v98
	v_add_u32_e32 v97, 4, v97
	s_or_b64 s[6:7], vcc, s[6:7]
	s_waitcnt vmcnt(0) lgkmcnt(0)
	v_fmac_f32_e32 v96, v99, v100
	s_andn2_b64 exec, exec, s[6:7]
	s_cbranch_execnz .LBB101_43
; %bb.44:
	s_or_b64 exec, exec, s[6:7]
.LBB101_45:
	s_or_b64 exec, exec, s[12:13]
	v_mov_b32_e32 v97, 0
	ds_read_b32 v97, v97 offset:128
	s_waitcnt lgkmcnt(0)
	v_mul_f32_e32 v96, v96, v97
	buffer_store_dword v96, off, s[0:3], 0 offset:128
.LBB101_46:
	s_or_b64 exec, exec, s[10:11]
	buffer_load_dword v96, off, s[0:3], 0 offset:124
	v_cmp_lt_u32_e64 s[6:7], 31, v0
	s_waitcnt vmcnt(0)
	ds_write_b32 v78, v96
	s_waitcnt lgkmcnt(0)
	; wave barrier
	s_waitcnt lgkmcnt(0)
	s_and_saveexec_b64 s[10:11], s[6:7]
	s_cbranch_execz .LBB101_56
; %bb.47:
	s_andn2_b64 vcc, exec, s[8:9]
	s_cbranch_vccnz .LBB101_49
; %bb.48:
	buffer_load_dword v96, v79, s[0:3], 0 offen
	ds_read_b32 v97, v78
	s_waitcnt vmcnt(0) lgkmcnt(0)
	v_mul_f32_e32 v96, v96, v97
	s_cbranch_execz .LBB101_50
	s_branch .LBB101_51
.LBB101_49:
                                        ; implicit-def: $vgpr96
.LBB101_50:
	ds_read_b32 v96, v78
.LBB101_51:
	s_and_saveexec_b64 s[12:13], s[4:5]
	s_cbranch_execz .LBB101_55
; %bb.52:
	v_subrev_u32_e32 v97, 32, v0
	s_movk_i32 s14, 0x120
	s_mov_b64 s[4:5], 0
.LBB101_53:                             ; =>This Inner Loop Header: Depth=1
	buffer_load_dword v98, v95, s[0:3], 0 offen
	v_mov_b32_e32 v99, s14
	ds_read_b32 v99, v99
	v_add_u32_e32 v97, -1, v97
	s_add_i32 s14, s14, 4
	v_cmp_eq_u32_e32 vcc, 0, v97
	v_add_u32_e32 v95, 4, v95
	s_or_b64 s[4:5], vcc, s[4:5]
	s_waitcnt vmcnt(0) lgkmcnt(0)
	v_fmac_f32_e32 v96, v98, v99
	s_andn2_b64 exec, exec, s[4:5]
	s_cbranch_execnz .LBB101_53
; %bb.54:
	s_or_b64 exec, exec, s[4:5]
.LBB101_55:
	s_or_b64 exec, exec, s[12:13]
	v_mov_b32_e32 v95, 0
	ds_read_b32 v95, v95 offset:124
	s_waitcnt lgkmcnt(0)
	v_mul_f32_e32 v95, v96, v95
	buffer_store_dword v95, off, s[0:3], 0 offset:124
.LBB101_56:
	s_or_b64 exec, exec, s[10:11]
	buffer_load_dword v95, off, s[0:3], 0 offset:120
	v_cmp_lt_u32_e64 s[4:5], 30, v0
	s_waitcnt vmcnt(0)
	ds_write_b32 v78, v95
	s_waitcnt lgkmcnt(0)
	; wave barrier
	s_waitcnt lgkmcnt(0)
	s_and_saveexec_b64 s[10:11], s[4:5]
	s_cbranch_execz .LBB101_66
; %bb.57:
	s_andn2_b64 vcc, exec, s[8:9]
	s_cbranch_vccnz .LBB101_59
; %bb.58:
	buffer_load_dword v95, v79, s[0:3], 0 offen
	ds_read_b32 v96, v78
	s_waitcnt vmcnt(0) lgkmcnt(0)
	v_mul_f32_e32 v95, v95, v96
	s_cbranch_execz .LBB101_60
	s_branch .LBB101_61
.LBB101_59:
                                        ; implicit-def: $vgpr95
.LBB101_60:
	ds_read_b32 v95, v78
.LBB101_61:
	s_and_saveexec_b64 s[12:13], s[6:7]
	s_cbranch_execz .LBB101_65
; %bb.62:
	v_mov_b32_e32 v96, 0
	v_add_u32_e32 v96, 0x7c, v96
	v_subrev_u32_e32 v97, 31, v0
	s_movk_i32 s14, 0x11c
	s_mov_b64 s[6:7], 0
.LBB101_63:                             ; =>This Inner Loop Header: Depth=1
	buffer_load_dword v98, v96, s[0:3], 0 offen
	v_mov_b32_e32 v99, s14
	ds_read_b32 v99, v99
	v_add_u32_e32 v97, -1, v97
	s_add_i32 s14, s14, 4
	v_cmp_eq_u32_e32 vcc, 0, v97
	v_add_u32_e32 v96, 4, v96
	s_or_b64 s[6:7], vcc, s[6:7]
	s_waitcnt vmcnt(0) lgkmcnt(0)
	v_fmac_f32_e32 v95, v98, v99
	s_andn2_b64 exec, exec, s[6:7]
	s_cbranch_execnz .LBB101_63
; %bb.64:
	s_or_b64 exec, exec, s[6:7]
.LBB101_65:
	s_or_b64 exec, exec, s[12:13]
	v_mov_b32_e32 v96, 0
	ds_read_b32 v96, v96 offset:120
	s_waitcnt lgkmcnt(0)
	v_mul_f32_e32 v95, v95, v96
	buffer_store_dword v95, off, s[0:3], 0 offset:120
.LBB101_66:
	s_or_b64 exec, exec, s[10:11]
	buffer_load_dword v95, off, s[0:3], 0 offset:116
	v_cmp_lt_u32_e64 s[6:7], 29, v0
	s_waitcnt vmcnt(0)
	ds_write_b32 v78, v95
	s_waitcnt lgkmcnt(0)
	; wave barrier
	s_waitcnt lgkmcnt(0)
	s_and_saveexec_b64 s[10:11], s[6:7]
	s_cbranch_execz .LBB101_76
; %bb.67:
	s_andn2_b64 vcc, exec, s[8:9]
	s_cbranch_vccnz .LBB101_69
; %bb.68:
	buffer_load_dword v95, v79, s[0:3], 0 offen
	ds_read_b32 v96, v78
	s_waitcnt vmcnt(0) lgkmcnt(0)
	v_mul_f32_e32 v95, v95, v96
	s_cbranch_execz .LBB101_70
	s_branch .LBB101_71
.LBB101_69:
                                        ; implicit-def: $vgpr95
.LBB101_70:
	ds_read_b32 v95, v78
.LBB101_71:
	s_and_saveexec_b64 s[12:13], s[4:5]
	s_cbranch_execz .LBB101_75
; %bb.72:
	v_subrev_u32_e32 v96, 30, v0
	s_movk_i32 s14, 0x118
	s_mov_b64 s[4:5], 0
.LBB101_73:                             ; =>This Inner Loop Header: Depth=1
	buffer_load_dword v97, v94, s[0:3], 0 offen
	v_mov_b32_e32 v98, s14
	ds_read_b32 v98, v98
	v_add_u32_e32 v96, -1, v96
	s_add_i32 s14, s14, 4
	v_cmp_eq_u32_e32 vcc, 0, v96
	v_add_u32_e32 v94, 4, v94
	s_or_b64 s[4:5], vcc, s[4:5]
	s_waitcnt vmcnt(0) lgkmcnt(0)
	v_fmac_f32_e32 v95, v97, v98
	s_andn2_b64 exec, exec, s[4:5]
	s_cbranch_execnz .LBB101_73
; %bb.74:
	s_or_b64 exec, exec, s[4:5]
.LBB101_75:
	s_or_b64 exec, exec, s[12:13]
	v_mov_b32_e32 v94, 0
	ds_read_b32 v94, v94 offset:116
	s_waitcnt lgkmcnt(0)
	v_mul_f32_e32 v94, v95, v94
	buffer_store_dword v94, off, s[0:3], 0 offset:116
.LBB101_76:
	s_or_b64 exec, exec, s[10:11]
	buffer_load_dword v94, off, s[0:3], 0 offset:112
	v_cmp_lt_u32_e64 s[4:5], 28, v0
	s_waitcnt vmcnt(0)
	ds_write_b32 v78, v94
	s_waitcnt lgkmcnt(0)
	; wave barrier
	s_waitcnt lgkmcnt(0)
	s_and_saveexec_b64 s[10:11], s[4:5]
	s_cbranch_execz .LBB101_86
; %bb.77:
	s_andn2_b64 vcc, exec, s[8:9]
	s_cbranch_vccnz .LBB101_79
; %bb.78:
	buffer_load_dword v94, v79, s[0:3], 0 offen
	ds_read_b32 v95, v78
	s_waitcnt vmcnt(0) lgkmcnt(0)
	v_mul_f32_e32 v94, v94, v95
	s_cbranch_execz .LBB101_80
	s_branch .LBB101_81
.LBB101_79:
                                        ; implicit-def: $vgpr94
.LBB101_80:
	ds_read_b32 v94, v78
.LBB101_81:
	s_and_saveexec_b64 s[12:13], s[6:7]
	s_cbranch_execz .LBB101_85
; %bb.82:
	v_mov_b32_e32 v95, 0
	v_add_u32_e32 v95, 0x74, v95
	v_subrev_u32_e32 v96, 29, v0
	s_movk_i32 s14, 0x114
	s_mov_b64 s[6:7], 0
.LBB101_83:                             ; =>This Inner Loop Header: Depth=1
	buffer_load_dword v97, v95, s[0:3], 0 offen
	v_mov_b32_e32 v98, s14
	ds_read_b32 v98, v98
	v_add_u32_e32 v96, -1, v96
	s_add_i32 s14, s14, 4
	v_cmp_eq_u32_e32 vcc, 0, v96
	v_add_u32_e32 v95, 4, v95
	s_or_b64 s[6:7], vcc, s[6:7]
	s_waitcnt vmcnt(0) lgkmcnt(0)
	v_fmac_f32_e32 v94, v97, v98
	s_andn2_b64 exec, exec, s[6:7]
	s_cbranch_execnz .LBB101_83
; %bb.84:
	s_or_b64 exec, exec, s[6:7]
.LBB101_85:
	s_or_b64 exec, exec, s[12:13]
	v_mov_b32_e32 v95, 0
	ds_read_b32 v95, v95 offset:112
	s_waitcnt lgkmcnt(0)
	v_mul_f32_e32 v94, v94, v95
	buffer_store_dword v94, off, s[0:3], 0 offset:112
.LBB101_86:
	s_or_b64 exec, exec, s[10:11]
	buffer_load_dword v94, off, s[0:3], 0 offset:108
	v_cmp_lt_u32_e64 s[6:7], 27, v0
	s_waitcnt vmcnt(0)
	ds_write_b32 v78, v94
	s_waitcnt lgkmcnt(0)
	; wave barrier
	s_waitcnt lgkmcnt(0)
	s_and_saveexec_b64 s[10:11], s[6:7]
	s_cbranch_execz .LBB101_96
; %bb.87:
	s_andn2_b64 vcc, exec, s[8:9]
	s_cbranch_vccnz .LBB101_89
; %bb.88:
	buffer_load_dword v94, v79, s[0:3], 0 offen
	ds_read_b32 v95, v78
	s_waitcnt vmcnt(0) lgkmcnt(0)
	v_mul_f32_e32 v94, v94, v95
	s_cbranch_execz .LBB101_90
	s_branch .LBB101_91
.LBB101_89:
                                        ; implicit-def: $vgpr94
.LBB101_90:
	ds_read_b32 v94, v78
.LBB101_91:
	s_and_saveexec_b64 s[12:13], s[4:5]
	s_cbranch_execz .LBB101_95
; %bb.92:
	v_subrev_u32_e32 v95, 28, v0
	s_movk_i32 s14, 0x110
	s_mov_b64 s[4:5], 0
.LBB101_93:                             ; =>This Inner Loop Header: Depth=1
	buffer_load_dword v96, v93, s[0:3], 0 offen
	v_mov_b32_e32 v97, s14
	ds_read_b32 v97, v97
	v_add_u32_e32 v95, -1, v95
	s_add_i32 s14, s14, 4
	v_cmp_eq_u32_e32 vcc, 0, v95
	v_add_u32_e32 v93, 4, v93
	s_or_b64 s[4:5], vcc, s[4:5]
	s_waitcnt vmcnt(0) lgkmcnt(0)
	v_fmac_f32_e32 v94, v96, v97
	s_andn2_b64 exec, exec, s[4:5]
	s_cbranch_execnz .LBB101_93
; %bb.94:
	s_or_b64 exec, exec, s[4:5]
.LBB101_95:
	s_or_b64 exec, exec, s[12:13]
	v_mov_b32_e32 v93, 0
	ds_read_b32 v93, v93 offset:108
	s_waitcnt lgkmcnt(0)
	v_mul_f32_e32 v93, v94, v93
	buffer_store_dword v93, off, s[0:3], 0 offset:108
.LBB101_96:
	s_or_b64 exec, exec, s[10:11]
	buffer_load_dword v93, off, s[0:3], 0 offset:104
	v_cmp_lt_u32_e64 s[4:5], 26, v0
	s_waitcnt vmcnt(0)
	ds_write_b32 v78, v93
	s_waitcnt lgkmcnt(0)
	; wave barrier
	s_waitcnt lgkmcnt(0)
	s_and_saveexec_b64 s[10:11], s[4:5]
	s_cbranch_execz .LBB101_106
; %bb.97:
	s_andn2_b64 vcc, exec, s[8:9]
	s_cbranch_vccnz .LBB101_99
; %bb.98:
	buffer_load_dword v93, v79, s[0:3], 0 offen
	ds_read_b32 v94, v78
	s_waitcnt vmcnt(0) lgkmcnt(0)
	v_mul_f32_e32 v93, v93, v94
	s_cbranch_execz .LBB101_100
	s_branch .LBB101_101
.LBB101_99:
                                        ; implicit-def: $vgpr93
.LBB101_100:
	ds_read_b32 v93, v78
.LBB101_101:
	s_and_saveexec_b64 s[12:13], s[6:7]
	s_cbranch_execz .LBB101_105
; %bb.102:
	v_mov_b32_e32 v94, 0
	v_add_u32_e32 v94, 0x6c, v94
	v_subrev_u32_e32 v95, 27, v0
	s_movk_i32 s14, 0x10c
	s_mov_b64 s[6:7], 0
.LBB101_103:                            ; =>This Inner Loop Header: Depth=1
	buffer_load_dword v96, v94, s[0:3], 0 offen
	v_mov_b32_e32 v97, s14
	ds_read_b32 v97, v97
	v_add_u32_e32 v95, -1, v95
	s_add_i32 s14, s14, 4
	v_cmp_eq_u32_e32 vcc, 0, v95
	v_add_u32_e32 v94, 4, v94
	s_or_b64 s[6:7], vcc, s[6:7]
	s_waitcnt vmcnt(0) lgkmcnt(0)
	v_fmac_f32_e32 v93, v96, v97
	s_andn2_b64 exec, exec, s[6:7]
	s_cbranch_execnz .LBB101_103
; %bb.104:
	s_or_b64 exec, exec, s[6:7]
.LBB101_105:
	s_or_b64 exec, exec, s[12:13]
	v_mov_b32_e32 v94, 0
	ds_read_b32 v94, v94 offset:104
	s_waitcnt lgkmcnt(0)
	v_mul_f32_e32 v93, v93, v94
	buffer_store_dword v93, off, s[0:3], 0 offset:104
.LBB101_106:
	s_or_b64 exec, exec, s[10:11]
	buffer_load_dword v93, off, s[0:3], 0 offset:100
	v_cmp_lt_u32_e64 s[6:7], 25, v0
	s_waitcnt vmcnt(0)
	ds_write_b32 v78, v93
	s_waitcnt lgkmcnt(0)
	; wave barrier
	s_waitcnt lgkmcnt(0)
	s_and_saveexec_b64 s[10:11], s[6:7]
	s_cbranch_execz .LBB101_116
; %bb.107:
	s_andn2_b64 vcc, exec, s[8:9]
	s_cbranch_vccnz .LBB101_109
; %bb.108:
	buffer_load_dword v93, v79, s[0:3], 0 offen
	ds_read_b32 v94, v78
	s_waitcnt vmcnt(0) lgkmcnt(0)
	v_mul_f32_e32 v93, v93, v94
	s_cbranch_execz .LBB101_110
	s_branch .LBB101_111
.LBB101_109:
                                        ; implicit-def: $vgpr93
.LBB101_110:
	ds_read_b32 v93, v78
.LBB101_111:
	s_and_saveexec_b64 s[12:13], s[4:5]
	s_cbranch_execz .LBB101_115
; %bb.112:
	v_subrev_u32_e32 v94, 26, v0
	s_movk_i32 s14, 0x108
	s_mov_b64 s[4:5], 0
.LBB101_113:                            ; =>This Inner Loop Header: Depth=1
	buffer_load_dword v95, v92, s[0:3], 0 offen
	v_mov_b32_e32 v96, s14
	ds_read_b32 v96, v96
	v_add_u32_e32 v94, -1, v94
	s_add_i32 s14, s14, 4
	v_cmp_eq_u32_e32 vcc, 0, v94
	v_add_u32_e32 v92, 4, v92
	s_or_b64 s[4:5], vcc, s[4:5]
	s_waitcnt vmcnt(0) lgkmcnt(0)
	v_fmac_f32_e32 v93, v95, v96
	s_andn2_b64 exec, exec, s[4:5]
	s_cbranch_execnz .LBB101_113
; %bb.114:
	s_or_b64 exec, exec, s[4:5]
.LBB101_115:
	s_or_b64 exec, exec, s[12:13]
	v_mov_b32_e32 v92, 0
	ds_read_b32 v92, v92 offset:100
	s_waitcnt lgkmcnt(0)
	v_mul_f32_e32 v92, v93, v92
	buffer_store_dword v92, off, s[0:3], 0 offset:100
.LBB101_116:
	s_or_b64 exec, exec, s[10:11]
	buffer_load_dword v92, off, s[0:3], 0 offset:96
	v_cmp_lt_u32_e64 s[4:5], 24, v0
	s_waitcnt vmcnt(0)
	ds_write_b32 v78, v92
	s_waitcnt lgkmcnt(0)
	; wave barrier
	s_waitcnt lgkmcnt(0)
	s_and_saveexec_b64 s[10:11], s[4:5]
	s_cbranch_execz .LBB101_126
; %bb.117:
	s_andn2_b64 vcc, exec, s[8:9]
	s_cbranch_vccnz .LBB101_119
; %bb.118:
	buffer_load_dword v92, v79, s[0:3], 0 offen
	ds_read_b32 v93, v78
	s_waitcnt vmcnt(0) lgkmcnt(0)
	v_mul_f32_e32 v92, v92, v93
	s_cbranch_execz .LBB101_120
	s_branch .LBB101_121
.LBB101_119:
                                        ; implicit-def: $vgpr92
.LBB101_120:
	ds_read_b32 v92, v78
.LBB101_121:
	s_and_saveexec_b64 s[12:13], s[6:7]
	s_cbranch_execz .LBB101_125
; %bb.122:
	v_mov_b32_e32 v93, 0
	v_add_u32_e32 v93, 0x64, v93
	v_subrev_u32_e32 v94, 25, v0
	s_movk_i32 s14, 0x104
	s_mov_b64 s[6:7], 0
.LBB101_123:                            ; =>This Inner Loop Header: Depth=1
	buffer_load_dword v95, v93, s[0:3], 0 offen
	v_mov_b32_e32 v96, s14
	ds_read_b32 v96, v96
	v_add_u32_e32 v94, -1, v94
	s_add_i32 s14, s14, 4
	v_cmp_eq_u32_e32 vcc, 0, v94
	v_add_u32_e32 v93, 4, v93
	s_or_b64 s[6:7], vcc, s[6:7]
	s_waitcnt vmcnt(0) lgkmcnt(0)
	v_fmac_f32_e32 v92, v95, v96
	s_andn2_b64 exec, exec, s[6:7]
	s_cbranch_execnz .LBB101_123
; %bb.124:
	s_or_b64 exec, exec, s[6:7]
.LBB101_125:
	s_or_b64 exec, exec, s[12:13]
	v_mov_b32_e32 v93, 0
	ds_read_b32 v93, v93 offset:96
	s_waitcnt lgkmcnt(0)
	v_mul_f32_e32 v92, v92, v93
	buffer_store_dword v92, off, s[0:3], 0 offset:96
.LBB101_126:
	s_or_b64 exec, exec, s[10:11]
	buffer_load_dword v92, off, s[0:3], 0 offset:92
	v_cmp_lt_u32_e64 s[6:7], 23, v0
	s_waitcnt vmcnt(0)
	ds_write_b32 v78, v92
	s_waitcnt lgkmcnt(0)
	; wave barrier
	s_waitcnt lgkmcnt(0)
	s_and_saveexec_b64 s[10:11], s[6:7]
	s_cbranch_execz .LBB101_136
; %bb.127:
	s_andn2_b64 vcc, exec, s[8:9]
	s_cbranch_vccnz .LBB101_129
; %bb.128:
	buffer_load_dword v92, v79, s[0:3], 0 offen
	ds_read_b32 v93, v78
	s_waitcnt vmcnt(0) lgkmcnt(0)
	v_mul_f32_e32 v92, v92, v93
	s_cbranch_execz .LBB101_130
	s_branch .LBB101_131
.LBB101_129:
                                        ; implicit-def: $vgpr92
.LBB101_130:
	ds_read_b32 v92, v78
.LBB101_131:
	s_and_saveexec_b64 s[12:13], s[4:5]
	s_cbranch_execz .LBB101_135
; %bb.132:
	v_subrev_u32_e32 v93, 24, v0
	s_movk_i32 s14, 0x100
	s_mov_b64 s[4:5], 0
.LBB101_133:                            ; =>This Inner Loop Header: Depth=1
	buffer_load_dword v94, v91, s[0:3], 0 offen
	v_mov_b32_e32 v95, s14
	ds_read_b32 v95, v95
	v_add_u32_e32 v93, -1, v93
	s_add_i32 s14, s14, 4
	v_cmp_eq_u32_e32 vcc, 0, v93
	v_add_u32_e32 v91, 4, v91
	s_or_b64 s[4:5], vcc, s[4:5]
	s_waitcnt vmcnt(0) lgkmcnt(0)
	v_fmac_f32_e32 v92, v94, v95
	s_andn2_b64 exec, exec, s[4:5]
	s_cbranch_execnz .LBB101_133
; %bb.134:
	s_or_b64 exec, exec, s[4:5]
.LBB101_135:
	s_or_b64 exec, exec, s[12:13]
	v_mov_b32_e32 v91, 0
	ds_read_b32 v91, v91 offset:92
	s_waitcnt lgkmcnt(0)
	v_mul_f32_e32 v91, v92, v91
	buffer_store_dword v91, off, s[0:3], 0 offset:92
.LBB101_136:
	s_or_b64 exec, exec, s[10:11]
	buffer_load_dword v91, off, s[0:3], 0 offset:88
	v_cmp_lt_u32_e64 s[4:5], 22, v0
	s_waitcnt vmcnt(0)
	ds_write_b32 v78, v91
	s_waitcnt lgkmcnt(0)
	; wave barrier
	s_waitcnt lgkmcnt(0)
	s_and_saveexec_b64 s[10:11], s[4:5]
	s_cbranch_execz .LBB101_146
; %bb.137:
	s_andn2_b64 vcc, exec, s[8:9]
	s_cbranch_vccnz .LBB101_139
; %bb.138:
	buffer_load_dword v91, v79, s[0:3], 0 offen
	ds_read_b32 v92, v78
	s_waitcnt vmcnt(0) lgkmcnt(0)
	v_mul_f32_e32 v91, v91, v92
	s_cbranch_execz .LBB101_140
	s_branch .LBB101_141
.LBB101_139:
                                        ; implicit-def: $vgpr91
.LBB101_140:
	ds_read_b32 v91, v78
.LBB101_141:
	s_and_saveexec_b64 s[12:13], s[6:7]
	s_cbranch_execz .LBB101_145
; %bb.142:
	v_mov_b32_e32 v92, 0
	v_add_u32_e32 v92, 0x5c, v92
	v_subrev_u32_e32 v93, 23, v0
	s_movk_i32 s14, 0xfc
	s_mov_b64 s[6:7], 0
.LBB101_143:                            ; =>This Inner Loop Header: Depth=1
	buffer_load_dword v94, v92, s[0:3], 0 offen
	v_mov_b32_e32 v95, s14
	ds_read_b32 v95, v95
	v_add_u32_e32 v93, -1, v93
	s_add_i32 s14, s14, 4
	v_cmp_eq_u32_e32 vcc, 0, v93
	v_add_u32_e32 v92, 4, v92
	s_or_b64 s[6:7], vcc, s[6:7]
	s_waitcnt vmcnt(0) lgkmcnt(0)
	v_fmac_f32_e32 v91, v94, v95
	s_andn2_b64 exec, exec, s[6:7]
	s_cbranch_execnz .LBB101_143
; %bb.144:
	s_or_b64 exec, exec, s[6:7]
.LBB101_145:
	s_or_b64 exec, exec, s[12:13]
	v_mov_b32_e32 v92, 0
	ds_read_b32 v92, v92 offset:88
	s_waitcnt lgkmcnt(0)
	v_mul_f32_e32 v91, v91, v92
	buffer_store_dword v91, off, s[0:3], 0 offset:88
.LBB101_146:
	s_or_b64 exec, exec, s[10:11]
	buffer_load_dword v91, off, s[0:3], 0 offset:84
	v_cmp_lt_u32_e64 s[6:7], 21, v0
	s_waitcnt vmcnt(0)
	ds_write_b32 v78, v91
	s_waitcnt lgkmcnt(0)
	; wave barrier
	s_waitcnt lgkmcnt(0)
	s_and_saveexec_b64 s[10:11], s[6:7]
	s_cbranch_execz .LBB101_156
; %bb.147:
	s_andn2_b64 vcc, exec, s[8:9]
	s_cbranch_vccnz .LBB101_149
; %bb.148:
	buffer_load_dword v91, v79, s[0:3], 0 offen
	ds_read_b32 v92, v78
	s_waitcnt vmcnt(0) lgkmcnt(0)
	v_mul_f32_e32 v91, v91, v92
	s_cbranch_execz .LBB101_150
	s_branch .LBB101_151
.LBB101_149:
                                        ; implicit-def: $vgpr91
.LBB101_150:
	ds_read_b32 v91, v78
.LBB101_151:
	s_and_saveexec_b64 s[12:13], s[4:5]
	s_cbranch_execz .LBB101_155
; %bb.152:
	v_subrev_u32_e32 v92, 22, v0
	s_movk_i32 s14, 0xf8
	s_mov_b64 s[4:5], 0
.LBB101_153:                            ; =>This Inner Loop Header: Depth=1
	buffer_load_dword v93, v90, s[0:3], 0 offen
	v_mov_b32_e32 v94, s14
	ds_read_b32 v94, v94
	v_add_u32_e32 v92, -1, v92
	s_add_i32 s14, s14, 4
	v_cmp_eq_u32_e32 vcc, 0, v92
	v_add_u32_e32 v90, 4, v90
	s_or_b64 s[4:5], vcc, s[4:5]
	s_waitcnt vmcnt(0) lgkmcnt(0)
	v_fmac_f32_e32 v91, v93, v94
	s_andn2_b64 exec, exec, s[4:5]
	s_cbranch_execnz .LBB101_153
; %bb.154:
	s_or_b64 exec, exec, s[4:5]
.LBB101_155:
	s_or_b64 exec, exec, s[12:13]
	v_mov_b32_e32 v90, 0
	ds_read_b32 v90, v90 offset:84
	s_waitcnt lgkmcnt(0)
	v_mul_f32_e32 v90, v91, v90
	buffer_store_dword v90, off, s[0:3], 0 offset:84
.LBB101_156:
	s_or_b64 exec, exec, s[10:11]
	buffer_load_dword v90, off, s[0:3], 0 offset:80
	v_cmp_lt_u32_e64 s[4:5], 20, v0
	s_waitcnt vmcnt(0)
	ds_write_b32 v78, v90
	s_waitcnt lgkmcnt(0)
	; wave barrier
	s_waitcnt lgkmcnt(0)
	s_and_saveexec_b64 s[10:11], s[4:5]
	s_cbranch_execz .LBB101_166
; %bb.157:
	s_andn2_b64 vcc, exec, s[8:9]
	s_cbranch_vccnz .LBB101_159
; %bb.158:
	buffer_load_dword v90, v79, s[0:3], 0 offen
	ds_read_b32 v91, v78
	s_waitcnt vmcnt(0) lgkmcnt(0)
	v_mul_f32_e32 v90, v90, v91
	s_cbranch_execz .LBB101_160
	s_branch .LBB101_161
.LBB101_159:
                                        ; implicit-def: $vgpr90
.LBB101_160:
	ds_read_b32 v90, v78
.LBB101_161:
	s_and_saveexec_b64 s[12:13], s[6:7]
	s_cbranch_execz .LBB101_165
; %bb.162:
	v_mov_b32_e32 v91, 0
	v_add_u32_e32 v91, 0x54, v91
	v_subrev_u32_e32 v92, 21, v0
	s_movk_i32 s14, 0xf4
	s_mov_b64 s[6:7], 0
.LBB101_163:                            ; =>This Inner Loop Header: Depth=1
	buffer_load_dword v93, v91, s[0:3], 0 offen
	v_mov_b32_e32 v94, s14
	ds_read_b32 v94, v94
	v_add_u32_e32 v92, -1, v92
	s_add_i32 s14, s14, 4
	v_cmp_eq_u32_e32 vcc, 0, v92
	v_add_u32_e32 v91, 4, v91
	s_or_b64 s[6:7], vcc, s[6:7]
	s_waitcnt vmcnt(0) lgkmcnt(0)
	v_fmac_f32_e32 v90, v93, v94
	s_andn2_b64 exec, exec, s[6:7]
	s_cbranch_execnz .LBB101_163
; %bb.164:
	s_or_b64 exec, exec, s[6:7]
.LBB101_165:
	s_or_b64 exec, exec, s[12:13]
	v_mov_b32_e32 v91, 0
	ds_read_b32 v91, v91 offset:80
	s_waitcnt lgkmcnt(0)
	v_mul_f32_e32 v90, v90, v91
	buffer_store_dword v90, off, s[0:3], 0 offset:80
.LBB101_166:
	s_or_b64 exec, exec, s[10:11]
	buffer_load_dword v90, off, s[0:3], 0 offset:76
	v_cmp_lt_u32_e64 s[6:7], 19, v0
	s_waitcnt vmcnt(0)
	ds_write_b32 v78, v90
	s_waitcnt lgkmcnt(0)
	; wave barrier
	s_waitcnt lgkmcnt(0)
	s_and_saveexec_b64 s[10:11], s[6:7]
	s_cbranch_execz .LBB101_176
; %bb.167:
	s_andn2_b64 vcc, exec, s[8:9]
	s_cbranch_vccnz .LBB101_169
; %bb.168:
	buffer_load_dword v90, v79, s[0:3], 0 offen
	ds_read_b32 v91, v78
	s_waitcnt vmcnt(0) lgkmcnt(0)
	v_mul_f32_e32 v90, v90, v91
	s_cbranch_execz .LBB101_170
	s_branch .LBB101_171
.LBB101_169:
                                        ; implicit-def: $vgpr90
.LBB101_170:
	ds_read_b32 v90, v78
.LBB101_171:
	s_and_saveexec_b64 s[12:13], s[4:5]
	s_cbranch_execz .LBB101_175
; %bb.172:
	v_subrev_u32_e32 v91, 20, v0
	s_movk_i32 s14, 0xf0
	s_mov_b64 s[4:5], 0
.LBB101_173:                            ; =>This Inner Loop Header: Depth=1
	buffer_load_dword v92, v89, s[0:3], 0 offen
	v_mov_b32_e32 v93, s14
	ds_read_b32 v93, v93
	v_add_u32_e32 v91, -1, v91
	s_add_i32 s14, s14, 4
	v_cmp_eq_u32_e32 vcc, 0, v91
	v_add_u32_e32 v89, 4, v89
	s_or_b64 s[4:5], vcc, s[4:5]
	s_waitcnt vmcnt(0) lgkmcnt(0)
	v_fmac_f32_e32 v90, v92, v93
	s_andn2_b64 exec, exec, s[4:5]
	s_cbranch_execnz .LBB101_173
; %bb.174:
	s_or_b64 exec, exec, s[4:5]
.LBB101_175:
	s_or_b64 exec, exec, s[12:13]
	v_mov_b32_e32 v89, 0
	ds_read_b32 v89, v89 offset:76
	s_waitcnt lgkmcnt(0)
	v_mul_f32_e32 v89, v90, v89
	buffer_store_dword v89, off, s[0:3], 0 offset:76
.LBB101_176:
	s_or_b64 exec, exec, s[10:11]
	buffer_load_dword v89, off, s[0:3], 0 offset:72
	v_cmp_lt_u32_e64 s[4:5], 18, v0
	s_waitcnt vmcnt(0)
	ds_write_b32 v78, v89
	s_waitcnt lgkmcnt(0)
	; wave barrier
	s_waitcnt lgkmcnt(0)
	s_and_saveexec_b64 s[10:11], s[4:5]
	s_cbranch_execz .LBB101_186
; %bb.177:
	s_andn2_b64 vcc, exec, s[8:9]
	s_cbranch_vccnz .LBB101_179
; %bb.178:
	buffer_load_dword v89, v79, s[0:3], 0 offen
	ds_read_b32 v90, v78
	s_waitcnt vmcnt(0) lgkmcnt(0)
	v_mul_f32_e32 v89, v89, v90
	s_cbranch_execz .LBB101_180
	s_branch .LBB101_181
.LBB101_179:
                                        ; implicit-def: $vgpr89
.LBB101_180:
	ds_read_b32 v89, v78
.LBB101_181:
	s_and_saveexec_b64 s[12:13], s[6:7]
	s_cbranch_execz .LBB101_185
; %bb.182:
	v_mov_b32_e32 v90, 0
	v_add_u32_e32 v90, 0x4c, v90
	v_subrev_u32_e32 v91, 19, v0
	s_movk_i32 s14, 0xec
	s_mov_b64 s[6:7], 0
.LBB101_183:                            ; =>This Inner Loop Header: Depth=1
	buffer_load_dword v92, v90, s[0:3], 0 offen
	v_mov_b32_e32 v93, s14
	ds_read_b32 v93, v93
	v_add_u32_e32 v91, -1, v91
	s_add_i32 s14, s14, 4
	v_cmp_eq_u32_e32 vcc, 0, v91
	v_add_u32_e32 v90, 4, v90
	s_or_b64 s[6:7], vcc, s[6:7]
	s_waitcnt vmcnt(0) lgkmcnt(0)
	v_fmac_f32_e32 v89, v92, v93
	s_andn2_b64 exec, exec, s[6:7]
	s_cbranch_execnz .LBB101_183
; %bb.184:
	s_or_b64 exec, exec, s[6:7]
.LBB101_185:
	s_or_b64 exec, exec, s[12:13]
	v_mov_b32_e32 v90, 0
	ds_read_b32 v90, v90 offset:72
	s_waitcnt lgkmcnt(0)
	v_mul_f32_e32 v89, v89, v90
	buffer_store_dword v89, off, s[0:3], 0 offset:72
.LBB101_186:
	s_or_b64 exec, exec, s[10:11]
	buffer_load_dword v89, off, s[0:3], 0 offset:68
	v_cmp_lt_u32_e64 s[6:7], 17, v0
	s_waitcnt vmcnt(0)
	ds_write_b32 v78, v89
	s_waitcnt lgkmcnt(0)
	; wave barrier
	s_waitcnt lgkmcnt(0)
	s_and_saveexec_b64 s[10:11], s[6:7]
	s_cbranch_execz .LBB101_196
; %bb.187:
	s_andn2_b64 vcc, exec, s[8:9]
	s_cbranch_vccnz .LBB101_189
; %bb.188:
	buffer_load_dword v89, v79, s[0:3], 0 offen
	ds_read_b32 v90, v78
	s_waitcnt vmcnt(0) lgkmcnt(0)
	v_mul_f32_e32 v89, v89, v90
	s_cbranch_execz .LBB101_190
	s_branch .LBB101_191
.LBB101_189:
                                        ; implicit-def: $vgpr89
.LBB101_190:
	ds_read_b32 v89, v78
.LBB101_191:
	s_and_saveexec_b64 s[12:13], s[4:5]
	s_cbranch_execz .LBB101_195
; %bb.192:
	v_subrev_u32_e32 v90, 18, v0
	s_movk_i32 s14, 0xe8
	s_mov_b64 s[4:5], 0
.LBB101_193:                            ; =>This Inner Loop Header: Depth=1
	buffer_load_dword v91, v88, s[0:3], 0 offen
	v_mov_b32_e32 v92, s14
	ds_read_b32 v92, v92
	v_add_u32_e32 v90, -1, v90
	s_add_i32 s14, s14, 4
	v_cmp_eq_u32_e32 vcc, 0, v90
	v_add_u32_e32 v88, 4, v88
	s_or_b64 s[4:5], vcc, s[4:5]
	s_waitcnt vmcnt(0) lgkmcnt(0)
	v_fmac_f32_e32 v89, v91, v92
	s_andn2_b64 exec, exec, s[4:5]
	s_cbranch_execnz .LBB101_193
; %bb.194:
	s_or_b64 exec, exec, s[4:5]
.LBB101_195:
	s_or_b64 exec, exec, s[12:13]
	v_mov_b32_e32 v88, 0
	ds_read_b32 v88, v88 offset:68
	s_waitcnt lgkmcnt(0)
	v_mul_f32_e32 v88, v89, v88
	buffer_store_dword v88, off, s[0:3], 0 offset:68
.LBB101_196:
	s_or_b64 exec, exec, s[10:11]
	buffer_load_dword v88, off, s[0:3], 0 offset:64
	v_cmp_lt_u32_e64 s[4:5], 16, v0
	s_waitcnt vmcnt(0)
	ds_write_b32 v78, v88
	s_waitcnt lgkmcnt(0)
	; wave barrier
	s_waitcnt lgkmcnt(0)
	s_and_saveexec_b64 s[10:11], s[4:5]
	s_cbranch_execz .LBB101_206
; %bb.197:
	s_andn2_b64 vcc, exec, s[8:9]
	s_cbranch_vccnz .LBB101_199
; %bb.198:
	buffer_load_dword v88, v79, s[0:3], 0 offen
	ds_read_b32 v89, v78
	s_waitcnt vmcnt(0) lgkmcnt(0)
	v_mul_f32_e32 v88, v88, v89
	s_cbranch_execz .LBB101_200
	s_branch .LBB101_201
.LBB101_199:
                                        ; implicit-def: $vgpr88
.LBB101_200:
	ds_read_b32 v88, v78
.LBB101_201:
	s_and_saveexec_b64 s[12:13], s[6:7]
	s_cbranch_execz .LBB101_205
; %bb.202:
	v_mov_b32_e32 v89, 0
	v_add_u32_e32 v89, 0x44, v89
	v_subrev_u32_e32 v90, 17, v0
	s_movk_i32 s14, 0xe4
	s_mov_b64 s[6:7], 0
.LBB101_203:                            ; =>This Inner Loop Header: Depth=1
	buffer_load_dword v91, v89, s[0:3], 0 offen
	v_mov_b32_e32 v92, s14
	ds_read_b32 v92, v92
	v_add_u32_e32 v90, -1, v90
	s_add_i32 s14, s14, 4
	v_cmp_eq_u32_e32 vcc, 0, v90
	v_add_u32_e32 v89, 4, v89
	s_or_b64 s[6:7], vcc, s[6:7]
	s_waitcnt vmcnt(0) lgkmcnt(0)
	v_fmac_f32_e32 v88, v91, v92
	s_andn2_b64 exec, exec, s[6:7]
	s_cbranch_execnz .LBB101_203
; %bb.204:
	s_or_b64 exec, exec, s[6:7]
.LBB101_205:
	s_or_b64 exec, exec, s[12:13]
	v_mov_b32_e32 v89, 0
	ds_read_b32 v89, v89 offset:64
	s_waitcnt lgkmcnt(0)
	v_mul_f32_e32 v88, v88, v89
	buffer_store_dword v88, off, s[0:3], 0 offset:64
.LBB101_206:
	s_or_b64 exec, exec, s[10:11]
	buffer_load_dword v88, off, s[0:3], 0 offset:60
	v_cmp_lt_u32_e64 s[6:7], 15, v0
	s_waitcnt vmcnt(0)
	ds_write_b32 v78, v88
	s_waitcnt lgkmcnt(0)
	; wave barrier
	s_waitcnt lgkmcnt(0)
	s_and_saveexec_b64 s[10:11], s[6:7]
	s_cbranch_execz .LBB101_216
; %bb.207:
	s_andn2_b64 vcc, exec, s[8:9]
	s_cbranch_vccnz .LBB101_209
; %bb.208:
	buffer_load_dword v88, v79, s[0:3], 0 offen
	ds_read_b32 v89, v78
	s_waitcnt vmcnt(0) lgkmcnt(0)
	v_mul_f32_e32 v88, v88, v89
	s_cbranch_execz .LBB101_210
	s_branch .LBB101_211
.LBB101_209:
                                        ; implicit-def: $vgpr88
.LBB101_210:
	ds_read_b32 v88, v78
.LBB101_211:
	s_and_saveexec_b64 s[12:13], s[4:5]
	s_cbranch_execz .LBB101_215
; %bb.212:
	v_add_u32_e32 v89, -16, v0
	s_movk_i32 s14, 0xe0
	s_mov_b64 s[4:5], 0
.LBB101_213:                            ; =>This Inner Loop Header: Depth=1
	buffer_load_dword v90, v87, s[0:3], 0 offen
	v_mov_b32_e32 v91, s14
	ds_read_b32 v91, v91
	v_add_u32_e32 v89, -1, v89
	s_add_i32 s14, s14, 4
	v_cmp_eq_u32_e32 vcc, 0, v89
	v_add_u32_e32 v87, 4, v87
	s_or_b64 s[4:5], vcc, s[4:5]
	s_waitcnt vmcnt(0) lgkmcnt(0)
	v_fmac_f32_e32 v88, v90, v91
	s_andn2_b64 exec, exec, s[4:5]
	s_cbranch_execnz .LBB101_213
; %bb.214:
	s_or_b64 exec, exec, s[4:5]
.LBB101_215:
	s_or_b64 exec, exec, s[12:13]
	v_mov_b32_e32 v87, 0
	ds_read_b32 v87, v87 offset:60
	s_waitcnt lgkmcnt(0)
	v_mul_f32_e32 v87, v88, v87
	buffer_store_dword v87, off, s[0:3], 0 offset:60
.LBB101_216:
	s_or_b64 exec, exec, s[10:11]
	buffer_load_dword v87, off, s[0:3], 0 offset:56
	v_cmp_lt_u32_e64 s[4:5], 14, v0
	s_waitcnt vmcnt(0)
	ds_write_b32 v78, v87
	s_waitcnt lgkmcnt(0)
	; wave barrier
	s_waitcnt lgkmcnt(0)
	s_and_saveexec_b64 s[10:11], s[4:5]
	s_cbranch_execz .LBB101_226
; %bb.217:
	s_andn2_b64 vcc, exec, s[8:9]
	s_cbranch_vccnz .LBB101_219
; %bb.218:
	buffer_load_dword v87, v79, s[0:3], 0 offen
	ds_read_b32 v88, v78
	s_waitcnt vmcnt(0) lgkmcnt(0)
	v_mul_f32_e32 v87, v87, v88
	s_cbranch_execz .LBB101_220
	s_branch .LBB101_221
.LBB101_219:
                                        ; implicit-def: $vgpr87
.LBB101_220:
	ds_read_b32 v87, v78
.LBB101_221:
	s_and_saveexec_b64 s[12:13], s[6:7]
	s_cbranch_execz .LBB101_225
; %bb.222:
	v_mov_b32_e32 v88, 0
	v_add_u32_e32 v88, 60, v88
	v_add_u32_e32 v89, -15, v0
	s_movk_i32 s14, 0xdc
	s_mov_b64 s[6:7], 0
.LBB101_223:                            ; =>This Inner Loop Header: Depth=1
	buffer_load_dword v90, v88, s[0:3], 0 offen
	v_mov_b32_e32 v91, s14
	ds_read_b32 v91, v91
	v_add_u32_e32 v89, -1, v89
	s_add_i32 s14, s14, 4
	v_cmp_eq_u32_e32 vcc, 0, v89
	v_add_u32_e32 v88, 4, v88
	s_or_b64 s[6:7], vcc, s[6:7]
	s_waitcnt vmcnt(0) lgkmcnt(0)
	v_fmac_f32_e32 v87, v90, v91
	s_andn2_b64 exec, exec, s[6:7]
	s_cbranch_execnz .LBB101_223
; %bb.224:
	s_or_b64 exec, exec, s[6:7]
.LBB101_225:
	s_or_b64 exec, exec, s[12:13]
	v_mov_b32_e32 v88, 0
	ds_read_b32 v88, v88 offset:56
	s_waitcnt lgkmcnt(0)
	v_mul_f32_e32 v87, v87, v88
	buffer_store_dword v87, off, s[0:3], 0 offset:56
.LBB101_226:
	s_or_b64 exec, exec, s[10:11]
	buffer_load_dword v87, off, s[0:3], 0 offset:52
	v_cmp_lt_u32_e64 s[6:7], 13, v0
	s_waitcnt vmcnt(0)
	ds_write_b32 v78, v87
	s_waitcnt lgkmcnt(0)
	; wave barrier
	s_waitcnt lgkmcnt(0)
	s_and_saveexec_b64 s[10:11], s[6:7]
	s_cbranch_execz .LBB101_236
; %bb.227:
	s_andn2_b64 vcc, exec, s[8:9]
	s_cbranch_vccnz .LBB101_229
; %bb.228:
	buffer_load_dword v87, v79, s[0:3], 0 offen
	ds_read_b32 v88, v78
	s_waitcnt vmcnt(0) lgkmcnt(0)
	v_mul_f32_e32 v87, v87, v88
	s_cbranch_execz .LBB101_230
	s_branch .LBB101_231
.LBB101_229:
                                        ; implicit-def: $vgpr87
.LBB101_230:
	ds_read_b32 v87, v78
.LBB101_231:
	s_and_saveexec_b64 s[12:13], s[4:5]
	s_cbranch_execz .LBB101_235
; %bb.232:
	v_add_u32_e32 v88, -14, v0
	s_movk_i32 s14, 0xd8
	s_mov_b64 s[4:5], 0
.LBB101_233:                            ; =>This Inner Loop Header: Depth=1
	buffer_load_dword v89, v86, s[0:3], 0 offen
	v_mov_b32_e32 v90, s14
	ds_read_b32 v90, v90
	v_add_u32_e32 v88, -1, v88
	s_add_i32 s14, s14, 4
	v_cmp_eq_u32_e32 vcc, 0, v88
	v_add_u32_e32 v86, 4, v86
	s_or_b64 s[4:5], vcc, s[4:5]
	s_waitcnt vmcnt(0) lgkmcnt(0)
	v_fmac_f32_e32 v87, v89, v90
	s_andn2_b64 exec, exec, s[4:5]
	s_cbranch_execnz .LBB101_233
; %bb.234:
	s_or_b64 exec, exec, s[4:5]
.LBB101_235:
	s_or_b64 exec, exec, s[12:13]
	v_mov_b32_e32 v86, 0
	ds_read_b32 v86, v86 offset:52
	s_waitcnt lgkmcnt(0)
	v_mul_f32_e32 v86, v87, v86
	buffer_store_dword v86, off, s[0:3], 0 offset:52
.LBB101_236:
	s_or_b64 exec, exec, s[10:11]
	buffer_load_dword v86, off, s[0:3], 0 offset:48
	v_cmp_lt_u32_e64 s[4:5], 12, v0
	s_waitcnt vmcnt(0)
	ds_write_b32 v78, v86
	s_waitcnt lgkmcnt(0)
	; wave barrier
	s_waitcnt lgkmcnt(0)
	s_and_saveexec_b64 s[10:11], s[4:5]
	s_cbranch_execz .LBB101_246
; %bb.237:
	s_andn2_b64 vcc, exec, s[8:9]
	s_cbranch_vccnz .LBB101_239
; %bb.238:
	buffer_load_dword v86, v79, s[0:3], 0 offen
	ds_read_b32 v87, v78
	s_waitcnt vmcnt(0) lgkmcnt(0)
	v_mul_f32_e32 v86, v86, v87
	s_cbranch_execz .LBB101_240
	s_branch .LBB101_241
.LBB101_239:
                                        ; implicit-def: $vgpr86
.LBB101_240:
	ds_read_b32 v86, v78
.LBB101_241:
	s_and_saveexec_b64 s[12:13], s[6:7]
	s_cbranch_execz .LBB101_245
; %bb.242:
	v_mov_b32_e32 v87, 0
	v_add_u32_e32 v87, 52, v87
	v_add_u32_e32 v88, -13, v0
	s_movk_i32 s14, 0xd4
	s_mov_b64 s[6:7], 0
.LBB101_243:                            ; =>This Inner Loop Header: Depth=1
	buffer_load_dword v89, v87, s[0:3], 0 offen
	v_mov_b32_e32 v90, s14
	ds_read_b32 v90, v90
	v_add_u32_e32 v88, -1, v88
	s_add_i32 s14, s14, 4
	v_cmp_eq_u32_e32 vcc, 0, v88
	v_add_u32_e32 v87, 4, v87
	s_or_b64 s[6:7], vcc, s[6:7]
	s_waitcnt vmcnt(0) lgkmcnt(0)
	v_fmac_f32_e32 v86, v89, v90
	s_andn2_b64 exec, exec, s[6:7]
	s_cbranch_execnz .LBB101_243
; %bb.244:
	s_or_b64 exec, exec, s[6:7]
.LBB101_245:
	s_or_b64 exec, exec, s[12:13]
	v_mov_b32_e32 v87, 0
	ds_read_b32 v87, v87 offset:48
	s_waitcnt lgkmcnt(0)
	v_mul_f32_e32 v86, v86, v87
	buffer_store_dword v86, off, s[0:3], 0 offset:48
.LBB101_246:
	s_or_b64 exec, exec, s[10:11]
	buffer_load_dword v86, off, s[0:3], 0 offset:44
	v_cmp_lt_u32_e64 s[6:7], 11, v0
	s_waitcnt vmcnt(0)
	ds_write_b32 v78, v86
	s_waitcnt lgkmcnt(0)
	; wave barrier
	s_waitcnt lgkmcnt(0)
	s_and_saveexec_b64 s[10:11], s[6:7]
	s_cbranch_execz .LBB101_256
; %bb.247:
	s_andn2_b64 vcc, exec, s[8:9]
	s_cbranch_vccnz .LBB101_249
; %bb.248:
	buffer_load_dword v86, v79, s[0:3], 0 offen
	ds_read_b32 v87, v78
	s_waitcnt vmcnt(0) lgkmcnt(0)
	v_mul_f32_e32 v86, v86, v87
	s_cbranch_execz .LBB101_250
	s_branch .LBB101_251
.LBB101_249:
                                        ; implicit-def: $vgpr86
.LBB101_250:
	ds_read_b32 v86, v78
.LBB101_251:
	s_and_saveexec_b64 s[12:13], s[4:5]
	s_cbranch_execz .LBB101_255
; %bb.252:
	v_add_u32_e32 v87, -12, v0
	s_movk_i32 s14, 0xd0
	s_mov_b64 s[4:5], 0
.LBB101_253:                            ; =>This Inner Loop Header: Depth=1
	buffer_load_dword v88, v85, s[0:3], 0 offen
	v_mov_b32_e32 v89, s14
	ds_read_b32 v89, v89
	v_add_u32_e32 v87, -1, v87
	s_add_i32 s14, s14, 4
	v_cmp_eq_u32_e32 vcc, 0, v87
	v_add_u32_e32 v85, 4, v85
	s_or_b64 s[4:5], vcc, s[4:5]
	s_waitcnt vmcnt(0) lgkmcnt(0)
	v_fmac_f32_e32 v86, v88, v89
	s_andn2_b64 exec, exec, s[4:5]
	s_cbranch_execnz .LBB101_253
; %bb.254:
	s_or_b64 exec, exec, s[4:5]
.LBB101_255:
	s_or_b64 exec, exec, s[12:13]
	v_mov_b32_e32 v85, 0
	ds_read_b32 v85, v85 offset:44
	s_waitcnt lgkmcnt(0)
	v_mul_f32_e32 v85, v86, v85
	buffer_store_dword v85, off, s[0:3], 0 offset:44
.LBB101_256:
	s_or_b64 exec, exec, s[10:11]
	buffer_load_dword v85, off, s[0:3], 0 offset:40
	v_cmp_lt_u32_e64 s[4:5], 10, v0
	s_waitcnt vmcnt(0)
	ds_write_b32 v78, v85
	s_waitcnt lgkmcnt(0)
	; wave barrier
	s_waitcnt lgkmcnt(0)
	s_and_saveexec_b64 s[10:11], s[4:5]
	s_cbranch_execz .LBB101_266
; %bb.257:
	s_andn2_b64 vcc, exec, s[8:9]
	s_cbranch_vccnz .LBB101_259
; %bb.258:
	buffer_load_dword v85, v79, s[0:3], 0 offen
	ds_read_b32 v86, v78
	s_waitcnt vmcnt(0) lgkmcnt(0)
	v_mul_f32_e32 v85, v85, v86
	s_cbranch_execz .LBB101_260
	s_branch .LBB101_261
.LBB101_259:
                                        ; implicit-def: $vgpr85
.LBB101_260:
	ds_read_b32 v85, v78
.LBB101_261:
	s_and_saveexec_b64 s[12:13], s[6:7]
	s_cbranch_execz .LBB101_265
; %bb.262:
	v_mov_b32_e32 v86, 0
	v_add_u32_e32 v86, 44, v86
	v_add_u32_e32 v87, -11, v0
	s_movk_i32 s14, 0xcc
	s_mov_b64 s[6:7], 0
.LBB101_263:                            ; =>This Inner Loop Header: Depth=1
	buffer_load_dword v88, v86, s[0:3], 0 offen
	v_mov_b32_e32 v89, s14
	ds_read_b32 v89, v89
	v_add_u32_e32 v87, -1, v87
	s_add_i32 s14, s14, 4
	v_cmp_eq_u32_e32 vcc, 0, v87
	v_add_u32_e32 v86, 4, v86
	s_or_b64 s[6:7], vcc, s[6:7]
	s_waitcnt vmcnt(0) lgkmcnt(0)
	v_fmac_f32_e32 v85, v88, v89
	s_andn2_b64 exec, exec, s[6:7]
	s_cbranch_execnz .LBB101_263
; %bb.264:
	s_or_b64 exec, exec, s[6:7]
.LBB101_265:
	s_or_b64 exec, exec, s[12:13]
	v_mov_b32_e32 v86, 0
	ds_read_b32 v86, v86 offset:40
	s_waitcnt lgkmcnt(0)
	v_mul_f32_e32 v85, v85, v86
	buffer_store_dword v85, off, s[0:3], 0 offset:40
.LBB101_266:
	s_or_b64 exec, exec, s[10:11]
	buffer_load_dword v85, off, s[0:3], 0 offset:36
	v_cmp_lt_u32_e64 s[6:7], 9, v0
	s_waitcnt vmcnt(0)
	ds_write_b32 v78, v85
	s_waitcnt lgkmcnt(0)
	; wave barrier
	s_waitcnt lgkmcnt(0)
	s_and_saveexec_b64 s[10:11], s[6:7]
	s_cbranch_execz .LBB101_276
; %bb.267:
	s_andn2_b64 vcc, exec, s[8:9]
	s_cbranch_vccnz .LBB101_269
; %bb.268:
	buffer_load_dword v85, v79, s[0:3], 0 offen
	ds_read_b32 v86, v78
	s_waitcnt vmcnt(0) lgkmcnt(0)
	v_mul_f32_e32 v85, v85, v86
	s_cbranch_execz .LBB101_270
	s_branch .LBB101_271
.LBB101_269:
                                        ; implicit-def: $vgpr85
.LBB101_270:
	ds_read_b32 v85, v78
.LBB101_271:
	s_and_saveexec_b64 s[12:13], s[4:5]
	s_cbranch_execz .LBB101_275
; %bb.272:
	v_add_u32_e32 v86, -10, v0
	s_movk_i32 s14, 0xc8
	s_mov_b64 s[4:5], 0
.LBB101_273:                            ; =>This Inner Loop Header: Depth=1
	buffer_load_dword v87, v84, s[0:3], 0 offen
	v_mov_b32_e32 v88, s14
	ds_read_b32 v88, v88
	v_add_u32_e32 v86, -1, v86
	s_add_i32 s14, s14, 4
	v_cmp_eq_u32_e32 vcc, 0, v86
	v_add_u32_e32 v84, 4, v84
	s_or_b64 s[4:5], vcc, s[4:5]
	s_waitcnt vmcnt(0) lgkmcnt(0)
	v_fmac_f32_e32 v85, v87, v88
	s_andn2_b64 exec, exec, s[4:5]
	s_cbranch_execnz .LBB101_273
; %bb.274:
	s_or_b64 exec, exec, s[4:5]
.LBB101_275:
	s_or_b64 exec, exec, s[12:13]
	v_mov_b32_e32 v84, 0
	ds_read_b32 v84, v84 offset:36
	s_waitcnt lgkmcnt(0)
	v_mul_f32_e32 v84, v85, v84
	buffer_store_dword v84, off, s[0:3], 0 offset:36
.LBB101_276:
	s_or_b64 exec, exec, s[10:11]
	buffer_load_dword v84, off, s[0:3], 0 offset:32
	v_cmp_lt_u32_e64 s[4:5], 8, v0
	s_waitcnt vmcnt(0)
	ds_write_b32 v78, v84
	s_waitcnt lgkmcnt(0)
	; wave barrier
	s_waitcnt lgkmcnt(0)
	s_and_saveexec_b64 s[10:11], s[4:5]
	s_cbranch_execz .LBB101_286
; %bb.277:
	s_andn2_b64 vcc, exec, s[8:9]
	s_cbranch_vccnz .LBB101_279
; %bb.278:
	buffer_load_dword v84, v79, s[0:3], 0 offen
	ds_read_b32 v85, v78
	s_waitcnt vmcnt(0) lgkmcnt(0)
	v_mul_f32_e32 v84, v84, v85
	s_cbranch_execz .LBB101_280
	s_branch .LBB101_281
.LBB101_279:
                                        ; implicit-def: $vgpr84
.LBB101_280:
	ds_read_b32 v84, v78
.LBB101_281:
	s_and_saveexec_b64 s[12:13], s[6:7]
	s_cbranch_execz .LBB101_285
; %bb.282:
	v_mov_b32_e32 v85, 0
	v_add_u32_e32 v85, 36, v85
	v_add_u32_e32 v86, -9, v0
	s_movk_i32 s14, 0xc4
	s_mov_b64 s[6:7], 0
.LBB101_283:                            ; =>This Inner Loop Header: Depth=1
	buffer_load_dword v87, v85, s[0:3], 0 offen
	v_mov_b32_e32 v88, s14
	ds_read_b32 v88, v88
	v_add_u32_e32 v86, -1, v86
	s_add_i32 s14, s14, 4
	v_cmp_eq_u32_e32 vcc, 0, v86
	v_add_u32_e32 v85, 4, v85
	s_or_b64 s[6:7], vcc, s[6:7]
	s_waitcnt vmcnt(0) lgkmcnt(0)
	v_fmac_f32_e32 v84, v87, v88
	s_andn2_b64 exec, exec, s[6:7]
	s_cbranch_execnz .LBB101_283
; %bb.284:
	s_or_b64 exec, exec, s[6:7]
.LBB101_285:
	s_or_b64 exec, exec, s[12:13]
	v_mov_b32_e32 v85, 0
	ds_read_b32 v85, v85 offset:32
	s_waitcnt lgkmcnt(0)
	v_mul_f32_e32 v84, v84, v85
	buffer_store_dword v84, off, s[0:3], 0 offset:32
.LBB101_286:
	s_or_b64 exec, exec, s[10:11]
	buffer_load_dword v84, off, s[0:3], 0 offset:28
	v_cmp_lt_u32_e64 s[6:7], 7, v0
	s_waitcnt vmcnt(0)
	ds_write_b32 v78, v84
	s_waitcnt lgkmcnt(0)
	; wave barrier
	s_waitcnt lgkmcnt(0)
	s_and_saveexec_b64 s[10:11], s[6:7]
	s_cbranch_execz .LBB101_296
; %bb.287:
	s_andn2_b64 vcc, exec, s[8:9]
	s_cbranch_vccnz .LBB101_289
; %bb.288:
	buffer_load_dword v84, v79, s[0:3], 0 offen
	ds_read_b32 v85, v78
	s_waitcnt vmcnt(0) lgkmcnt(0)
	v_mul_f32_e32 v84, v84, v85
	s_cbranch_execz .LBB101_290
	s_branch .LBB101_291
.LBB101_289:
                                        ; implicit-def: $vgpr84
.LBB101_290:
	ds_read_b32 v84, v78
.LBB101_291:
	s_and_saveexec_b64 s[12:13], s[4:5]
	s_cbranch_execz .LBB101_295
; %bb.292:
	v_add_u32_e32 v85, -8, v0
	s_movk_i32 s14, 0xc0
	s_mov_b64 s[4:5], 0
.LBB101_293:                            ; =>This Inner Loop Header: Depth=1
	buffer_load_dword v86, v83, s[0:3], 0 offen
	v_mov_b32_e32 v87, s14
	ds_read_b32 v87, v87
	v_add_u32_e32 v85, -1, v85
	s_add_i32 s14, s14, 4
	v_cmp_eq_u32_e32 vcc, 0, v85
	v_add_u32_e32 v83, 4, v83
	s_or_b64 s[4:5], vcc, s[4:5]
	s_waitcnt vmcnt(0) lgkmcnt(0)
	v_fmac_f32_e32 v84, v86, v87
	s_andn2_b64 exec, exec, s[4:5]
	s_cbranch_execnz .LBB101_293
; %bb.294:
	s_or_b64 exec, exec, s[4:5]
.LBB101_295:
	s_or_b64 exec, exec, s[12:13]
	v_mov_b32_e32 v83, 0
	ds_read_b32 v83, v83 offset:28
	s_waitcnt lgkmcnt(0)
	v_mul_f32_e32 v83, v84, v83
	buffer_store_dword v83, off, s[0:3], 0 offset:28
.LBB101_296:
	s_or_b64 exec, exec, s[10:11]
	buffer_load_dword v83, off, s[0:3], 0 offset:24
	v_cmp_lt_u32_e64 s[4:5], 6, v0
	s_waitcnt vmcnt(0)
	ds_write_b32 v78, v83
	s_waitcnt lgkmcnt(0)
	; wave barrier
	s_waitcnt lgkmcnt(0)
	s_and_saveexec_b64 s[10:11], s[4:5]
	s_cbranch_execz .LBB101_306
; %bb.297:
	s_andn2_b64 vcc, exec, s[8:9]
	s_cbranch_vccnz .LBB101_299
; %bb.298:
	buffer_load_dword v83, v79, s[0:3], 0 offen
	ds_read_b32 v84, v78
	s_waitcnt vmcnt(0) lgkmcnt(0)
	v_mul_f32_e32 v83, v83, v84
	s_cbranch_execz .LBB101_300
	s_branch .LBB101_301
.LBB101_299:
                                        ; implicit-def: $vgpr83
.LBB101_300:
	ds_read_b32 v83, v78
.LBB101_301:
	s_and_saveexec_b64 s[12:13], s[6:7]
	s_cbranch_execz .LBB101_305
; %bb.302:
	v_mov_b32_e32 v84, 0
	v_add_u32_e32 v84, 28, v84
	v_add_u32_e32 v85, -7, v0
	s_movk_i32 s14, 0xbc
	s_mov_b64 s[6:7], 0
.LBB101_303:                            ; =>This Inner Loop Header: Depth=1
	buffer_load_dword v86, v84, s[0:3], 0 offen
	v_mov_b32_e32 v87, s14
	ds_read_b32 v87, v87
	v_add_u32_e32 v85, -1, v85
	s_add_i32 s14, s14, 4
	v_cmp_eq_u32_e32 vcc, 0, v85
	v_add_u32_e32 v84, 4, v84
	s_or_b64 s[6:7], vcc, s[6:7]
	s_waitcnt vmcnt(0) lgkmcnt(0)
	v_fmac_f32_e32 v83, v86, v87
	s_andn2_b64 exec, exec, s[6:7]
	s_cbranch_execnz .LBB101_303
; %bb.304:
	s_or_b64 exec, exec, s[6:7]
.LBB101_305:
	s_or_b64 exec, exec, s[12:13]
	v_mov_b32_e32 v84, 0
	ds_read_b32 v84, v84 offset:24
	s_waitcnt lgkmcnt(0)
	v_mul_f32_e32 v83, v83, v84
	buffer_store_dword v83, off, s[0:3], 0 offset:24
.LBB101_306:
	s_or_b64 exec, exec, s[10:11]
	buffer_load_dword v83, off, s[0:3], 0 offset:20
	v_cmp_lt_u32_e64 s[6:7], 5, v0
	s_waitcnt vmcnt(0)
	ds_write_b32 v78, v83
	s_waitcnt lgkmcnt(0)
	; wave barrier
	s_waitcnt lgkmcnt(0)
	s_and_saveexec_b64 s[10:11], s[6:7]
	s_cbranch_execz .LBB101_316
; %bb.307:
	s_andn2_b64 vcc, exec, s[8:9]
	s_cbranch_vccnz .LBB101_309
; %bb.308:
	buffer_load_dword v83, v79, s[0:3], 0 offen
	ds_read_b32 v84, v78
	s_waitcnt vmcnt(0) lgkmcnt(0)
	v_mul_f32_e32 v83, v83, v84
	s_cbranch_execz .LBB101_310
	s_branch .LBB101_311
.LBB101_309:
                                        ; implicit-def: $vgpr83
.LBB101_310:
	ds_read_b32 v83, v78
.LBB101_311:
	s_and_saveexec_b64 s[12:13], s[4:5]
	s_cbranch_execz .LBB101_315
; %bb.312:
	v_add_u32_e32 v84, -6, v0
	s_movk_i32 s14, 0xb8
	s_mov_b64 s[4:5], 0
.LBB101_313:                            ; =>This Inner Loop Header: Depth=1
	buffer_load_dword v85, v82, s[0:3], 0 offen
	v_mov_b32_e32 v86, s14
	ds_read_b32 v86, v86
	v_add_u32_e32 v84, -1, v84
	s_add_i32 s14, s14, 4
	v_cmp_eq_u32_e32 vcc, 0, v84
	v_add_u32_e32 v82, 4, v82
	s_or_b64 s[4:5], vcc, s[4:5]
	s_waitcnt vmcnt(0) lgkmcnt(0)
	v_fmac_f32_e32 v83, v85, v86
	s_andn2_b64 exec, exec, s[4:5]
	s_cbranch_execnz .LBB101_313
; %bb.314:
	s_or_b64 exec, exec, s[4:5]
.LBB101_315:
	s_or_b64 exec, exec, s[12:13]
	v_mov_b32_e32 v82, 0
	ds_read_b32 v82, v82 offset:20
	s_waitcnt lgkmcnt(0)
	v_mul_f32_e32 v82, v83, v82
	buffer_store_dword v82, off, s[0:3], 0 offset:20
.LBB101_316:
	s_or_b64 exec, exec, s[10:11]
	buffer_load_dword v82, off, s[0:3], 0 offset:16
	v_cmp_lt_u32_e64 s[4:5], 4, v0
	s_waitcnt vmcnt(0)
	ds_write_b32 v78, v82
	s_waitcnt lgkmcnt(0)
	; wave barrier
	s_waitcnt lgkmcnt(0)
	s_and_saveexec_b64 s[10:11], s[4:5]
	s_cbranch_execz .LBB101_326
; %bb.317:
	s_andn2_b64 vcc, exec, s[8:9]
	s_cbranch_vccnz .LBB101_319
; %bb.318:
	buffer_load_dword v82, v79, s[0:3], 0 offen
	ds_read_b32 v83, v78
	s_waitcnt vmcnt(0) lgkmcnt(0)
	v_mul_f32_e32 v82, v82, v83
	s_cbranch_execz .LBB101_320
	s_branch .LBB101_321
.LBB101_319:
                                        ; implicit-def: $vgpr82
.LBB101_320:
	ds_read_b32 v82, v78
.LBB101_321:
	s_and_saveexec_b64 s[12:13], s[6:7]
	s_cbranch_execz .LBB101_325
; %bb.322:
	v_mov_b32_e32 v83, 0
	v_add_u32_e32 v83, 20, v83
	v_add_u32_e32 v84, -5, v0
	s_movk_i32 s14, 0xb4
	s_mov_b64 s[6:7], 0
.LBB101_323:                            ; =>This Inner Loop Header: Depth=1
	buffer_load_dword v85, v83, s[0:3], 0 offen
	v_mov_b32_e32 v86, s14
	ds_read_b32 v86, v86
	v_add_u32_e32 v84, -1, v84
	s_add_i32 s14, s14, 4
	v_cmp_eq_u32_e32 vcc, 0, v84
	v_add_u32_e32 v83, 4, v83
	s_or_b64 s[6:7], vcc, s[6:7]
	s_waitcnt vmcnt(0) lgkmcnt(0)
	v_fmac_f32_e32 v82, v85, v86
	s_andn2_b64 exec, exec, s[6:7]
	s_cbranch_execnz .LBB101_323
; %bb.324:
	s_or_b64 exec, exec, s[6:7]
.LBB101_325:
	s_or_b64 exec, exec, s[12:13]
	v_mov_b32_e32 v83, 0
	ds_read_b32 v83, v83 offset:16
	s_waitcnt lgkmcnt(0)
	v_mul_f32_e32 v82, v82, v83
	buffer_store_dword v82, off, s[0:3], 0 offset:16
.LBB101_326:
	s_or_b64 exec, exec, s[10:11]
	buffer_load_dword v82, off, s[0:3], 0 offset:12
	v_cmp_lt_u32_e64 s[6:7], 3, v0
	s_waitcnt vmcnt(0)
	ds_write_b32 v78, v82
	s_waitcnt lgkmcnt(0)
	; wave barrier
	s_waitcnt lgkmcnt(0)
	s_and_saveexec_b64 s[10:11], s[6:7]
	s_cbranch_execz .LBB101_336
; %bb.327:
	s_andn2_b64 vcc, exec, s[8:9]
	s_cbranch_vccnz .LBB101_329
; %bb.328:
	buffer_load_dword v82, v79, s[0:3], 0 offen
	ds_read_b32 v83, v78
	s_waitcnt vmcnt(0) lgkmcnt(0)
	v_mul_f32_e32 v82, v82, v83
	s_cbranch_execz .LBB101_330
	s_branch .LBB101_331
.LBB101_329:
                                        ; implicit-def: $vgpr82
.LBB101_330:
	ds_read_b32 v82, v78
.LBB101_331:
	s_and_saveexec_b64 s[12:13], s[4:5]
	s_cbranch_execz .LBB101_335
; %bb.332:
	v_add_u32_e32 v83, -4, v0
	s_movk_i32 s14, 0xb0
	s_mov_b64 s[4:5], 0
.LBB101_333:                            ; =>This Inner Loop Header: Depth=1
	buffer_load_dword v84, v81, s[0:3], 0 offen
	v_mov_b32_e32 v85, s14
	ds_read_b32 v85, v85
	v_add_u32_e32 v83, -1, v83
	s_add_i32 s14, s14, 4
	v_cmp_eq_u32_e32 vcc, 0, v83
	v_add_u32_e32 v81, 4, v81
	s_or_b64 s[4:5], vcc, s[4:5]
	s_waitcnt vmcnt(0) lgkmcnt(0)
	v_fmac_f32_e32 v82, v84, v85
	s_andn2_b64 exec, exec, s[4:5]
	s_cbranch_execnz .LBB101_333
; %bb.334:
	s_or_b64 exec, exec, s[4:5]
.LBB101_335:
	s_or_b64 exec, exec, s[12:13]
	v_mov_b32_e32 v81, 0
	ds_read_b32 v81, v81 offset:12
	s_waitcnt lgkmcnt(0)
	v_mul_f32_e32 v81, v82, v81
	buffer_store_dword v81, off, s[0:3], 0 offset:12
.LBB101_336:
	s_or_b64 exec, exec, s[10:11]
	buffer_load_dword v81, off, s[0:3], 0 offset:8
	v_cmp_lt_u32_e64 s[4:5], 2, v0
	s_waitcnt vmcnt(0)
	ds_write_b32 v78, v81
	s_waitcnt lgkmcnt(0)
	; wave barrier
	s_waitcnt lgkmcnt(0)
	s_and_saveexec_b64 s[10:11], s[4:5]
	s_cbranch_execz .LBB101_346
; %bb.337:
	s_andn2_b64 vcc, exec, s[8:9]
	s_cbranch_vccnz .LBB101_339
; %bb.338:
	buffer_load_dword v81, v79, s[0:3], 0 offen
	ds_read_b32 v82, v78
	s_waitcnt vmcnt(0) lgkmcnt(0)
	v_mul_f32_e32 v81, v81, v82
	s_cbranch_execz .LBB101_340
	s_branch .LBB101_341
.LBB101_339:
                                        ; implicit-def: $vgpr81
.LBB101_340:
	ds_read_b32 v81, v78
.LBB101_341:
	s_and_saveexec_b64 s[12:13], s[6:7]
	s_cbranch_execz .LBB101_345
; %bb.342:
	v_mov_b32_e32 v82, 0
	v_or_b32_e32 v82, 12, v82
	v_add_u32_e32 v83, -3, v0
	s_movk_i32 s14, 0xac
	s_mov_b64 s[6:7], 0
.LBB101_343:                            ; =>This Inner Loop Header: Depth=1
	buffer_load_dword v84, v82, s[0:3], 0 offen
	v_mov_b32_e32 v85, s14
	ds_read_b32 v85, v85
	v_add_u32_e32 v83, -1, v83
	s_add_i32 s14, s14, 4
	v_cmp_eq_u32_e32 vcc, 0, v83
	v_add_u32_e32 v82, 4, v82
	s_or_b64 s[6:7], vcc, s[6:7]
	s_waitcnt vmcnt(0) lgkmcnt(0)
	v_fmac_f32_e32 v81, v84, v85
	s_andn2_b64 exec, exec, s[6:7]
	s_cbranch_execnz .LBB101_343
; %bb.344:
	s_or_b64 exec, exec, s[6:7]
.LBB101_345:
	s_or_b64 exec, exec, s[12:13]
	v_mov_b32_e32 v82, 0
	ds_read_b32 v82, v82 offset:8
	s_waitcnt lgkmcnt(0)
	v_mul_f32_e32 v81, v81, v82
	buffer_store_dword v81, off, s[0:3], 0 offset:8
.LBB101_346:
	s_or_b64 exec, exec, s[10:11]
	buffer_load_dword v81, off, s[0:3], 0 offset:4
	v_cmp_lt_u32_e64 s[6:7], 1, v0
	s_waitcnt vmcnt(0)
	ds_write_b32 v78, v81
	s_waitcnt lgkmcnt(0)
	; wave barrier
	s_waitcnt lgkmcnt(0)
	s_and_saveexec_b64 s[10:11], s[6:7]
	s_cbranch_execz .LBB101_356
; %bb.347:
	s_andn2_b64 vcc, exec, s[8:9]
	s_cbranch_vccnz .LBB101_349
; %bb.348:
	buffer_load_dword v81, v79, s[0:3], 0 offen
	ds_read_b32 v82, v78
	s_waitcnt vmcnt(0) lgkmcnt(0)
	v_mul_f32_e32 v81, v81, v82
	s_cbranch_execz .LBB101_350
	s_branch .LBB101_351
.LBB101_349:
                                        ; implicit-def: $vgpr81
.LBB101_350:
	ds_read_b32 v81, v78
.LBB101_351:
	s_and_saveexec_b64 s[12:13], s[4:5]
	s_cbranch_execz .LBB101_355
; %bb.352:
	v_add_u32_e32 v82, -2, v0
	s_movk_i32 s14, 0xa8
	s_mov_b64 s[4:5], 0
.LBB101_353:                            ; =>This Inner Loop Header: Depth=1
	buffer_load_dword v83, v80, s[0:3], 0 offen
	v_mov_b32_e32 v84, s14
	ds_read_b32 v84, v84
	v_add_u32_e32 v82, -1, v82
	s_add_i32 s14, s14, 4
	v_cmp_eq_u32_e32 vcc, 0, v82
	v_add_u32_e32 v80, 4, v80
	s_or_b64 s[4:5], vcc, s[4:5]
	s_waitcnt vmcnt(0) lgkmcnt(0)
	v_fmac_f32_e32 v81, v83, v84
	s_andn2_b64 exec, exec, s[4:5]
	s_cbranch_execnz .LBB101_353
; %bb.354:
	s_or_b64 exec, exec, s[4:5]
.LBB101_355:
	s_or_b64 exec, exec, s[12:13]
	v_mov_b32_e32 v80, 0
	ds_read_b32 v80, v80 offset:4
	s_waitcnt lgkmcnt(0)
	v_mul_f32_e32 v80, v81, v80
	buffer_store_dword v80, off, s[0:3], 0 offset:4
.LBB101_356:
	s_or_b64 exec, exec, s[10:11]
	buffer_load_dword v80, off, s[0:3], 0
	v_cmp_ne_u32_e32 vcc, 0, v0
	s_waitcnt vmcnt(0)
	ds_write_b32 v78, v80
	s_waitcnt lgkmcnt(0)
	; wave barrier
	s_waitcnt lgkmcnt(0)
	s_and_saveexec_b64 s[4:5], vcc
	s_cbranch_execz .LBB101_366
; %bb.357:
	s_andn2_b64 vcc, exec, s[8:9]
	s_cbranch_vccnz .LBB101_359
; %bb.358:
	buffer_load_dword v80, v79, s[0:3], 0 offen
	ds_read_b32 v81, v78
	s_waitcnt vmcnt(0) lgkmcnt(0)
	v_mul_f32_e32 v80, v80, v81
	s_cbranch_execz .LBB101_360
	s_branch .LBB101_361
.LBB101_359:
                                        ; implicit-def: $vgpr80
.LBB101_360:
	ds_read_b32 v80, v78
.LBB101_361:
	s_and_saveexec_b64 s[10:11], s[6:7]
	s_cbranch_execz .LBB101_365
; %bb.362:
	v_mov_b32_e32 v81, 0
	v_or_b32_e32 v81, 4, v81
	v_add_u32_e32 v82, -1, v0
	s_movk_i32 s12, 0xa4
	s_mov_b64 s[6:7], 0
.LBB101_363:                            ; =>This Inner Loop Header: Depth=1
	buffer_load_dword v83, v81, s[0:3], 0 offen
	v_mov_b32_e32 v84, s12
	ds_read_b32 v84, v84
	v_add_u32_e32 v82, -1, v82
	s_add_i32 s12, s12, 4
	v_cmp_eq_u32_e32 vcc, 0, v82
	v_add_u32_e32 v81, 4, v81
	s_or_b64 s[6:7], vcc, s[6:7]
	s_waitcnt vmcnt(0) lgkmcnt(0)
	v_fmac_f32_e32 v80, v83, v84
	s_andn2_b64 exec, exec, s[6:7]
	s_cbranch_execnz .LBB101_363
; %bb.364:
	s_or_b64 exec, exec, s[6:7]
.LBB101_365:
	s_or_b64 exec, exec, s[10:11]
	v_mov_b32_e32 v81, 0
	ds_read_b32 v81, v81
	s_waitcnt lgkmcnt(0)
	v_mul_f32_e32 v80, v80, v81
	buffer_store_dword v80, off, s[0:3], 0
.LBB101_366:
	s_or_b64 exec, exec, s[4:5]
	s_mov_b64 s[4:5], 0
.LBB101_367:
	s_and_b64 vcc, exec, s[4:5]
	s_cbranch_vccz .LBB101_731
; %bb.368:
	buffer_load_dword v80, off, s[0:3], 0 offset:4
	v_cmp_eq_u32_e64 s[6:7], 0, v0
	s_waitcnt vmcnt(0)
	ds_write_b32 v78, v80
	s_waitcnt lgkmcnt(0)
	; wave barrier
	s_waitcnt lgkmcnt(0)
	s_and_saveexec_b64 s[4:5], s[6:7]
	s_cbranch_execz .LBB101_374
; %bb.369:
	s_and_b64 vcc, exec, s[8:9]
	s_cbranch_vccz .LBB101_371
; %bb.370:
	buffer_load_dword v80, v79, s[0:3], 0 offen
	ds_read_b32 v81, v78
	s_waitcnt vmcnt(0) lgkmcnt(0)
	v_mul_f32_e32 v80, v80, v81
	s_cbranch_execz .LBB101_372
	s_branch .LBB101_373
.LBB101_371:
                                        ; implicit-def: $vgpr80
.LBB101_372:
	ds_read_b32 v80, v78
.LBB101_373:
	v_mov_b32_e32 v81, 0
	ds_read_b32 v81, v81 offset:4
	s_waitcnt lgkmcnt(0)
	v_mul_f32_e32 v80, v80, v81
	buffer_store_dword v80, off, s[0:3], 0 offset:4
.LBB101_374:
	s_or_b64 exec, exec, s[4:5]
	buffer_load_dword v80, off, s[0:3], 0 offset:8
	v_cndmask_b32_e64 v81, 0, 1, s[8:9]
	v_cmp_gt_u32_e32 vcc, 2, v0
	v_cmp_ne_u32_e64 s[4:5], 1, v81
	s_waitcnt vmcnt(0)
	ds_write_b32 v78, v80
	s_waitcnt lgkmcnt(0)
	; wave barrier
	s_waitcnt lgkmcnt(0)
	s_and_saveexec_b64 s[8:9], vcc
	s_cbranch_execz .LBB101_382
; %bb.375:
	s_and_b64 vcc, exec, s[4:5]
	s_cbranch_vccnz .LBB101_377
; %bb.376:
	buffer_load_dword v80, v79, s[0:3], 0 offen
	ds_read_b32 v81, v78
	s_waitcnt vmcnt(0) lgkmcnt(0)
	v_mul_f32_e32 v80, v80, v81
	s_cbranch_execz .LBB101_378
	s_branch .LBB101_379
.LBB101_377:
                                        ; implicit-def: $vgpr80
.LBB101_378:
	ds_read_b32 v80, v78
.LBB101_379:
	s_and_saveexec_b64 s[10:11], s[6:7]
	s_cbranch_execz .LBB101_381
; %bb.380:
	buffer_load_dword v81, v79, s[0:3], 0 offen offset:4
	ds_read_b32 v82, v78 offset:4
	s_waitcnt vmcnt(0) lgkmcnt(0)
	v_fmac_f32_e32 v80, v81, v82
.LBB101_381:
	s_or_b64 exec, exec, s[10:11]
	v_mov_b32_e32 v81, 0
	ds_read_b32 v81, v81 offset:8
	s_waitcnt lgkmcnt(0)
	v_mul_f32_e32 v80, v80, v81
	buffer_store_dword v80, off, s[0:3], 0 offset:8
.LBB101_382:
	s_or_b64 exec, exec, s[8:9]
	buffer_load_dword v80, off, s[0:3], 0 offset:12
	v_cmp_gt_u32_e32 vcc, 3, v0
	s_waitcnt vmcnt(0)
	ds_write_b32 v78, v80
	s_waitcnt lgkmcnt(0)
	; wave barrier
	s_waitcnt lgkmcnt(0)
	s_and_saveexec_b64 s[8:9], vcc
	s_cbranch_execz .LBB101_390
; %bb.383:
	s_and_b64 vcc, exec, s[4:5]
	s_cbranch_vccnz .LBB101_385
; %bb.384:
	buffer_load_dword v80, v79, s[0:3], 0 offen
	ds_read_b32 v81, v78
	s_waitcnt vmcnt(0) lgkmcnt(0)
	v_mul_f32_e32 v80, v80, v81
	s_cbranch_execz .LBB101_386
	s_branch .LBB101_387
.LBB101_385:
                                        ; implicit-def: $vgpr80
.LBB101_386:
	ds_read_b32 v80, v78
.LBB101_387:
	v_cmp_ne_u32_e32 vcc, 2, v0
	s_and_saveexec_b64 s[10:11], vcc
	s_cbranch_execz .LBB101_389
; %bb.388:
	buffer_load_dword v81, v79, s[0:3], 0 offen offset:4
	buffer_load_dword v82, off, s[0:3], 0 offset:8
	v_mov_b32_e32 v83, 0
	ds_read_b32 v84, v78 offset:4
	ds_read_b32 v83, v83 offset:168
	s_waitcnt vmcnt(1) lgkmcnt(1)
	v_fmac_f32_e32 v80, v81, v84
	s_waitcnt vmcnt(0) lgkmcnt(0)
	v_fma_f32 v81, v82, v83, v80
	v_cndmask_b32_e64 v80, v80, v81, s[6:7]
.LBB101_389:
	s_or_b64 exec, exec, s[10:11]
	v_mov_b32_e32 v81, 0
	ds_read_b32 v81, v81 offset:12
	s_waitcnt lgkmcnt(0)
	v_mul_f32_e32 v80, v80, v81
	buffer_store_dword v80, off, s[0:3], 0 offset:12
.LBB101_390:
	s_or_b64 exec, exec, s[8:9]
	buffer_load_dword v80, off, s[0:3], 0 offset:16
	v_cmp_gt_u32_e32 vcc, 4, v0
	s_waitcnt vmcnt(0)
	ds_write_b32 v78, v80
	s_waitcnt lgkmcnt(0)
	; wave barrier
	s_waitcnt lgkmcnt(0)
	s_and_saveexec_b64 s[6:7], vcc
	s_cbranch_execz .LBB101_400
; %bb.391:
	s_and_b64 vcc, exec, s[4:5]
	s_cbranch_vccnz .LBB101_393
; %bb.392:
	buffer_load_dword v80, v79, s[0:3], 0 offen
	ds_read_b32 v81, v78
	s_waitcnt vmcnt(0) lgkmcnt(0)
	v_mul_f32_e32 v80, v80, v81
	s_cbranch_execz .LBB101_394
	s_branch .LBB101_395
.LBB101_393:
                                        ; implicit-def: $vgpr80
.LBB101_394:
	ds_read_b32 v80, v78
.LBB101_395:
	v_cmp_ne_u32_e32 vcc, 3, v0
	s_and_saveexec_b64 s[8:9], vcc
	s_cbranch_execz .LBB101_399
; %bb.396:
	v_mov_b32_e32 v82, 0
	v_add_u32_e32 v81, 0xa4, v1
	v_add3_u32 v82, v1, v82, 4
	s_mov_b64 s[10:11], 0
	v_mov_b32_e32 v83, v0
.LBB101_397:                            ; =>This Inner Loop Header: Depth=1
	buffer_load_dword v84, v82, s[0:3], 0 offen
	ds_read_b32 v85, v81
	v_add_u32_e32 v83, 1, v83
	v_cmp_lt_u32_e32 vcc, 2, v83
	v_add_u32_e32 v81, 4, v81
	v_add_u32_e32 v82, 4, v82
	s_or_b64 s[10:11], vcc, s[10:11]
	s_waitcnt vmcnt(0) lgkmcnt(0)
	v_fmac_f32_e32 v80, v84, v85
	s_andn2_b64 exec, exec, s[10:11]
	s_cbranch_execnz .LBB101_397
; %bb.398:
	s_or_b64 exec, exec, s[10:11]
.LBB101_399:
	s_or_b64 exec, exec, s[8:9]
	v_mov_b32_e32 v81, 0
	ds_read_b32 v81, v81 offset:16
	s_waitcnt lgkmcnt(0)
	v_mul_f32_e32 v80, v80, v81
	buffer_store_dword v80, off, s[0:3], 0 offset:16
.LBB101_400:
	s_or_b64 exec, exec, s[6:7]
	buffer_load_dword v80, off, s[0:3], 0 offset:20
	v_cmp_gt_u32_e32 vcc, 5, v0
	s_waitcnt vmcnt(0)
	ds_write_b32 v78, v80
	s_waitcnt lgkmcnt(0)
	; wave barrier
	s_waitcnt lgkmcnt(0)
	s_and_saveexec_b64 s[6:7], vcc
	s_cbranch_execz .LBB101_410
; %bb.401:
	s_and_b64 vcc, exec, s[4:5]
	s_cbranch_vccnz .LBB101_403
; %bb.402:
	buffer_load_dword v80, v79, s[0:3], 0 offen
	ds_read_b32 v81, v78
	s_waitcnt vmcnt(0) lgkmcnt(0)
	v_mul_f32_e32 v80, v80, v81
	s_cbranch_execz .LBB101_404
	s_branch .LBB101_405
.LBB101_403:
                                        ; implicit-def: $vgpr80
.LBB101_404:
	ds_read_b32 v80, v78
.LBB101_405:
	v_cmp_ne_u32_e32 vcc, 4, v0
	s_and_saveexec_b64 s[8:9], vcc
	s_cbranch_execz .LBB101_409
; %bb.406:
	v_mov_b32_e32 v82, 0
	v_add_u32_e32 v81, 0xa4, v1
	v_add3_u32 v82, v1, v82, 4
	s_mov_b64 s[10:11], 0
	v_mov_b32_e32 v83, v0
.LBB101_407:                            ; =>This Inner Loop Header: Depth=1
	buffer_load_dword v84, v82, s[0:3], 0 offen
	ds_read_b32 v85, v81
	v_add_u32_e32 v83, 1, v83
	v_cmp_lt_u32_e32 vcc, 3, v83
	v_add_u32_e32 v81, 4, v81
	v_add_u32_e32 v82, 4, v82
	s_or_b64 s[10:11], vcc, s[10:11]
	s_waitcnt vmcnt(0) lgkmcnt(0)
	v_fmac_f32_e32 v80, v84, v85
	s_andn2_b64 exec, exec, s[10:11]
	s_cbranch_execnz .LBB101_407
; %bb.408:
	s_or_b64 exec, exec, s[10:11]
.LBB101_409:
	s_or_b64 exec, exec, s[8:9]
	v_mov_b32_e32 v81, 0
	ds_read_b32 v81, v81 offset:20
	s_waitcnt lgkmcnt(0)
	v_mul_f32_e32 v80, v80, v81
	buffer_store_dword v80, off, s[0:3], 0 offset:20
.LBB101_410:
	;; [unrolled: 56-line block ×32, first 2 shown]
	s_or_b64 exec, exec, s[6:7]
	buffer_load_dword v80, off, s[0:3], 0 offset:144
	v_cmp_gt_u32_e64 s[6:7], 36, v0
	s_waitcnt vmcnt(0)
	ds_write_b32 v78, v80
	s_waitcnt lgkmcnt(0)
	; wave barrier
	s_waitcnt lgkmcnt(0)
	s_and_saveexec_b64 s[8:9], s[6:7]
	s_cbranch_execz .LBB101_720
; %bb.711:
	s_and_b64 vcc, exec, s[4:5]
	s_cbranch_vccnz .LBB101_713
; %bb.712:
	buffer_load_dword v80, v79, s[0:3], 0 offen
	ds_read_b32 v81, v78
	s_waitcnt vmcnt(0) lgkmcnt(0)
	v_mul_f32_e32 v80, v80, v81
	s_cbranch_execz .LBB101_714
	s_branch .LBB101_715
.LBB101_713:
                                        ; implicit-def: $vgpr80
.LBB101_714:
	ds_read_b32 v80, v78
.LBB101_715:
	v_cmp_ne_u32_e32 vcc, 35, v0
	s_and_saveexec_b64 s[10:11], vcc
	s_cbranch_execz .LBB101_719
; %bb.716:
	v_mov_b32_e32 v82, 0
	v_add_u32_e32 v81, 0xa4, v1
	v_add3_u32 v82, v1, v82, 4
	s_mov_b64 s[12:13], 0
	v_mov_b32_e32 v83, v0
.LBB101_717:                            ; =>This Inner Loop Header: Depth=1
	buffer_load_dword v84, v82, s[0:3], 0 offen
	ds_read_b32 v85, v81
	v_add_u32_e32 v83, 1, v83
	v_cmp_lt_u32_e32 vcc, 34, v83
	v_add_u32_e32 v81, 4, v81
	v_add_u32_e32 v82, 4, v82
	s_or_b64 s[12:13], vcc, s[12:13]
	s_waitcnt vmcnt(0) lgkmcnt(0)
	v_fmac_f32_e32 v80, v84, v85
	s_andn2_b64 exec, exec, s[12:13]
	s_cbranch_execnz .LBB101_717
; %bb.718:
	s_or_b64 exec, exec, s[12:13]
.LBB101_719:
	s_or_b64 exec, exec, s[10:11]
	v_mov_b32_e32 v81, 0
	ds_read_b32 v81, v81 offset:144
	s_waitcnt lgkmcnt(0)
	v_mul_f32_e32 v80, v80, v81
	buffer_store_dword v80, off, s[0:3], 0 offset:144
.LBB101_720:
	s_or_b64 exec, exec, s[8:9]
	buffer_load_dword v80, off, s[0:3], 0 offset:148
	v_cmp_ne_u32_e32 vcc, 37, v0
	s_waitcnt vmcnt(0)
	ds_write_b32 v78, v80
	s_waitcnt lgkmcnt(0)
	; wave barrier
	s_waitcnt lgkmcnt(0)
	s_and_saveexec_b64 s[8:9], vcc
	s_cbranch_execz .LBB101_730
; %bb.721:
	s_and_b64 vcc, exec, s[4:5]
	s_cbranch_vccnz .LBB101_723
; %bb.722:
	buffer_load_dword v79, v79, s[0:3], 0 offen
	ds_read_b32 v80, v78
	s_waitcnt vmcnt(0) lgkmcnt(0)
	v_mul_f32_e32 v79, v79, v80
	s_cbranch_execz .LBB101_724
	s_branch .LBB101_725
.LBB101_723:
                                        ; implicit-def: $vgpr79
.LBB101_724:
	ds_read_b32 v79, v78
.LBB101_725:
	s_and_saveexec_b64 s[4:5], s[6:7]
	s_cbranch_execz .LBB101_729
; %bb.726:
	v_mov_b32_e32 v80, 0
	v_add_u32_e32 v78, 0xa4, v1
	v_add3_u32 v1, v1, v80, 4
	s_mov_b64 s[6:7], 0
.LBB101_727:                            ; =>This Inner Loop Header: Depth=1
	buffer_load_dword v80, v1, s[0:3], 0 offen
	ds_read_b32 v81, v78
	v_add_u32_e32 v0, 1, v0
	v_cmp_lt_u32_e32 vcc, 35, v0
	v_add_u32_e32 v78, 4, v78
	v_add_u32_e32 v1, 4, v1
	s_or_b64 s[6:7], vcc, s[6:7]
	s_waitcnt vmcnt(0) lgkmcnt(0)
	v_fmac_f32_e32 v79, v80, v81
	s_andn2_b64 exec, exec, s[6:7]
	s_cbranch_execnz .LBB101_727
; %bb.728:
	s_or_b64 exec, exec, s[6:7]
.LBB101_729:
	s_or_b64 exec, exec, s[4:5]
	v_mov_b32_e32 v0, 0
	ds_read_b32 v0, v0 offset:148
	s_waitcnt lgkmcnt(0)
	v_mul_f32_e32 v0, v79, v0
	buffer_store_dword v0, off, s[0:3], 0 offset:148
.LBB101_730:
	s_or_b64 exec, exec, s[8:9]
.LBB101_731:
	buffer_load_dword v0, off, s[0:3], 0
	buffer_load_dword v1, off, s[0:3], 0 offset:4
	buffer_load_dword v78, off, s[0:3], 0 offset:8
	;; [unrolled: 1-line block ×37, first 2 shown]
	s_waitcnt vmcnt(37)
	global_store_dword v[72:73], v0, off
	s_waitcnt vmcnt(37)
	global_store_dword v[74:75], v1, off
	;; [unrolled: 2-line block ×38, first 2 shown]
.LBB101_732:
	s_endpgm
	.section	.rodata,"a",@progbits
	.p2align	6, 0x0
	.amdhsa_kernel _ZN9rocsolver6v33100L18trti2_kernel_smallILi38EfPKPfEEv13rocblas_fill_17rocblas_diagonal_T1_iil
		.amdhsa_group_segment_fixed_size 312
		.amdhsa_private_segment_fixed_size 160
		.amdhsa_kernarg_size 32
		.amdhsa_user_sgpr_count 8
		.amdhsa_user_sgpr_private_segment_buffer 1
		.amdhsa_user_sgpr_dispatch_ptr 0
		.amdhsa_user_sgpr_queue_ptr 0
		.amdhsa_user_sgpr_kernarg_segment_ptr 1
		.amdhsa_user_sgpr_dispatch_id 0
		.amdhsa_user_sgpr_flat_scratch_init 1
		.amdhsa_user_sgpr_kernarg_preload_length 0
		.amdhsa_user_sgpr_kernarg_preload_offset 0
		.amdhsa_user_sgpr_private_segment_size 0
		.amdhsa_uses_dynamic_stack 0
		.amdhsa_system_sgpr_private_segment_wavefront_offset 1
		.amdhsa_system_sgpr_workgroup_id_x 1
		.amdhsa_system_sgpr_workgroup_id_y 0
		.amdhsa_system_sgpr_workgroup_id_z 0
		.amdhsa_system_sgpr_workgroup_info 0
		.amdhsa_system_vgpr_workitem_id 0
		.amdhsa_next_free_vgpr 116
		.amdhsa_next_free_sgpr 16
		.amdhsa_accum_offset 116
		.amdhsa_reserve_vcc 1
		.amdhsa_reserve_flat_scratch 0
		.amdhsa_float_round_mode_32 0
		.amdhsa_float_round_mode_16_64 0
		.amdhsa_float_denorm_mode_32 3
		.amdhsa_float_denorm_mode_16_64 3
		.amdhsa_dx10_clamp 1
		.amdhsa_ieee_mode 1
		.amdhsa_fp16_overflow 0
		.amdhsa_tg_split 0
		.amdhsa_exception_fp_ieee_invalid_op 0
		.amdhsa_exception_fp_denorm_src 0
		.amdhsa_exception_fp_ieee_div_zero 0
		.amdhsa_exception_fp_ieee_overflow 0
		.amdhsa_exception_fp_ieee_underflow 0
		.amdhsa_exception_fp_ieee_inexact 0
		.amdhsa_exception_int_div_zero 0
	.end_amdhsa_kernel
	.section	.text._ZN9rocsolver6v33100L18trti2_kernel_smallILi38EfPKPfEEv13rocblas_fill_17rocblas_diagonal_T1_iil,"axG",@progbits,_ZN9rocsolver6v33100L18trti2_kernel_smallILi38EfPKPfEEv13rocblas_fill_17rocblas_diagonal_T1_iil,comdat
.Lfunc_end101:
	.size	_ZN9rocsolver6v33100L18trti2_kernel_smallILi38EfPKPfEEv13rocblas_fill_17rocblas_diagonal_T1_iil, .Lfunc_end101-_ZN9rocsolver6v33100L18trti2_kernel_smallILi38EfPKPfEEv13rocblas_fill_17rocblas_diagonal_T1_iil
                                        ; -- End function
	.section	.AMDGPU.csdata,"",@progbits
; Kernel info:
; codeLenInByte = 18456
; NumSgprs: 20
; NumVgprs: 116
; NumAgprs: 0
; TotalNumVgprs: 116
; ScratchSize: 160
; MemoryBound: 0
; FloatMode: 240
; IeeeMode: 1
; LDSByteSize: 312 bytes/workgroup (compile time only)
; SGPRBlocks: 2
; VGPRBlocks: 14
; NumSGPRsForWavesPerEU: 20
; NumVGPRsForWavesPerEU: 116
; AccumOffset: 116
; Occupancy: 4
; WaveLimiterHint : 1
; COMPUTE_PGM_RSRC2:SCRATCH_EN: 1
; COMPUTE_PGM_RSRC2:USER_SGPR: 8
; COMPUTE_PGM_RSRC2:TRAP_HANDLER: 0
; COMPUTE_PGM_RSRC2:TGID_X_EN: 1
; COMPUTE_PGM_RSRC2:TGID_Y_EN: 0
; COMPUTE_PGM_RSRC2:TGID_Z_EN: 0
; COMPUTE_PGM_RSRC2:TIDIG_COMP_CNT: 0
; COMPUTE_PGM_RSRC3_GFX90A:ACCUM_OFFSET: 28
; COMPUTE_PGM_RSRC3_GFX90A:TG_SPLIT: 0
	.section	.text._ZN9rocsolver6v33100L18trti2_kernel_smallILi39EfPKPfEEv13rocblas_fill_17rocblas_diagonal_T1_iil,"axG",@progbits,_ZN9rocsolver6v33100L18trti2_kernel_smallILi39EfPKPfEEv13rocblas_fill_17rocblas_diagonal_T1_iil,comdat
	.globl	_ZN9rocsolver6v33100L18trti2_kernel_smallILi39EfPKPfEEv13rocblas_fill_17rocblas_diagonal_T1_iil ; -- Begin function _ZN9rocsolver6v33100L18trti2_kernel_smallILi39EfPKPfEEv13rocblas_fill_17rocblas_diagonal_T1_iil
	.p2align	8
	.type	_ZN9rocsolver6v33100L18trti2_kernel_smallILi39EfPKPfEEv13rocblas_fill_17rocblas_diagonal_T1_iil,@function
_ZN9rocsolver6v33100L18trti2_kernel_smallILi39EfPKPfEEv13rocblas_fill_17rocblas_diagonal_T1_iil: ; @_ZN9rocsolver6v33100L18trti2_kernel_smallILi39EfPKPfEEv13rocblas_fill_17rocblas_diagonal_T1_iil
; %bb.0:
	s_add_u32 s0, s0, s9
	s_addc_u32 s1, s1, 0
	v_cmp_gt_u32_e32 vcc, 39, v0
	s_and_saveexec_b64 s[6:7], vcc
	s_cbranch_execz .LBB102_752
; %bb.1:
	s_load_dwordx2 s[6:7], s[4:5], 0x10
	s_load_dwordx4 s[12:15], s[4:5], 0x0
	s_ashr_i32 s9, s8, 31
	s_lshl_b64 s[4:5], s[8:9], 3
	s_waitcnt lgkmcnt(0)
	s_ashr_i32 s9, s6, 31
	s_add_u32 s4, s14, s4
	s_addc_u32 s5, s15, s5
	s_load_dwordx2 s[4:5], s[4:5], 0x0
	s_mov_b32 s8, s6
	s_lshl_b64 s[8:9], s[8:9], 2
	s_waitcnt lgkmcnt(0)
	s_add_u32 s4, s4, s8
	s_addc_u32 s5, s5, s9
	s_add_i32 s6, s7, s7
	v_add_u32_e32 v4, s6, v0
	v_ashrrev_i32_e32 v5, 31, v4
	v_lshlrev_b64 v[2:3], 2, v[4:5]
	v_add_u32_e32 v6, s7, v4
	v_mov_b32_e32 v1, s5
	v_add_co_u32_e32 v2, vcc, s4, v2
	v_ashrrev_i32_e32 v7, 31, v6
	v_addc_co_u32_e32 v3, vcc, v1, v3, vcc
	v_lshlrev_b64 v[4:5], 2, v[6:7]
	v_add_u32_e32 v8, s7, v6
	v_add_co_u32_e32 v4, vcc, s4, v4
	v_ashrrev_i32_e32 v9, 31, v8
	v_addc_co_u32_e32 v5, vcc, v1, v5, vcc
	v_lshlrev_b64 v[6:7], 2, v[8:9]
	v_add_u32_e32 v10, s7, v8
	;; [unrolled: 5-line block ×34, first 2 shown]
	v_add_co_u32_e32 v70, vcc, s4, v70
	v_ashrrev_i32_e32 v75, 31, v74
	v_addc_co_u32_e32 v71, vcc, v1, v71, vcc
	v_lshlrev_b64 v[72:73], 2, v[74:75]
	v_add_co_u32_e32 v72, vcc, s4, v72
	v_add_u32_e32 v74, s7, v74
	v_addc_co_u32_e32 v73, vcc, v1, v73, vcc
	v_ashrrev_i32_e32 v75, 31, v74
	v_lshlrev_b32_e32 v1, 2, v0
	v_lshlrev_b64 v[78:79], 2, v[74:75]
	v_mov_b32_e32 v75, s5
	v_add_co_u32_e32 v74, vcc, s4, v1
	s_ashr_i32 s9, s7, 31
	s_mov_b32 s8, s7
	v_addc_co_u32_e32 v75, vcc, 0, v75, vcc
	s_lshl_b64 s[6:7], s[8:9], 2
	v_mov_b32_e32 v77, s7
	v_add_co_u32_e32 v76, vcc, s6, v74
	v_addc_co_u32_e32 v77, vcc, v75, v77, vcc
	global_load_dword v80, v1, s[4:5]
	global_load_dword v81, v[76:77], off
	global_load_dword v82, v[2:3], off
	global_load_dword v83, v[4:5], off
	global_load_dword v84, v[6:7], off
	global_load_dword v85, v[8:9], off
	global_load_dword v86, v[10:11], off
	global_load_dword v87, v[12:13], off
	global_load_dword v88, v[14:15], off
	global_load_dword v89, v[16:17], off
	global_load_dword v90, v[22:23], off
	global_load_dword v91, v[24:25], off
	global_load_dword v92, v[26:27], off
	global_load_dword v93, v[28:29], off
	global_load_dword v94, v[30:31], off
	global_load_dword v95, v[20:21], off
	global_load_dword v96, v[18:19], off
	global_load_dword v97, v[32:33], off
	global_load_dword v98, v[34:35], off
	global_load_dword v99, v[36:37], off
	global_load_dword v100, v[46:47], off
	global_load_dword v101, v[44:45], off
	global_load_dword v102, v[42:43], off
	global_load_dword v103, v[40:41], off
	global_load_dword v104, v[38:39], off
	global_load_dword v105, v[48:49], off
	global_load_dword v106, v[62:63], off
	global_load_dword v107, v[60:61], off
	global_load_dword v108, v[58:59], off
	global_load_dword v109, v[56:57], off
	global_load_dword v110, v[54:55], off
	global_load_dword v111, v[52:53], off
	global_load_dword v112, v[50:51], off
	global_load_dword v114, v[64:65], off
	global_load_dword v115, v[72:73], off
	global_load_dword v116, v[70:71], off
	global_load_dword v117, v[68:69], off
	global_load_dword v118, v[66:67], off
	v_mov_b32_e32 v113, s5
	v_add_co_u32_e32 v78, vcc, s4, v78
	v_addc_co_u32_e32 v79, vcc, v113, v79, vcc
	global_load_dword v113, v[78:79], off
	s_cmpk_lg_i32 s13, 0x84
	s_waitcnt vmcnt(38)
	buffer_store_dword v80, off, s[0:3], 0
	s_waitcnt vmcnt(38)
	buffer_store_dword v81, off, s[0:3], 0 offset:4
	s_waitcnt vmcnt(38)
	buffer_store_dword v82, off, s[0:3], 0 offset:8
	;; [unrolled: 2-line block ×11, first 2 shown]
	buffer_store_dword v90, off, s[0:3], 0 offset:48
	buffer_store_dword v91, off, s[0:3], 0 offset:52
	;; [unrolled: 1-line block ×5, first 2 shown]
	s_waitcnt vmcnt(38)
	buffer_store_dword v97, off, s[0:3], 0 offset:68
	s_waitcnt vmcnt(38)
	buffer_store_dword v98, off, s[0:3], 0 offset:72
	;; [unrolled: 2-line block ×5, first 2 shown]
	buffer_store_dword v101, off, s[0:3], 0 offset:92
	buffer_store_dword v102, off, s[0:3], 0 offset:88
	s_waitcnt vmcnt(37)
	buffer_store_dword v105, off, s[0:3], 0 offset:100
	buffer_store_dword v100, off, s[0:3], 0 offset:96
	s_waitcnt vmcnt(33)
	buffer_store_dword v111, off, s[0:3], 0 offset:108
	s_waitcnt vmcnt(33)
	buffer_store_dword v112, off, s[0:3], 0 offset:104
	buffer_store_dword v109, off, s[0:3], 0 offset:116
	;; [unrolled: 1-line block ×5, first 2 shown]
	s_waitcnt vmcnt(37)
	buffer_store_dword v114, off, s[0:3], 0 offset:132
	buffer_store_dword v106, off, s[0:3], 0 offset:128
	s_waitcnt vmcnt(36)
	buffer_store_dword v117, off, s[0:3], 0 offset:140
	s_waitcnt vmcnt(36)
	buffer_store_dword v118, off, s[0:3], 0 offset:136
	buffer_store_dword v115, off, s[0:3], 0 offset:148
	;; [unrolled: 1-line block ×3, first 2 shown]
	s_waitcnt vmcnt(38)
	buffer_store_dword v113, off, s[0:3], 0 offset:152
	s_cselect_b64 s[10:11], -1, 0
	s_cmpk_eq_i32 s13, 0x84
	v_mov_b32_e32 v99, 0
	v_mov_b32_e32 v80, -1.0
	s_cbranch_scc1 .LBB102_3
; %bb.2:
	v_lshl_add_u32 v80, v0, 2, v99
	buffer_load_dword v81, v80, s[0:3], 0 offen
	s_waitcnt vmcnt(0)
	v_div_scale_f32 v82, s[4:5], v81, v81, 1.0
	v_rcp_f32_e32 v83, v82
	v_div_scale_f32 v84, vcc, 1.0, v81, 1.0
	v_fma_f32 v85, -v82, v83, 1.0
	v_fmac_f32_e32 v83, v85, v83
	v_mul_f32_e32 v85, v84, v83
	v_fma_f32 v86, -v82, v85, v84
	v_fmac_f32_e32 v85, v86, v83
	v_fma_f32 v82, -v82, v85, v84
	v_div_fmas_f32 v82, v82, v83, v85
	v_div_fixup_f32 v81, v82, v81, 1.0
	buffer_store_dword v81, v80, s[0:3], 0 offen
	v_xor_b32_e32 v80, 0x80000000, v81
.LBB102_3:
	ds_write_b32 v1, v80
	s_cmpk_eq_i32 s12, 0x79
	v_add_u32_e32 v80, 0xa0, v1
	v_add_u32_e32 v81, 0, v1
	s_mov_b64 s[4:5], -1
	s_cbranch_scc1 .LBB102_377
; %bb.4:
	buffer_load_dword v82, off, s[0:3], 0 offset:148
	v_cmp_eq_u32_e64 s[4:5], 38, v0
	s_waitcnt vmcnt(0)
	ds_write_b32 v80, v82
	s_waitcnt lgkmcnt(0)
	; wave barrier
	s_waitcnt lgkmcnt(0)
	s_and_saveexec_b64 s[6:7], s[4:5]
	s_cbranch_execz .LBB102_10
; %bb.5:
	s_and_b64 vcc, exec, s[10:11]
	s_cbranch_vccz .LBB102_7
; %bb.6:
	buffer_load_dword v82, v81, s[0:3], 0 offen
	ds_read_b32 v83, v80
	s_waitcnt vmcnt(0) lgkmcnt(0)
	v_mul_f32_e32 v82, v82, v83
	s_cbranch_execz .LBB102_8
	s_branch .LBB102_9
.LBB102_7:
                                        ; implicit-def: $vgpr82
.LBB102_8:
	ds_read_b32 v82, v80
.LBB102_9:
	v_mov_b32_e32 v83, 0
	ds_read_b32 v83, v83 offset:148
	s_waitcnt lgkmcnt(0)
	v_mul_f32_e32 v82, v82, v83
	buffer_store_dword v82, off, s[0:3], 0 offset:148
.LBB102_10:
	s_or_b64 exec, exec, s[6:7]
	buffer_load_dword v100, off, s[0:3], 0 offset:144
	v_or_b32_e32 v82, 8, v99
	v_add_u32_e32 v83, 16, v99
	v_add_u32_e32 v84, 24, v99
	;; [unrolled: 1-line block ×17, first 2 shown]
	v_cmp_lt_u32_e64 s[8:9], 36, v0
	s_waitcnt vmcnt(0)
	ds_write_b32 v80, v100
	s_waitcnt lgkmcnt(0)
	; wave barrier
	s_waitcnt lgkmcnt(0)
	s_and_saveexec_b64 s[6:7], s[8:9]
	s_cbranch_execz .LBB102_16
; %bb.11:
	s_andn2_b64 vcc, exec, s[10:11]
	s_cbranch_vccnz .LBB102_13
; %bb.12:
	buffer_load_dword v100, v81, s[0:3], 0 offen
	ds_read_b32 v101, v80
	s_waitcnt vmcnt(0) lgkmcnt(0)
	v_mul_f32_e32 v100, v100, v101
	s_cbranch_execz .LBB102_14
	s_branch .LBB102_15
.LBB102_13:
                                        ; implicit-def: $vgpr100
.LBB102_14:
	ds_read_b32 v100, v80
.LBB102_15:
	buffer_load_dword v101, off, s[0:3], 0 offset:148
	v_mov_b32_e32 v102, 0
	ds_read2_b32 v[102:103], v102 offset0:36 offset1:77
	s_waitcnt vmcnt(0) lgkmcnt(0)
	v_fma_f32 v101, v101, v103, v100
	v_cndmask_b32_e64 v100, v100, v101, s[4:5]
	v_mul_f32_e32 v100, v100, v102
	buffer_store_dword v100, off, s[0:3], 0 offset:144
.LBB102_16:
	s_or_b64 exec, exec, s[6:7]
	buffer_load_dword v100, off, s[0:3], 0 offset:140
	v_cmp_lt_u32_e64 s[6:7], 35, v0
	s_waitcnt vmcnt(0)
	ds_write_b32 v80, v100
	s_waitcnt lgkmcnt(0)
	; wave barrier
	s_waitcnt lgkmcnt(0)
	s_and_saveexec_b64 s[4:5], s[6:7]
	s_cbranch_execz .LBB102_26
; %bb.17:
	s_andn2_b64 vcc, exec, s[10:11]
	s_cbranch_vccnz .LBB102_19
; %bb.18:
	buffer_load_dword v100, v81, s[0:3], 0 offen
	ds_read_b32 v101, v80
	s_waitcnt vmcnt(0) lgkmcnt(0)
	v_mul_f32_e32 v100, v100, v101
	s_cbranch_execz .LBB102_20
	s_branch .LBB102_21
.LBB102_19:
                                        ; implicit-def: $vgpr100
.LBB102_20:
	ds_read_b32 v100, v80
.LBB102_21:
	s_and_saveexec_b64 s[12:13], s[8:9]
	s_cbranch_execz .LBB102_25
; %bb.22:
	v_subrev_u32_e32 v101, 36, v0
	s_movk_i32 s14, 0x130
	s_mov_b64 s[8:9], 0
.LBB102_23:                             ; =>This Inner Loop Header: Depth=1
	buffer_load_dword v102, v99, s[0:3], 0 offen
	v_mov_b32_e32 v103, s14
	ds_read_b32 v103, v103
	v_add_u32_e32 v101, -1, v101
	s_add_i32 s14, s14, 4
	v_cmp_eq_u32_e32 vcc, 0, v101
	v_add_u32_e32 v99, 4, v99
	s_or_b64 s[8:9], vcc, s[8:9]
	s_waitcnt vmcnt(0) lgkmcnt(0)
	v_fmac_f32_e32 v100, v102, v103
	s_andn2_b64 exec, exec, s[8:9]
	s_cbranch_execnz .LBB102_23
; %bb.24:
	s_or_b64 exec, exec, s[8:9]
.LBB102_25:
	s_or_b64 exec, exec, s[12:13]
	v_mov_b32_e32 v99, 0
	ds_read_b32 v99, v99 offset:140
	s_waitcnt lgkmcnt(0)
	v_mul_f32_e32 v99, v100, v99
	buffer_store_dword v99, off, s[0:3], 0 offset:140
.LBB102_26:
	s_or_b64 exec, exec, s[4:5]
	buffer_load_dword v99, off, s[0:3], 0 offset:136
	v_cmp_lt_u32_e64 s[4:5], 34, v0
	s_waitcnt vmcnt(0)
	ds_write_b32 v80, v99
	s_waitcnt lgkmcnt(0)
	; wave barrier
	s_waitcnt lgkmcnt(0)
	s_and_saveexec_b64 s[8:9], s[4:5]
	s_cbranch_execz .LBB102_36
; %bb.27:
	s_andn2_b64 vcc, exec, s[10:11]
	s_cbranch_vccnz .LBB102_29
; %bb.28:
	buffer_load_dword v99, v81, s[0:3], 0 offen
	ds_read_b32 v100, v80
	s_waitcnt vmcnt(0) lgkmcnt(0)
	v_mul_f32_e32 v99, v99, v100
	s_cbranch_execz .LBB102_30
	s_branch .LBB102_31
.LBB102_29:
                                        ; implicit-def: $vgpr99
.LBB102_30:
	ds_read_b32 v99, v80
.LBB102_31:
	s_and_saveexec_b64 s[12:13], s[6:7]
	s_cbranch_execz .LBB102_35
; %bb.32:
	v_mov_b32_e32 v100, 0
	v_add_u32_e32 v100, 0x8c, v100
	v_subrev_u32_e32 v101, 35, v0
	s_movk_i32 s14, 0x12c
	s_mov_b64 s[6:7], 0
.LBB102_33:                             ; =>This Inner Loop Header: Depth=1
	buffer_load_dword v102, v100, s[0:3], 0 offen
	v_mov_b32_e32 v103, s14
	ds_read_b32 v103, v103
	v_add_u32_e32 v101, -1, v101
	s_add_i32 s14, s14, 4
	v_cmp_eq_u32_e32 vcc, 0, v101
	v_add_u32_e32 v100, 4, v100
	s_or_b64 s[6:7], vcc, s[6:7]
	s_waitcnt vmcnt(0) lgkmcnt(0)
	v_fmac_f32_e32 v99, v102, v103
	s_andn2_b64 exec, exec, s[6:7]
	s_cbranch_execnz .LBB102_33
; %bb.34:
	s_or_b64 exec, exec, s[6:7]
.LBB102_35:
	s_or_b64 exec, exec, s[12:13]
	v_mov_b32_e32 v100, 0
	ds_read_b32 v100, v100 offset:136
	s_waitcnt lgkmcnt(0)
	v_mul_f32_e32 v99, v99, v100
	buffer_store_dword v99, off, s[0:3], 0 offset:136
.LBB102_36:
	s_or_b64 exec, exec, s[8:9]
	buffer_load_dword v99, off, s[0:3], 0 offset:132
	v_cmp_lt_u32_e64 s[6:7], 33, v0
	s_waitcnt vmcnt(0)
	ds_write_b32 v80, v99
	s_waitcnt lgkmcnt(0)
	; wave barrier
	s_waitcnt lgkmcnt(0)
	s_and_saveexec_b64 s[8:9], s[6:7]
	s_cbranch_execz .LBB102_46
; %bb.37:
	s_andn2_b64 vcc, exec, s[10:11]
	s_cbranch_vccnz .LBB102_39
; %bb.38:
	buffer_load_dword v99, v81, s[0:3], 0 offen
	ds_read_b32 v100, v80
	s_waitcnt vmcnt(0) lgkmcnt(0)
	v_mul_f32_e32 v99, v99, v100
	s_cbranch_execz .LBB102_40
	s_branch .LBB102_41
.LBB102_39:
                                        ; implicit-def: $vgpr99
.LBB102_40:
	ds_read_b32 v99, v80
.LBB102_41:
	s_and_saveexec_b64 s[12:13], s[4:5]
	s_cbranch_execz .LBB102_45
; %bb.42:
	v_subrev_u32_e32 v100, 34, v0
	s_movk_i32 s14, 0x128
	s_mov_b64 s[4:5], 0
.LBB102_43:                             ; =>This Inner Loop Header: Depth=1
	buffer_load_dword v101, v98, s[0:3], 0 offen
	v_mov_b32_e32 v102, s14
	ds_read_b32 v102, v102
	v_add_u32_e32 v100, -1, v100
	s_add_i32 s14, s14, 4
	v_cmp_eq_u32_e32 vcc, 0, v100
	v_add_u32_e32 v98, 4, v98
	s_or_b64 s[4:5], vcc, s[4:5]
	s_waitcnt vmcnt(0) lgkmcnt(0)
	v_fmac_f32_e32 v99, v101, v102
	s_andn2_b64 exec, exec, s[4:5]
	s_cbranch_execnz .LBB102_43
; %bb.44:
	s_or_b64 exec, exec, s[4:5]
.LBB102_45:
	s_or_b64 exec, exec, s[12:13]
	v_mov_b32_e32 v98, 0
	ds_read_b32 v98, v98 offset:132
	s_waitcnt lgkmcnt(0)
	v_mul_f32_e32 v98, v99, v98
	buffer_store_dword v98, off, s[0:3], 0 offset:132
.LBB102_46:
	s_or_b64 exec, exec, s[8:9]
	buffer_load_dword v98, off, s[0:3], 0 offset:128
	v_cmp_lt_u32_e64 s[4:5], 32, v0
	s_waitcnt vmcnt(0)
	ds_write_b32 v80, v98
	s_waitcnt lgkmcnt(0)
	; wave barrier
	s_waitcnt lgkmcnt(0)
	s_and_saveexec_b64 s[8:9], s[4:5]
	s_cbranch_execz .LBB102_56
; %bb.47:
	s_andn2_b64 vcc, exec, s[10:11]
	s_cbranch_vccnz .LBB102_49
; %bb.48:
	buffer_load_dword v98, v81, s[0:3], 0 offen
	ds_read_b32 v99, v80
	s_waitcnt vmcnt(0) lgkmcnt(0)
	v_mul_f32_e32 v98, v98, v99
	s_cbranch_execz .LBB102_50
	s_branch .LBB102_51
.LBB102_49:
                                        ; implicit-def: $vgpr98
.LBB102_50:
	ds_read_b32 v98, v80
.LBB102_51:
	s_and_saveexec_b64 s[12:13], s[6:7]
	s_cbranch_execz .LBB102_55
; %bb.52:
	v_mov_b32_e32 v99, 0
	v_add_u32_e32 v99, 0x84, v99
	v_subrev_u32_e32 v100, 33, v0
	s_movk_i32 s14, 0x124
	s_mov_b64 s[6:7], 0
.LBB102_53:                             ; =>This Inner Loop Header: Depth=1
	buffer_load_dword v101, v99, s[0:3], 0 offen
	v_mov_b32_e32 v102, s14
	ds_read_b32 v102, v102
	v_add_u32_e32 v100, -1, v100
	s_add_i32 s14, s14, 4
	v_cmp_eq_u32_e32 vcc, 0, v100
	v_add_u32_e32 v99, 4, v99
	s_or_b64 s[6:7], vcc, s[6:7]
	s_waitcnt vmcnt(0) lgkmcnt(0)
	v_fmac_f32_e32 v98, v101, v102
	s_andn2_b64 exec, exec, s[6:7]
	s_cbranch_execnz .LBB102_53
; %bb.54:
	s_or_b64 exec, exec, s[6:7]
.LBB102_55:
	s_or_b64 exec, exec, s[12:13]
	v_mov_b32_e32 v99, 0
	ds_read_b32 v99, v99 offset:128
	s_waitcnt lgkmcnt(0)
	v_mul_f32_e32 v98, v98, v99
	buffer_store_dword v98, off, s[0:3], 0 offset:128
.LBB102_56:
	s_or_b64 exec, exec, s[8:9]
	buffer_load_dword v98, off, s[0:3], 0 offset:124
	v_cmp_lt_u32_e64 s[6:7], 31, v0
	s_waitcnt vmcnt(0)
	ds_write_b32 v80, v98
	s_waitcnt lgkmcnt(0)
	; wave barrier
	s_waitcnt lgkmcnt(0)
	s_and_saveexec_b64 s[8:9], s[6:7]
	s_cbranch_execz .LBB102_66
; %bb.57:
	s_andn2_b64 vcc, exec, s[10:11]
	s_cbranch_vccnz .LBB102_59
; %bb.58:
	buffer_load_dword v98, v81, s[0:3], 0 offen
	ds_read_b32 v99, v80
	s_waitcnt vmcnt(0) lgkmcnt(0)
	v_mul_f32_e32 v98, v98, v99
	s_cbranch_execz .LBB102_60
	s_branch .LBB102_61
.LBB102_59:
                                        ; implicit-def: $vgpr98
.LBB102_60:
	ds_read_b32 v98, v80
.LBB102_61:
	s_and_saveexec_b64 s[12:13], s[4:5]
	s_cbranch_execz .LBB102_65
; %bb.62:
	v_subrev_u32_e32 v99, 32, v0
	s_movk_i32 s14, 0x120
	s_mov_b64 s[4:5], 0
.LBB102_63:                             ; =>This Inner Loop Header: Depth=1
	buffer_load_dword v100, v97, s[0:3], 0 offen
	v_mov_b32_e32 v101, s14
	ds_read_b32 v101, v101
	v_add_u32_e32 v99, -1, v99
	s_add_i32 s14, s14, 4
	v_cmp_eq_u32_e32 vcc, 0, v99
	v_add_u32_e32 v97, 4, v97
	s_or_b64 s[4:5], vcc, s[4:5]
	s_waitcnt vmcnt(0) lgkmcnt(0)
	v_fmac_f32_e32 v98, v100, v101
	s_andn2_b64 exec, exec, s[4:5]
	s_cbranch_execnz .LBB102_63
; %bb.64:
	s_or_b64 exec, exec, s[4:5]
.LBB102_65:
	s_or_b64 exec, exec, s[12:13]
	v_mov_b32_e32 v97, 0
	ds_read_b32 v97, v97 offset:124
	s_waitcnt lgkmcnt(0)
	v_mul_f32_e32 v97, v98, v97
	buffer_store_dword v97, off, s[0:3], 0 offset:124
.LBB102_66:
	s_or_b64 exec, exec, s[8:9]
	buffer_load_dword v97, off, s[0:3], 0 offset:120
	v_cmp_lt_u32_e64 s[4:5], 30, v0
	s_waitcnt vmcnt(0)
	ds_write_b32 v80, v97
	s_waitcnt lgkmcnt(0)
	; wave barrier
	s_waitcnt lgkmcnt(0)
	s_and_saveexec_b64 s[8:9], s[4:5]
	s_cbranch_execz .LBB102_76
; %bb.67:
	s_andn2_b64 vcc, exec, s[10:11]
	s_cbranch_vccnz .LBB102_69
; %bb.68:
	buffer_load_dword v97, v81, s[0:3], 0 offen
	ds_read_b32 v98, v80
	s_waitcnt vmcnt(0) lgkmcnt(0)
	v_mul_f32_e32 v97, v97, v98
	s_cbranch_execz .LBB102_70
	s_branch .LBB102_71
.LBB102_69:
                                        ; implicit-def: $vgpr97
.LBB102_70:
	ds_read_b32 v97, v80
.LBB102_71:
	s_and_saveexec_b64 s[12:13], s[6:7]
	s_cbranch_execz .LBB102_75
; %bb.72:
	v_mov_b32_e32 v98, 0
	v_add_u32_e32 v98, 0x7c, v98
	v_subrev_u32_e32 v99, 31, v0
	s_movk_i32 s14, 0x11c
	s_mov_b64 s[6:7], 0
.LBB102_73:                             ; =>This Inner Loop Header: Depth=1
	buffer_load_dword v100, v98, s[0:3], 0 offen
	v_mov_b32_e32 v101, s14
	ds_read_b32 v101, v101
	v_add_u32_e32 v99, -1, v99
	s_add_i32 s14, s14, 4
	v_cmp_eq_u32_e32 vcc, 0, v99
	v_add_u32_e32 v98, 4, v98
	s_or_b64 s[6:7], vcc, s[6:7]
	s_waitcnt vmcnt(0) lgkmcnt(0)
	v_fmac_f32_e32 v97, v100, v101
	s_andn2_b64 exec, exec, s[6:7]
	s_cbranch_execnz .LBB102_73
; %bb.74:
	s_or_b64 exec, exec, s[6:7]
.LBB102_75:
	s_or_b64 exec, exec, s[12:13]
	v_mov_b32_e32 v98, 0
	ds_read_b32 v98, v98 offset:120
	s_waitcnt lgkmcnt(0)
	v_mul_f32_e32 v97, v97, v98
	buffer_store_dword v97, off, s[0:3], 0 offset:120
.LBB102_76:
	s_or_b64 exec, exec, s[8:9]
	buffer_load_dword v97, off, s[0:3], 0 offset:116
	v_cmp_lt_u32_e64 s[6:7], 29, v0
	s_waitcnt vmcnt(0)
	ds_write_b32 v80, v97
	s_waitcnt lgkmcnt(0)
	; wave barrier
	s_waitcnt lgkmcnt(0)
	s_and_saveexec_b64 s[8:9], s[6:7]
	s_cbranch_execz .LBB102_86
; %bb.77:
	s_andn2_b64 vcc, exec, s[10:11]
	s_cbranch_vccnz .LBB102_79
; %bb.78:
	buffer_load_dword v97, v81, s[0:3], 0 offen
	ds_read_b32 v98, v80
	s_waitcnt vmcnt(0) lgkmcnt(0)
	v_mul_f32_e32 v97, v97, v98
	s_cbranch_execz .LBB102_80
	s_branch .LBB102_81
.LBB102_79:
                                        ; implicit-def: $vgpr97
.LBB102_80:
	ds_read_b32 v97, v80
.LBB102_81:
	s_and_saveexec_b64 s[12:13], s[4:5]
	s_cbranch_execz .LBB102_85
; %bb.82:
	v_subrev_u32_e32 v98, 30, v0
	s_movk_i32 s14, 0x118
	s_mov_b64 s[4:5], 0
.LBB102_83:                             ; =>This Inner Loop Header: Depth=1
	buffer_load_dword v99, v96, s[0:3], 0 offen
	v_mov_b32_e32 v100, s14
	ds_read_b32 v100, v100
	v_add_u32_e32 v98, -1, v98
	s_add_i32 s14, s14, 4
	v_cmp_eq_u32_e32 vcc, 0, v98
	v_add_u32_e32 v96, 4, v96
	s_or_b64 s[4:5], vcc, s[4:5]
	s_waitcnt vmcnt(0) lgkmcnt(0)
	v_fmac_f32_e32 v97, v99, v100
	s_andn2_b64 exec, exec, s[4:5]
	s_cbranch_execnz .LBB102_83
; %bb.84:
	s_or_b64 exec, exec, s[4:5]
.LBB102_85:
	s_or_b64 exec, exec, s[12:13]
	v_mov_b32_e32 v96, 0
	ds_read_b32 v96, v96 offset:116
	s_waitcnt lgkmcnt(0)
	v_mul_f32_e32 v96, v97, v96
	buffer_store_dword v96, off, s[0:3], 0 offset:116
.LBB102_86:
	s_or_b64 exec, exec, s[8:9]
	buffer_load_dword v96, off, s[0:3], 0 offset:112
	v_cmp_lt_u32_e64 s[4:5], 28, v0
	s_waitcnt vmcnt(0)
	ds_write_b32 v80, v96
	s_waitcnt lgkmcnt(0)
	; wave barrier
	s_waitcnt lgkmcnt(0)
	s_and_saveexec_b64 s[8:9], s[4:5]
	s_cbranch_execz .LBB102_96
; %bb.87:
	s_andn2_b64 vcc, exec, s[10:11]
	s_cbranch_vccnz .LBB102_89
; %bb.88:
	buffer_load_dword v96, v81, s[0:3], 0 offen
	ds_read_b32 v97, v80
	s_waitcnt vmcnt(0) lgkmcnt(0)
	v_mul_f32_e32 v96, v96, v97
	s_cbranch_execz .LBB102_90
	s_branch .LBB102_91
.LBB102_89:
                                        ; implicit-def: $vgpr96
.LBB102_90:
	ds_read_b32 v96, v80
.LBB102_91:
	s_and_saveexec_b64 s[12:13], s[6:7]
	s_cbranch_execz .LBB102_95
; %bb.92:
	v_mov_b32_e32 v97, 0
	v_add_u32_e32 v97, 0x74, v97
	v_subrev_u32_e32 v98, 29, v0
	s_movk_i32 s14, 0x114
	s_mov_b64 s[6:7], 0
.LBB102_93:                             ; =>This Inner Loop Header: Depth=1
	buffer_load_dword v99, v97, s[0:3], 0 offen
	v_mov_b32_e32 v100, s14
	ds_read_b32 v100, v100
	v_add_u32_e32 v98, -1, v98
	s_add_i32 s14, s14, 4
	v_cmp_eq_u32_e32 vcc, 0, v98
	v_add_u32_e32 v97, 4, v97
	s_or_b64 s[6:7], vcc, s[6:7]
	s_waitcnt vmcnt(0) lgkmcnt(0)
	v_fmac_f32_e32 v96, v99, v100
	s_andn2_b64 exec, exec, s[6:7]
	s_cbranch_execnz .LBB102_93
; %bb.94:
	s_or_b64 exec, exec, s[6:7]
.LBB102_95:
	s_or_b64 exec, exec, s[12:13]
	v_mov_b32_e32 v97, 0
	ds_read_b32 v97, v97 offset:112
	s_waitcnt lgkmcnt(0)
	v_mul_f32_e32 v96, v96, v97
	buffer_store_dword v96, off, s[0:3], 0 offset:112
.LBB102_96:
	s_or_b64 exec, exec, s[8:9]
	buffer_load_dword v96, off, s[0:3], 0 offset:108
	v_cmp_lt_u32_e64 s[6:7], 27, v0
	s_waitcnt vmcnt(0)
	ds_write_b32 v80, v96
	s_waitcnt lgkmcnt(0)
	; wave barrier
	s_waitcnt lgkmcnt(0)
	s_and_saveexec_b64 s[8:9], s[6:7]
	s_cbranch_execz .LBB102_106
; %bb.97:
	s_andn2_b64 vcc, exec, s[10:11]
	s_cbranch_vccnz .LBB102_99
; %bb.98:
	buffer_load_dword v96, v81, s[0:3], 0 offen
	ds_read_b32 v97, v80
	s_waitcnt vmcnt(0) lgkmcnt(0)
	v_mul_f32_e32 v96, v96, v97
	s_cbranch_execz .LBB102_100
	s_branch .LBB102_101
.LBB102_99:
                                        ; implicit-def: $vgpr96
.LBB102_100:
	ds_read_b32 v96, v80
.LBB102_101:
	s_and_saveexec_b64 s[12:13], s[4:5]
	s_cbranch_execz .LBB102_105
; %bb.102:
	v_subrev_u32_e32 v97, 28, v0
	s_movk_i32 s14, 0x110
	s_mov_b64 s[4:5], 0
.LBB102_103:                            ; =>This Inner Loop Header: Depth=1
	buffer_load_dword v98, v95, s[0:3], 0 offen
	v_mov_b32_e32 v99, s14
	ds_read_b32 v99, v99
	v_add_u32_e32 v97, -1, v97
	s_add_i32 s14, s14, 4
	v_cmp_eq_u32_e32 vcc, 0, v97
	v_add_u32_e32 v95, 4, v95
	s_or_b64 s[4:5], vcc, s[4:5]
	s_waitcnt vmcnt(0) lgkmcnt(0)
	v_fmac_f32_e32 v96, v98, v99
	s_andn2_b64 exec, exec, s[4:5]
	s_cbranch_execnz .LBB102_103
; %bb.104:
	s_or_b64 exec, exec, s[4:5]
.LBB102_105:
	s_or_b64 exec, exec, s[12:13]
	v_mov_b32_e32 v95, 0
	ds_read_b32 v95, v95 offset:108
	s_waitcnt lgkmcnt(0)
	v_mul_f32_e32 v95, v96, v95
	buffer_store_dword v95, off, s[0:3], 0 offset:108
.LBB102_106:
	s_or_b64 exec, exec, s[8:9]
	buffer_load_dword v95, off, s[0:3], 0 offset:104
	v_cmp_lt_u32_e64 s[4:5], 26, v0
	s_waitcnt vmcnt(0)
	ds_write_b32 v80, v95
	s_waitcnt lgkmcnt(0)
	; wave barrier
	s_waitcnt lgkmcnt(0)
	s_and_saveexec_b64 s[8:9], s[4:5]
	s_cbranch_execz .LBB102_116
; %bb.107:
	s_andn2_b64 vcc, exec, s[10:11]
	s_cbranch_vccnz .LBB102_109
; %bb.108:
	buffer_load_dword v95, v81, s[0:3], 0 offen
	ds_read_b32 v96, v80
	s_waitcnt vmcnt(0) lgkmcnt(0)
	v_mul_f32_e32 v95, v95, v96
	s_cbranch_execz .LBB102_110
	s_branch .LBB102_111
.LBB102_109:
                                        ; implicit-def: $vgpr95
.LBB102_110:
	ds_read_b32 v95, v80
.LBB102_111:
	s_and_saveexec_b64 s[12:13], s[6:7]
	s_cbranch_execz .LBB102_115
; %bb.112:
	v_mov_b32_e32 v96, 0
	v_add_u32_e32 v96, 0x6c, v96
	v_subrev_u32_e32 v97, 27, v0
	s_movk_i32 s14, 0x10c
	s_mov_b64 s[6:7], 0
.LBB102_113:                            ; =>This Inner Loop Header: Depth=1
	buffer_load_dword v98, v96, s[0:3], 0 offen
	v_mov_b32_e32 v99, s14
	ds_read_b32 v99, v99
	v_add_u32_e32 v97, -1, v97
	s_add_i32 s14, s14, 4
	v_cmp_eq_u32_e32 vcc, 0, v97
	v_add_u32_e32 v96, 4, v96
	s_or_b64 s[6:7], vcc, s[6:7]
	s_waitcnt vmcnt(0) lgkmcnt(0)
	v_fmac_f32_e32 v95, v98, v99
	s_andn2_b64 exec, exec, s[6:7]
	s_cbranch_execnz .LBB102_113
; %bb.114:
	s_or_b64 exec, exec, s[6:7]
.LBB102_115:
	s_or_b64 exec, exec, s[12:13]
	v_mov_b32_e32 v96, 0
	ds_read_b32 v96, v96 offset:104
	s_waitcnt lgkmcnt(0)
	v_mul_f32_e32 v95, v95, v96
	buffer_store_dword v95, off, s[0:3], 0 offset:104
.LBB102_116:
	s_or_b64 exec, exec, s[8:9]
	buffer_load_dword v95, off, s[0:3], 0 offset:100
	v_cmp_lt_u32_e64 s[6:7], 25, v0
	s_waitcnt vmcnt(0)
	ds_write_b32 v80, v95
	s_waitcnt lgkmcnt(0)
	; wave barrier
	s_waitcnt lgkmcnt(0)
	s_and_saveexec_b64 s[8:9], s[6:7]
	s_cbranch_execz .LBB102_126
; %bb.117:
	s_andn2_b64 vcc, exec, s[10:11]
	s_cbranch_vccnz .LBB102_119
; %bb.118:
	buffer_load_dword v95, v81, s[0:3], 0 offen
	ds_read_b32 v96, v80
	s_waitcnt vmcnt(0) lgkmcnt(0)
	v_mul_f32_e32 v95, v95, v96
	s_cbranch_execz .LBB102_120
	s_branch .LBB102_121
.LBB102_119:
                                        ; implicit-def: $vgpr95
.LBB102_120:
	ds_read_b32 v95, v80
.LBB102_121:
	s_and_saveexec_b64 s[12:13], s[4:5]
	s_cbranch_execz .LBB102_125
; %bb.122:
	v_subrev_u32_e32 v96, 26, v0
	s_movk_i32 s14, 0x108
	s_mov_b64 s[4:5], 0
.LBB102_123:                            ; =>This Inner Loop Header: Depth=1
	buffer_load_dword v97, v94, s[0:3], 0 offen
	v_mov_b32_e32 v98, s14
	ds_read_b32 v98, v98
	v_add_u32_e32 v96, -1, v96
	s_add_i32 s14, s14, 4
	v_cmp_eq_u32_e32 vcc, 0, v96
	v_add_u32_e32 v94, 4, v94
	s_or_b64 s[4:5], vcc, s[4:5]
	s_waitcnt vmcnt(0) lgkmcnt(0)
	v_fmac_f32_e32 v95, v97, v98
	s_andn2_b64 exec, exec, s[4:5]
	s_cbranch_execnz .LBB102_123
; %bb.124:
	s_or_b64 exec, exec, s[4:5]
.LBB102_125:
	s_or_b64 exec, exec, s[12:13]
	v_mov_b32_e32 v94, 0
	ds_read_b32 v94, v94 offset:100
	s_waitcnt lgkmcnt(0)
	v_mul_f32_e32 v94, v95, v94
	buffer_store_dword v94, off, s[0:3], 0 offset:100
.LBB102_126:
	s_or_b64 exec, exec, s[8:9]
	buffer_load_dword v94, off, s[0:3], 0 offset:96
	v_cmp_lt_u32_e64 s[4:5], 24, v0
	s_waitcnt vmcnt(0)
	ds_write_b32 v80, v94
	s_waitcnt lgkmcnt(0)
	; wave barrier
	s_waitcnt lgkmcnt(0)
	s_and_saveexec_b64 s[8:9], s[4:5]
	s_cbranch_execz .LBB102_136
; %bb.127:
	s_andn2_b64 vcc, exec, s[10:11]
	s_cbranch_vccnz .LBB102_129
; %bb.128:
	buffer_load_dword v94, v81, s[0:3], 0 offen
	ds_read_b32 v95, v80
	s_waitcnt vmcnt(0) lgkmcnt(0)
	v_mul_f32_e32 v94, v94, v95
	s_cbranch_execz .LBB102_130
	s_branch .LBB102_131
.LBB102_129:
                                        ; implicit-def: $vgpr94
.LBB102_130:
	ds_read_b32 v94, v80
.LBB102_131:
	s_and_saveexec_b64 s[12:13], s[6:7]
	s_cbranch_execz .LBB102_135
; %bb.132:
	v_mov_b32_e32 v95, 0
	v_add_u32_e32 v95, 0x64, v95
	v_subrev_u32_e32 v96, 25, v0
	s_movk_i32 s14, 0x104
	s_mov_b64 s[6:7], 0
.LBB102_133:                            ; =>This Inner Loop Header: Depth=1
	buffer_load_dword v97, v95, s[0:3], 0 offen
	v_mov_b32_e32 v98, s14
	ds_read_b32 v98, v98
	v_add_u32_e32 v96, -1, v96
	s_add_i32 s14, s14, 4
	v_cmp_eq_u32_e32 vcc, 0, v96
	v_add_u32_e32 v95, 4, v95
	s_or_b64 s[6:7], vcc, s[6:7]
	s_waitcnt vmcnt(0) lgkmcnt(0)
	v_fmac_f32_e32 v94, v97, v98
	s_andn2_b64 exec, exec, s[6:7]
	s_cbranch_execnz .LBB102_133
; %bb.134:
	s_or_b64 exec, exec, s[6:7]
.LBB102_135:
	s_or_b64 exec, exec, s[12:13]
	v_mov_b32_e32 v95, 0
	ds_read_b32 v95, v95 offset:96
	s_waitcnt lgkmcnt(0)
	v_mul_f32_e32 v94, v94, v95
	buffer_store_dword v94, off, s[0:3], 0 offset:96
.LBB102_136:
	s_or_b64 exec, exec, s[8:9]
	buffer_load_dword v94, off, s[0:3], 0 offset:92
	v_cmp_lt_u32_e64 s[6:7], 23, v0
	s_waitcnt vmcnt(0)
	ds_write_b32 v80, v94
	s_waitcnt lgkmcnt(0)
	; wave barrier
	s_waitcnt lgkmcnt(0)
	s_and_saveexec_b64 s[8:9], s[6:7]
	s_cbranch_execz .LBB102_146
; %bb.137:
	s_andn2_b64 vcc, exec, s[10:11]
	s_cbranch_vccnz .LBB102_139
; %bb.138:
	buffer_load_dword v94, v81, s[0:3], 0 offen
	ds_read_b32 v95, v80
	s_waitcnt vmcnt(0) lgkmcnt(0)
	v_mul_f32_e32 v94, v94, v95
	s_cbranch_execz .LBB102_140
	s_branch .LBB102_141
.LBB102_139:
                                        ; implicit-def: $vgpr94
.LBB102_140:
	ds_read_b32 v94, v80
.LBB102_141:
	s_and_saveexec_b64 s[12:13], s[4:5]
	s_cbranch_execz .LBB102_145
; %bb.142:
	v_subrev_u32_e32 v95, 24, v0
	s_movk_i32 s14, 0x100
	s_mov_b64 s[4:5], 0
.LBB102_143:                            ; =>This Inner Loop Header: Depth=1
	buffer_load_dword v96, v93, s[0:3], 0 offen
	v_mov_b32_e32 v97, s14
	ds_read_b32 v97, v97
	v_add_u32_e32 v95, -1, v95
	s_add_i32 s14, s14, 4
	v_cmp_eq_u32_e32 vcc, 0, v95
	v_add_u32_e32 v93, 4, v93
	s_or_b64 s[4:5], vcc, s[4:5]
	s_waitcnt vmcnt(0) lgkmcnt(0)
	v_fmac_f32_e32 v94, v96, v97
	s_andn2_b64 exec, exec, s[4:5]
	s_cbranch_execnz .LBB102_143
; %bb.144:
	s_or_b64 exec, exec, s[4:5]
.LBB102_145:
	s_or_b64 exec, exec, s[12:13]
	v_mov_b32_e32 v93, 0
	ds_read_b32 v93, v93 offset:92
	s_waitcnt lgkmcnt(0)
	v_mul_f32_e32 v93, v94, v93
	buffer_store_dword v93, off, s[0:3], 0 offset:92
.LBB102_146:
	s_or_b64 exec, exec, s[8:9]
	buffer_load_dword v93, off, s[0:3], 0 offset:88
	v_cmp_lt_u32_e64 s[4:5], 22, v0
	s_waitcnt vmcnt(0)
	ds_write_b32 v80, v93
	s_waitcnt lgkmcnt(0)
	; wave barrier
	s_waitcnt lgkmcnt(0)
	s_and_saveexec_b64 s[8:9], s[4:5]
	s_cbranch_execz .LBB102_156
; %bb.147:
	s_andn2_b64 vcc, exec, s[10:11]
	s_cbranch_vccnz .LBB102_149
; %bb.148:
	buffer_load_dword v93, v81, s[0:3], 0 offen
	ds_read_b32 v94, v80
	s_waitcnt vmcnt(0) lgkmcnt(0)
	v_mul_f32_e32 v93, v93, v94
	s_cbranch_execz .LBB102_150
	s_branch .LBB102_151
.LBB102_149:
                                        ; implicit-def: $vgpr93
.LBB102_150:
	ds_read_b32 v93, v80
.LBB102_151:
	s_and_saveexec_b64 s[12:13], s[6:7]
	s_cbranch_execz .LBB102_155
; %bb.152:
	v_mov_b32_e32 v94, 0
	v_add_u32_e32 v94, 0x5c, v94
	v_subrev_u32_e32 v95, 23, v0
	s_movk_i32 s14, 0xfc
	s_mov_b64 s[6:7], 0
.LBB102_153:                            ; =>This Inner Loop Header: Depth=1
	buffer_load_dword v96, v94, s[0:3], 0 offen
	v_mov_b32_e32 v97, s14
	ds_read_b32 v97, v97
	v_add_u32_e32 v95, -1, v95
	s_add_i32 s14, s14, 4
	v_cmp_eq_u32_e32 vcc, 0, v95
	v_add_u32_e32 v94, 4, v94
	s_or_b64 s[6:7], vcc, s[6:7]
	s_waitcnt vmcnt(0) lgkmcnt(0)
	v_fmac_f32_e32 v93, v96, v97
	s_andn2_b64 exec, exec, s[6:7]
	s_cbranch_execnz .LBB102_153
; %bb.154:
	s_or_b64 exec, exec, s[6:7]
.LBB102_155:
	s_or_b64 exec, exec, s[12:13]
	v_mov_b32_e32 v94, 0
	ds_read_b32 v94, v94 offset:88
	s_waitcnt lgkmcnt(0)
	v_mul_f32_e32 v93, v93, v94
	buffer_store_dword v93, off, s[0:3], 0 offset:88
.LBB102_156:
	s_or_b64 exec, exec, s[8:9]
	buffer_load_dword v93, off, s[0:3], 0 offset:84
	v_cmp_lt_u32_e64 s[6:7], 21, v0
	s_waitcnt vmcnt(0)
	ds_write_b32 v80, v93
	s_waitcnt lgkmcnt(0)
	; wave barrier
	s_waitcnt lgkmcnt(0)
	s_and_saveexec_b64 s[8:9], s[6:7]
	s_cbranch_execz .LBB102_166
; %bb.157:
	s_andn2_b64 vcc, exec, s[10:11]
	s_cbranch_vccnz .LBB102_159
; %bb.158:
	buffer_load_dword v93, v81, s[0:3], 0 offen
	ds_read_b32 v94, v80
	s_waitcnt vmcnt(0) lgkmcnt(0)
	v_mul_f32_e32 v93, v93, v94
	s_cbranch_execz .LBB102_160
	s_branch .LBB102_161
.LBB102_159:
                                        ; implicit-def: $vgpr93
.LBB102_160:
	ds_read_b32 v93, v80
.LBB102_161:
	s_and_saveexec_b64 s[12:13], s[4:5]
	s_cbranch_execz .LBB102_165
; %bb.162:
	v_subrev_u32_e32 v94, 22, v0
	s_movk_i32 s14, 0xf8
	s_mov_b64 s[4:5], 0
.LBB102_163:                            ; =>This Inner Loop Header: Depth=1
	buffer_load_dword v95, v92, s[0:3], 0 offen
	v_mov_b32_e32 v96, s14
	ds_read_b32 v96, v96
	v_add_u32_e32 v94, -1, v94
	s_add_i32 s14, s14, 4
	v_cmp_eq_u32_e32 vcc, 0, v94
	v_add_u32_e32 v92, 4, v92
	s_or_b64 s[4:5], vcc, s[4:5]
	s_waitcnt vmcnt(0) lgkmcnt(0)
	v_fmac_f32_e32 v93, v95, v96
	s_andn2_b64 exec, exec, s[4:5]
	s_cbranch_execnz .LBB102_163
; %bb.164:
	s_or_b64 exec, exec, s[4:5]
.LBB102_165:
	s_or_b64 exec, exec, s[12:13]
	v_mov_b32_e32 v92, 0
	ds_read_b32 v92, v92 offset:84
	s_waitcnt lgkmcnt(0)
	v_mul_f32_e32 v92, v93, v92
	buffer_store_dword v92, off, s[0:3], 0 offset:84
.LBB102_166:
	s_or_b64 exec, exec, s[8:9]
	buffer_load_dword v92, off, s[0:3], 0 offset:80
	v_cmp_lt_u32_e64 s[4:5], 20, v0
	s_waitcnt vmcnt(0)
	ds_write_b32 v80, v92
	s_waitcnt lgkmcnt(0)
	; wave barrier
	s_waitcnt lgkmcnt(0)
	s_and_saveexec_b64 s[8:9], s[4:5]
	s_cbranch_execz .LBB102_176
; %bb.167:
	s_andn2_b64 vcc, exec, s[10:11]
	s_cbranch_vccnz .LBB102_169
; %bb.168:
	buffer_load_dword v92, v81, s[0:3], 0 offen
	ds_read_b32 v93, v80
	s_waitcnt vmcnt(0) lgkmcnt(0)
	v_mul_f32_e32 v92, v92, v93
	s_cbranch_execz .LBB102_170
	s_branch .LBB102_171
.LBB102_169:
                                        ; implicit-def: $vgpr92
.LBB102_170:
	ds_read_b32 v92, v80
.LBB102_171:
	s_and_saveexec_b64 s[12:13], s[6:7]
	s_cbranch_execz .LBB102_175
; %bb.172:
	v_mov_b32_e32 v93, 0
	v_add_u32_e32 v93, 0x54, v93
	v_subrev_u32_e32 v94, 21, v0
	s_movk_i32 s14, 0xf4
	s_mov_b64 s[6:7], 0
.LBB102_173:                            ; =>This Inner Loop Header: Depth=1
	buffer_load_dword v95, v93, s[0:3], 0 offen
	v_mov_b32_e32 v96, s14
	ds_read_b32 v96, v96
	v_add_u32_e32 v94, -1, v94
	s_add_i32 s14, s14, 4
	v_cmp_eq_u32_e32 vcc, 0, v94
	v_add_u32_e32 v93, 4, v93
	s_or_b64 s[6:7], vcc, s[6:7]
	s_waitcnt vmcnt(0) lgkmcnt(0)
	v_fmac_f32_e32 v92, v95, v96
	s_andn2_b64 exec, exec, s[6:7]
	s_cbranch_execnz .LBB102_173
; %bb.174:
	s_or_b64 exec, exec, s[6:7]
.LBB102_175:
	s_or_b64 exec, exec, s[12:13]
	v_mov_b32_e32 v93, 0
	ds_read_b32 v93, v93 offset:80
	s_waitcnt lgkmcnt(0)
	v_mul_f32_e32 v92, v92, v93
	buffer_store_dword v92, off, s[0:3], 0 offset:80
.LBB102_176:
	s_or_b64 exec, exec, s[8:9]
	buffer_load_dword v92, off, s[0:3], 0 offset:76
	v_cmp_lt_u32_e64 s[6:7], 19, v0
	s_waitcnt vmcnt(0)
	ds_write_b32 v80, v92
	s_waitcnt lgkmcnt(0)
	; wave barrier
	s_waitcnt lgkmcnt(0)
	s_and_saveexec_b64 s[8:9], s[6:7]
	s_cbranch_execz .LBB102_186
; %bb.177:
	s_andn2_b64 vcc, exec, s[10:11]
	s_cbranch_vccnz .LBB102_179
; %bb.178:
	buffer_load_dword v92, v81, s[0:3], 0 offen
	ds_read_b32 v93, v80
	s_waitcnt vmcnt(0) lgkmcnt(0)
	v_mul_f32_e32 v92, v92, v93
	s_cbranch_execz .LBB102_180
	s_branch .LBB102_181
.LBB102_179:
                                        ; implicit-def: $vgpr92
.LBB102_180:
	ds_read_b32 v92, v80
.LBB102_181:
	s_and_saveexec_b64 s[12:13], s[4:5]
	s_cbranch_execz .LBB102_185
; %bb.182:
	v_subrev_u32_e32 v93, 20, v0
	s_movk_i32 s14, 0xf0
	s_mov_b64 s[4:5], 0
.LBB102_183:                            ; =>This Inner Loop Header: Depth=1
	buffer_load_dword v94, v91, s[0:3], 0 offen
	v_mov_b32_e32 v95, s14
	ds_read_b32 v95, v95
	v_add_u32_e32 v93, -1, v93
	s_add_i32 s14, s14, 4
	v_cmp_eq_u32_e32 vcc, 0, v93
	v_add_u32_e32 v91, 4, v91
	s_or_b64 s[4:5], vcc, s[4:5]
	s_waitcnt vmcnt(0) lgkmcnt(0)
	v_fmac_f32_e32 v92, v94, v95
	s_andn2_b64 exec, exec, s[4:5]
	s_cbranch_execnz .LBB102_183
; %bb.184:
	s_or_b64 exec, exec, s[4:5]
.LBB102_185:
	s_or_b64 exec, exec, s[12:13]
	v_mov_b32_e32 v91, 0
	ds_read_b32 v91, v91 offset:76
	s_waitcnt lgkmcnt(0)
	v_mul_f32_e32 v91, v92, v91
	buffer_store_dword v91, off, s[0:3], 0 offset:76
.LBB102_186:
	s_or_b64 exec, exec, s[8:9]
	buffer_load_dword v91, off, s[0:3], 0 offset:72
	v_cmp_lt_u32_e64 s[4:5], 18, v0
	s_waitcnt vmcnt(0)
	ds_write_b32 v80, v91
	s_waitcnt lgkmcnt(0)
	; wave barrier
	s_waitcnt lgkmcnt(0)
	s_and_saveexec_b64 s[8:9], s[4:5]
	s_cbranch_execz .LBB102_196
; %bb.187:
	s_andn2_b64 vcc, exec, s[10:11]
	s_cbranch_vccnz .LBB102_189
; %bb.188:
	buffer_load_dword v91, v81, s[0:3], 0 offen
	ds_read_b32 v92, v80
	s_waitcnt vmcnt(0) lgkmcnt(0)
	v_mul_f32_e32 v91, v91, v92
	s_cbranch_execz .LBB102_190
	s_branch .LBB102_191
.LBB102_189:
                                        ; implicit-def: $vgpr91
.LBB102_190:
	ds_read_b32 v91, v80
.LBB102_191:
	s_and_saveexec_b64 s[12:13], s[6:7]
	s_cbranch_execz .LBB102_195
; %bb.192:
	v_mov_b32_e32 v92, 0
	v_add_u32_e32 v92, 0x4c, v92
	v_subrev_u32_e32 v93, 19, v0
	s_movk_i32 s14, 0xec
	s_mov_b64 s[6:7], 0
.LBB102_193:                            ; =>This Inner Loop Header: Depth=1
	buffer_load_dword v94, v92, s[0:3], 0 offen
	v_mov_b32_e32 v95, s14
	ds_read_b32 v95, v95
	v_add_u32_e32 v93, -1, v93
	s_add_i32 s14, s14, 4
	v_cmp_eq_u32_e32 vcc, 0, v93
	v_add_u32_e32 v92, 4, v92
	s_or_b64 s[6:7], vcc, s[6:7]
	s_waitcnt vmcnt(0) lgkmcnt(0)
	v_fmac_f32_e32 v91, v94, v95
	s_andn2_b64 exec, exec, s[6:7]
	s_cbranch_execnz .LBB102_193
; %bb.194:
	s_or_b64 exec, exec, s[6:7]
.LBB102_195:
	s_or_b64 exec, exec, s[12:13]
	v_mov_b32_e32 v92, 0
	ds_read_b32 v92, v92 offset:72
	s_waitcnt lgkmcnt(0)
	v_mul_f32_e32 v91, v91, v92
	buffer_store_dword v91, off, s[0:3], 0 offset:72
.LBB102_196:
	s_or_b64 exec, exec, s[8:9]
	buffer_load_dword v91, off, s[0:3], 0 offset:68
	v_cmp_lt_u32_e64 s[6:7], 17, v0
	s_waitcnt vmcnt(0)
	ds_write_b32 v80, v91
	s_waitcnt lgkmcnt(0)
	; wave barrier
	s_waitcnt lgkmcnt(0)
	s_and_saveexec_b64 s[8:9], s[6:7]
	s_cbranch_execz .LBB102_206
; %bb.197:
	s_andn2_b64 vcc, exec, s[10:11]
	s_cbranch_vccnz .LBB102_199
; %bb.198:
	buffer_load_dword v91, v81, s[0:3], 0 offen
	ds_read_b32 v92, v80
	s_waitcnt vmcnt(0) lgkmcnt(0)
	v_mul_f32_e32 v91, v91, v92
	s_cbranch_execz .LBB102_200
	s_branch .LBB102_201
.LBB102_199:
                                        ; implicit-def: $vgpr91
.LBB102_200:
	ds_read_b32 v91, v80
.LBB102_201:
	s_and_saveexec_b64 s[12:13], s[4:5]
	s_cbranch_execz .LBB102_205
; %bb.202:
	v_subrev_u32_e32 v92, 18, v0
	s_movk_i32 s14, 0xe8
	s_mov_b64 s[4:5], 0
.LBB102_203:                            ; =>This Inner Loop Header: Depth=1
	buffer_load_dword v93, v90, s[0:3], 0 offen
	v_mov_b32_e32 v94, s14
	ds_read_b32 v94, v94
	v_add_u32_e32 v92, -1, v92
	s_add_i32 s14, s14, 4
	v_cmp_eq_u32_e32 vcc, 0, v92
	v_add_u32_e32 v90, 4, v90
	s_or_b64 s[4:5], vcc, s[4:5]
	s_waitcnt vmcnt(0) lgkmcnt(0)
	v_fmac_f32_e32 v91, v93, v94
	s_andn2_b64 exec, exec, s[4:5]
	s_cbranch_execnz .LBB102_203
; %bb.204:
	s_or_b64 exec, exec, s[4:5]
.LBB102_205:
	s_or_b64 exec, exec, s[12:13]
	v_mov_b32_e32 v90, 0
	ds_read_b32 v90, v90 offset:68
	s_waitcnt lgkmcnt(0)
	v_mul_f32_e32 v90, v91, v90
	buffer_store_dword v90, off, s[0:3], 0 offset:68
.LBB102_206:
	s_or_b64 exec, exec, s[8:9]
	buffer_load_dword v90, off, s[0:3], 0 offset:64
	v_cmp_lt_u32_e64 s[4:5], 16, v0
	s_waitcnt vmcnt(0)
	ds_write_b32 v80, v90
	s_waitcnt lgkmcnt(0)
	; wave barrier
	s_waitcnt lgkmcnt(0)
	s_and_saveexec_b64 s[8:9], s[4:5]
	s_cbranch_execz .LBB102_216
; %bb.207:
	s_andn2_b64 vcc, exec, s[10:11]
	s_cbranch_vccnz .LBB102_209
; %bb.208:
	buffer_load_dword v90, v81, s[0:3], 0 offen
	ds_read_b32 v91, v80
	s_waitcnt vmcnt(0) lgkmcnt(0)
	v_mul_f32_e32 v90, v90, v91
	s_cbranch_execz .LBB102_210
	s_branch .LBB102_211
.LBB102_209:
                                        ; implicit-def: $vgpr90
.LBB102_210:
	ds_read_b32 v90, v80
.LBB102_211:
	s_and_saveexec_b64 s[12:13], s[6:7]
	s_cbranch_execz .LBB102_215
; %bb.212:
	v_mov_b32_e32 v91, 0
	v_add_u32_e32 v91, 0x44, v91
	v_subrev_u32_e32 v92, 17, v0
	s_movk_i32 s14, 0xe4
	s_mov_b64 s[6:7], 0
.LBB102_213:                            ; =>This Inner Loop Header: Depth=1
	buffer_load_dword v93, v91, s[0:3], 0 offen
	v_mov_b32_e32 v94, s14
	ds_read_b32 v94, v94
	v_add_u32_e32 v92, -1, v92
	s_add_i32 s14, s14, 4
	v_cmp_eq_u32_e32 vcc, 0, v92
	v_add_u32_e32 v91, 4, v91
	s_or_b64 s[6:7], vcc, s[6:7]
	s_waitcnt vmcnt(0) lgkmcnt(0)
	v_fmac_f32_e32 v90, v93, v94
	s_andn2_b64 exec, exec, s[6:7]
	s_cbranch_execnz .LBB102_213
; %bb.214:
	s_or_b64 exec, exec, s[6:7]
.LBB102_215:
	s_or_b64 exec, exec, s[12:13]
	v_mov_b32_e32 v91, 0
	ds_read_b32 v91, v91 offset:64
	s_waitcnt lgkmcnt(0)
	v_mul_f32_e32 v90, v90, v91
	buffer_store_dword v90, off, s[0:3], 0 offset:64
.LBB102_216:
	s_or_b64 exec, exec, s[8:9]
	buffer_load_dword v90, off, s[0:3], 0 offset:60
	v_cmp_lt_u32_e64 s[6:7], 15, v0
	s_waitcnt vmcnt(0)
	ds_write_b32 v80, v90
	s_waitcnt lgkmcnt(0)
	; wave barrier
	s_waitcnt lgkmcnt(0)
	s_and_saveexec_b64 s[8:9], s[6:7]
	s_cbranch_execz .LBB102_226
; %bb.217:
	s_andn2_b64 vcc, exec, s[10:11]
	s_cbranch_vccnz .LBB102_219
; %bb.218:
	buffer_load_dword v90, v81, s[0:3], 0 offen
	ds_read_b32 v91, v80
	s_waitcnt vmcnt(0) lgkmcnt(0)
	v_mul_f32_e32 v90, v90, v91
	s_cbranch_execz .LBB102_220
	s_branch .LBB102_221
.LBB102_219:
                                        ; implicit-def: $vgpr90
.LBB102_220:
	ds_read_b32 v90, v80
.LBB102_221:
	s_and_saveexec_b64 s[12:13], s[4:5]
	s_cbranch_execz .LBB102_225
; %bb.222:
	v_add_u32_e32 v91, -16, v0
	s_movk_i32 s14, 0xe0
	s_mov_b64 s[4:5], 0
.LBB102_223:                            ; =>This Inner Loop Header: Depth=1
	buffer_load_dword v92, v89, s[0:3], 0 offen
	v_mov_b32_e32 v93, s14
	ds_read_b32 v93, v93
	v_add_u32_e32 v91, -1, v91
	s_add_i32 s14, s14, 4
	v_cmp_eq_u32_e32 vcc, 0, v91
	v_add_u32_e32 v89, 4, v89
	s_or_b64 s[4:5], vcc, s[4:5]
	s_waitcnt vmcnt(0) lgkmcnt(0)
	v_fmac_f32_e32 v90, v92, v93
	s_andn2_b64 exec, exec, s[4:5]
	s_cbranch_execnz .LBB102_223
; %bb.224:
	s_or_b64 exec, exec, s[4:5]
.LBB102_225:
	s_or_b64 exec, exec, s[12:13]
	v_mov_b32_e32 v89, 0
	ds_read_b32 v89, v89 offset:60
	s_waitcnt lgkmcnt(0)
	v_mul_f32_e32 v89, v90, v89
	buffer_store_dword v89, off, s[0:3], 0 offset:60
.LBB102_226:
	s_or_b64 exec, exec, s[8:9]
	buffer_load_dword v89, off, s[0:3], 0 offset:56
	v_cmp_lt_u32_e64 s[4:5], 14, v0
	s_waitcnt vmcnt(0)
	ds_write_b32 v80, v89
	s_waitcnt lgkmcnt(0)
	; wave barrier
	s_waitcnt lgkmcnt(0)
	s_and_saveexec_b64 s[8:9], s[4:5]
	s_cbranch_execz .LBB102_236
; %bb.227:
	s_andn2_b64 vcc, exec, s[10:11]
	s_cbranch_vccnz .LBB102_229
; %bb.228:
	buffer_load_dword v89, v81, s[0:3], 0 offen
	ds_read_b32 v90, v80
	s_waitcnt vmcnt(0) lgkmcnt(0)
	v_mul_f32_e32 v89, v89, v90
	s_cbranch_execz .LBB102_230
	s_branch .LBB102_231
.LBB102_229:
                                        ; implicit-def: $vgpr89
.LBB102_230:
	ds_read_b32 v89, v80
.LBB102_231:
	s_and_saveexec_b64 s[12:13], s[6:7]
	s_cbranch_execz .LBB102_235
; %bb.232:
	v_mov_b32_e32 v90, 0
	v_add_u32_e32 v90, 60, v90
	v_add_u32_e32 v91, -15, v0
	s_movk_i32 s14, 0xdc
	s_mov_b64 s[6:7], 0
.LBB102_233:                            ; =>This Inner Loop Header: Depth=1
	buffer_load_dword v92, v90, s[0:3], 0 offen
	v_mov_b32_e32 v93, s14
	ds_read_b32 v93, v93
	v_add_u32_e32 v91, -1, v91
	s_add_i32 s14, s14, 4
	v_cmp_eq_u32_e32 vcc, 0, v91
	v_add_u32_e32 v90, 4, v90
	s_or_b64 s[6:7], vcc, s[6:7]
	s_waitcnt vmcnt(0) lgkmcnt(0)
	v_fmac_f32_e32 v89, v92, v93
	s_andn2_b64 exec, exec, s[6:7]
	s_cbranch_execnz .LBB102_233
; %bb.234:
	s_or_b64 exec, exec, s[6:7]
.LBB102_235:
	s_or_b64 exec, exec, s[12:13]
	v_mov_b32_e32 v90, 0
	ds_read_b32 v90, v90 offset:56
	s_waitcnt lgkmcnt(0)
	v_mul_f32_e32 v89, v89, v90
	buffer_store_dword v89, off, s[0:3], 0 offset:56
.LBB102_236:
	s_or_b64 exec, exec, s[8:9]
	buffer_load_dword v89, off, s[0:3], 0 offset:52
	v_cmp_lt_u32_e64 s[6:7], 13, v0
	s_waitcnt vmcnt(0)
	ds_write_b32 v80, v89
	s_waitcnt lgkmcnt(0)
	; wave barrier
	s_waitcnt lgkmcnt(0)
	s_and_saveexec_b64 s[8:9], s[6:7]
	s_cbranch_execz .LBB102_246
; %bb.237:
	s_andn2_b64 vcc, exec, s[10:11]
	s_cbranch_vccnz .LBB102_239
; %bb.238:
	buffer_load_dword v89, v81, s[0:3], 0 offen
	ds_read_b32 v90, v80
	s_waitcnt vmcnt(0) lgkmcnt(0)
	v_mul_f32_e32 v89, v89, v90
	s_cbranch_execz .LBB102_240
	s_branch .LBB102_241
.LBB102_239:
                                        ; implicit-def: $vgpr89
.LBB102_240:
	ds_read_b32 v89, v80
.LBB102_241:
	s_and_saveexec_b64 s[12:13], s[4:5]
	s_cbranch_execz .LBB102_245
; %bb.242:
	v_add_u32_e32 v90, -14, v0
	s_movk_i32 s14, 0xd8
	s_mov_b64 s[4:5], 0
.LBB102_243:                            ; =>This Inner Loop Header: Depth=1
	buffer_load_dword v91, v88, s[0:3], 0 offen
	v_mov_b32_e32 v92, s14
	ds_read_b32 v92, v92
	v_add_u32_e32 v90, -1, v90
	s_add_i32 s14, s14, 4
	v_cmp_eq_u32_e32 vcc, 0, v90
	v_add_u32_e32 v88, 4, v88
	s_or_b64 s[4:5], vcc, s[4:5]
	s_waitcnt vmcnt(0) lgkmcnt(0)
	v_fmac_f32_e32 v89, v91, v92
	s_andn2_b64 exec, exec, s[4:5]
	s_cbranch_execnz .LBB102_243
; %bb.244:
	s_or_b64 exec, exec, s[4:5]
.LBB102_245:
	s_or_b64 exec, exec, s[12:13]
	v_mov_b32_e32 v88, 0
	ds_read_b32 v88, v88 offset:52
	s_waitcnt lgkmcnt(0)
	v_mul_f32_e32 v88, v89, v88
	buffer_store_dword v88, off, s[0:3], 0 offset:52
.LBB102_246:
	s_or_b64 exec, exec, s[8:9]
	buffer_load_dword v88, off, s[0:3], 0 offset:48
	v_cmp_lt_u32_e64 s[4:5], 12, v0
	s_waitcnt vmcnt(0)
	ds_write_b32 v80, v88
	s_waitcnt lgkmcnt(0)
	; wave barrier
	s_waitcnt lgkmcnt(0)
	s_and_saveexec_b64 s[8:9], s[4:5]
	s_cbranch_execz .LBB102_256
; %bb.247:
	s_andn2_b64 vcc, exec, s[10:11]
	s_cbranch_vccnz .LBB102_249
; %bb.248:
	buffer_load_dword v88, v81, s[0:3], 0 offen
	ds_read_b32 v89, v80
	s_waitcnt vmcnt(0) lgkmcnt(0)
	v_mul_f32_e32 v88, v88, v89
	s_cbranch_execz .LBB102_250
	s_branch .LBB102_251
.LBB102_249:
                                        ; implicit-def: $vgpr88
.LBB102_250:
	ds_read_b32 v88, v80
.LBB102_251:
	s_and_saveexec_b64 s[12:13], s[6:7]
	s_cbranch_execz .LBB102_255
; %bb.252:
	v_mov_b32_e32 v89, 0
	v_add_u32_e32 v89, 52, v89
	v_add_u32_e32 v90, -13, v0
	s_movk_i32 s14, 0xd4
	s_mov_b64 s[6:7], 0
.LBB102_253:                            ; =>This Inner Loop Header: Depth=1
	buffer_load_dword v91, v89, s[0:3], 0 offen
	v_mov_b32_e32 v92, s14
	ds_read_b32 v92, v92
	v_add_u32_e32 v90, -1, v90
	s_add_i32 s14, s14, 4
	v_cmp_eq_u32_e32 vcc, 0, v90
	v_add_u32_e32 v89, 4, v89
	s_or_b64 s[6:7], vcc, s[6:7]
	s_waitcnt vmcnt(0) lgkmcnt(0)
	v_fmac_f32_e32 v88, v91, v92
	s_andn2_b64 exec, exec, s[6:7]
	s_cbranch_execnz .LBB102_253
; %bb.254:
	s_or_b64 exec, exec, s[6:7]
.LBB102_255:
	s_or_b64 exec, exec, s[12:13]
	v_mov_b32_e32 v89, 0
	ds_read_b32 v89, v89 offset:48
	s_waitcnt lgkmcnt(0)
	v_mul_f32_e32 v88, v88, v89
	buffer_store_dword v88, off, s[0:3], 0 offset:48
.LBB102_256:
	s_or_b64 exec, exec, s[8:9]
	buffer_load_dword v88, off, s[0:3], 0 offset:44
	v_cmp_lt_u32_e64 s[6:7], 11, v0
	s_waitcnt vmcnt(0)
	ds_write_b32 v80, v88
	s_waitcnt lgkmcnt(0)
	; wave barrier
	s_waitcnt lgkmcnt(0)
	s_and_saveexec_b64 s[8:9], s[6:7]
	s_cbranch_execz .LBB102_266
; %bb.257:
	s_andn2_b64 vcc, exec, s[10:11]
	s_cbranch_vccnz .LBB102_259
; %bb.258:
	buffer_load_dword v88, v81, s[0:3], 0 offen
	ds_read_b32 v89, v80
	s_waitcnt vmcnt(0) lgkmcnt(0)
	v_mul_f32_e32 v88, v88, v89
	s_cbranch_execz .LBB102_260
	s_branch .LBB102_261
.LBB102_259:
                                        ; implicit-def: $vgpr88
.LBB102_260:
	ds_read_b32 v88, v80
.LBB102_261:
	s_and_saveexec_b64 s[12:13], s[4:5]
	s_cbranch_execz .LBB102_265
; %bb.262:
	v_add_u32_e32 v89, -12, v0
	s_movk_i32 s14, 0xd0
	s_mov_b64 s[4:5], 0
.LBB102_263:                            ; =>This Inner Loop Header: Depth=1
	buffer_load_dword v90, v87, s[0:3], 0 offen
	v_mov_b32_e32 v91, s14
	ds_read_b32 v91, v91
	v_add_u32_e32 v89, -1, v89
	s_add_i32 s14, s14, 4
	v_cmp_eq_u32_e32 vcc, 0, v89
	v_add_u32_e32 v87, 4, v87
	s_or_b64 s[4:5], vcc, s[4:5]
	s_waitcnt vmcnt(0) lgkmcnt(0)
	v_fmac_f32_e32 v88, v90, v91
	s_andn2_b64 exec, exec, s[4:5]
	s_cbranch_execnz .LBB102_263
; %bb.264:
	s_or_b64 exec, exec, s[4:5]
.LBB102_265:
	s_or_b64 exec, exec, s[12:13]
	v_mov_b32_e32 v87, 0
	ds_read_b32 v87, v87 offset:44
	s_waitcnt lgkmcnt(0)
	v_mul_f32_e32 v87, v88, v87
	buffer_store_dword v87, off, s[0:3], 0 offset:44
.LBB102_266:
	s_or_b64 exec, exec, s[8:9]
	buffer_load_dword v87, off, s[0:3], 0 offset:40
	v_cmp_lt_u32_e64 s[4:5], 10, v0
	s_waitcnt vmcnt(0)
	ds_write_b32 v80, v87
	s_waitcnt lgkmcnt(0)
	; wave barrier
	s_waitcnt lgkmcnt(0)
	s_and_saveexec_b64 s[8:9], s[4:5]
	s_cbranch_execz .LBB102_276
; %bb.267:
	s_andn2_b64 vcc, exec, s[10:11]
	s_cbranch_vccnz .LBB102_269
; %bb.268:
	buffer_load_dword v87, v81, s[0:3], 0 offen
	ds_read_b32 v88, v80
	s_waitcnt vmcnt(0) lgkmcnt(0)
	v_mul_f32_e32 v87, v87, v88
	s_cbranch_execz .LBB102_270
	s_branch .LBB102_271
.LBB102_269:
                                        ; implicit-def: $vgpr87
.LBB102_270:
	ds_read_b32 v87, v80
.LBB102_271:
	s_and_saveexec_b64 s[12:13], s[6:7]
	s_cbranch_execz .LBB102_275
; %bb.272:
	v_mov_b32_e32 v88, 0
	v_add_u32_e32 v88, 44, v88
	v_add_u32_e32 v89, -11, v0
	s_movk_i32 s14, 0xcc
	s_mov_b64 s[6:7], 0
.LBB102_273:                            ; =>This Inner Loop Header: Depth=1
	buffer_load_dword v90, v88, s[0:3], 0 offen
	v_mov_b32_e32 v91, s14
	ds_read_b32 v91, v91
	v_add_u32_e32 v89, -1, v89
	s_add_i32 s14, s14, 4
	v_cmp_eq_u32_e32 vcc, 0, v89
	v_add_u32_e32 v88, 4, v88
	s_or_b64 s[6:7], vcc, s[6:7]
	s_waitcnt vmcnt(0) lgkmcnt(0)
	v_fmac_f32_e32 v87, v90, v91
	s_andn2_b64 exec, exec, s[6:7]
	s_cbranch_execnz .LBB102_273
; %bb.274:
	s_or_b64 exec, exec, s[6:7]
.LBB102_275:
	s_or_b64 exec, exec, s[12:13]
	v_mov_b32_e32 v88, 0
	ds_read_b32 v88, v88 offset:40
	s_waitcnt lgkmcnt(0)
	v_mul_f32_e32 v87, v87, v88
	buffer_store_dword v87, off, s[0:3], 0 offset:40
.LBB102_276:
	s_or_b64 exec, exec, s[8:9]
	buffer_load_dword v87, off, s[0:3], 0 offset:36
	v_cmp_lt_u32_e64 s[6:7], 9, v0
	s_waitcnt vmcnt(0)
	ds_write_b32 v80, v87
	s_waitcnt lgkmcnt(0)
	; wave barrier
	s_waitcnt lgkmcnt(0)
	s_and_saveexec_b64 s[8:9], s[6:7]
	s_cbranch_execz .LBB102_286
; %bb.277:
	s_andn2_b64 vcc, exec, s[10:11]
	s_cbranch_vccnz .LBB102_279
; %bb.278:
	buffer_load_dword v87, v81, s[0:3], 0 offen
	ds_read_b32 v88, v80
	s_waitcnt vmcnt(0) lgkmcnt(0)
	v_mul_f32_e32 v87, v87, v88
	s_cbranch_execz .LBB102_280
	s_branch .LBB102_281
.LBB102_279:
                                        ; implicit-def: $vgpr87
.LBB102_280:
	ds_read_b32 v87, v80
.LBB102_281:
	s_and_saveexec_b64 s[12:13], s[4:5]
	s_cbranch_execz .LBB102_285
; %bb.282:
	v_add_u32_e32 v88, -10, v0
	s_movk_i32 s14, 0xc8
	s_mov_b64 s[4:5], 0
.LBB102_283:                            ; =>This Inner Loop Header: Depth=1
	buffer_load_dword v89, v86, s[0:3], 0 offen
	v_mov_b32_e32 v90, s14
	ds_read_b32 v90, v90
	v_add_u32_e32 v88, -1, v88
	s_add_i32 s14, s14, 4
	v_cmp_eq_u32_e32 vcc, 0, v88
	v_add_u32_e32 v86, 4, v86
	s_or_b64 s[4:5], vcc, s[4:5]
	s_waitcnt vmcnt(0) lgkmcnt(0)
	v_fmac_f32_e32 v87, v89, v90
	s_andn2_b64 exec, exec, s[4:5]
	s_cbranch_execnz .LBB102_283
; %bb.284:
	s_or_b64 exec, exec, s[4:5]
.LBB102_285:
	s_or_b64 exec, exec, s[12:13]
	v_mov_b32_e32 v86, 0
	ds_read_b32 v86, v86 offset:36
	s_waitcnt lgkmcnt(0)
	v_mul_f32_e32 v86, v87, v86
	buffer_store_dword v86, off, s[0:3], 0 offset:36
.LBB102_286:
	s_or_b64 exec, exec, s[8:9]
	buffer_load_dword v86, off, s[0:3], 0 offset:32
	v_cmp_lt_u32_e64 s[4:5], 8, v0
	s_waitcnt vmcnt(0)
	ds_write_b32 v80, v86
	s_waitcnt lgkmcnt(0)
	; wave barrier
	s_waitcnt lgkmcnt(0)
	s_and_saveexec_b64 s[8:9], s[4:5]
	s_cbranch_execz .LBB102_296
; %bb.287:
	s_andn2_b64 vcc, exec, s[10:11]
	s_cbranch_vccnz .LBB102_289
; %bb.288:
	buffer_load_dword v86, v81, s[0:3], 0 offen
	ds_read_b32 v87, v80
	s_waitcnt vmcnt(0) lgkmcnt(0)
	v_mul_f32_e32 v86, v86, v87
	s_cbranch_execz .LBB102_290
	s_branch .LBB102_291
.LBB102_289:
                                        ; implicit-def: $vgpr86
.LBB102_290:
	ds_read_b32 v86, v80
.LBB102_291:
	s_and_saveexec_b64 s[12:13], s[6:7]
	s_cbranch_execz .LBB102_295
; %bb.292:
	v_mov_b32_e32 v87, 0
	v_add_u32_e32 v87, 36, v87
	v_add_u32_e32 v88, -9, v0
	s_movk_i32 s14, 0xc4
	s_mov_b64 s[6:7], 0
.LBB102_293:                            ; =>This Inner Loop Header: Depth=1
	buffer_load_dword v89, v87, s[0:3], 0 offen
	v_mov_b32_e32 v90, s14
	ds_read_b32 v90, v90
	v_add_u32_e32 v88, -1, v88
	s_add_i32 s14, s14, 4
	v_cmp_eq_u32_e32 vcc, 0, v88
	v_add_u32_e32 v87, 4, v87
	s_or_b64 s[6:7], vcc, s[6:7]
	s_waitcnt vmcnt(0) lgkmcnt(0)
	v_fmac_f32_e32 v86, v89, v90
	s_andn2_b64 exec, exec, s[6:7]
	s_cbranch_execnz .LBB102_293
; %bb.294:
	s_or_b64 exec, exec, s[6:7]
.LBB102_295:
	s_or_b64 exec, exec, s[12:13]
	v_mov_b32_e32 v87, 0
	ds_read_b32 v87, v87 offset:32
	s_waitcnt lgkmcnt(0)
	v_mul_f32_e32 v86, v86, v87
	buffer_store_dword v86, off, s[0:3], 0 offset:32
.LBB102_296:
	s_or_b64 exec, exec, s[8:9]
	buffer_load_dword v86, off, s[0:3], 0 offset:28
	v_cmp_lt_u32_e64 s[6:7], 7, v0
	s_waitcnt vmcnt(0)
	ds_write_b32 v80, v86
	s_waitcnt lgkmcnt(0)
	; wave barrier
	s_waitcnt lgkmcnt(0)
	s_and_saveexec_b64 s[8:9], s[6:7]
	s_cbranch_execz .LBB102_306
; %bb.297:
	s_andn2_b64 vcc, exec, s[10:11]
	s_cbranch_vccnz .LBB102_299
; %bb.298:
	buffer_load_dword v86, v81, s[0:3], 0 offen
	ds_read_b32 v87, v80
	s_waitcnt vmcnt(0) lgkmcnt(0)
	v_mul_f32_e32 v86, v86, v87
	s_cbranch_execz .LBB102_300
	s_branch .LBB102_301
.LBB102_299:
                                        ; implicit-def: $vgpr86
.LBB102_300:
	ds_read_b32 v86, v80
.LBB102_301:
	s_and_saveexec_b64 s[12:13], s[4:5]
	s_cbranch_execz .LBB102_305
; %bb.302:
	v_add_u32_e32 v87, -8, v0
	s_movk_i32 s14, 0xc0
	s_mov_b64 s[4:5], 0
.LBB102_303:                            ; =>This Inner Loop Header: Depth=1
	buffer_load_dword v88, v85, s[0:3], 0 offen
	v_mov_b32_e32 v89, s14
	ds_read_b32 v89, v89
	v_add_u32_e32 v87, -1, v87
	s_add_i32 s14, s14, 4
	v_cmp_eq_u32_e32 vcc, 0, v87
	v_add_u32_e32 v85, 4, v85
	s_or_b64 s[4:5], vcc, s[4:5]
	s_waitcnt vmcnt(0) lgkmcnt(0)
	v_fmac_f32_e32 v86, v88, v89
	s_andn2_b64 exec, exec, s[4:5]
	s_cbranch_execnz .LBB102_303
; %bb.304:
	s_or_b64 exec, exec, s[4:5]
.LBB102_305:
	s_or_b64 exec, exec, s[12:13]
	v_mov_b32_e32 v85, 0
	ds_read_b32 v85, v85 offset:28
	s_waitcnt lgkmcnt(0)
	v_mul_f32_e32 v85, v86, v85
	buffer_store_dword v85, off, s[0:3], 0 offset:28
.LBB102_306:
	s_or_b64 exec, exec, s[8:9]
	buffer_load_dword v85, off, s[0:3], 0 offset:24
	v_cmp_lt_u32_e64 s[4:5], 6, v0
	s_waitcnt vmcnt(0)
	ds_write_b32 v80, v85
	s_waitcnt lgkmcnt(0)
	; wave barrier
	s_waitcnt lgkmcnt(0)
	s_and_saveexec_b64 s[8:9], s[4:5]
	s_cbranch_execz .LBB102_316
; %bb.307:
	s_andn2_b64 vcc, exec, s[10:11]
	s_cbranch_vccnz .LBB102_309
; %bb.308:
	buffer_load_dword v85, v81, s[0:3], 0 offen
	ds_read_b32 v86, v80
	s_waitcnt vmcnt(0) lgkmcnt(0)
	v_mul_f32_e32 v85, v85, v86
	s_cbranch_execz .LBB102_310
	s_branch .LBB102_311
.LBB102_309:
                                        ; implicit-def: $vgpr85
.LBB102_310:
	ds_read_b32 v85, v80
.LBB102_311:
	s_and_saveexec_b64 s[12:13], s[6:7]
	s_cbranch_execz .LBB102_315
; %bb.312:
	v_mov_b32_e32 v86, 0
	v_add_u32_e32 v86, 28, v86
	v_add_u32_e32 v87, -7, v0
	s_movk_i32 s14, 0xbc
	s_mov_b64 s[6:7], 0
.LBB102_313:                            ; =>This Inner Loop Header: Depth=1
	buffer_load_dword v88, v86, s[0:3], 0 offen
	v_mov_b32_e32 v89, s14
	ds_read_b32 v89, v89
	v_add_u32_e32 v87, -1, v87
	s_add_i32 s14, s14, 4
	v_cmp_eq_u32_e32 vcc, 0, v87
	v_add_u32_e32 v86, 4, v86
	s_or_b64 s[6:7], vcc, s[6:7]
	s_waitcnt vmcnt(0) lgkmcnt(0)
	v_fmac_f32_e32 v85, v88, v89
	s_andn2_b64 exec, exec, s[6:7]
	s_cbranch_execnz .LBB102_313
; %bb.314:
	s_or_b64 exec, exec, s[6:7]
.LBB102_315:
	s_or_b64 exec, exec, s[12:13]
	v_mov_b32_e32 v86, 0
	ds_read_b32 v86, v86 offset:24
	s_waitcnt lgkmcnt(0)
	v_mul_f32_e32 v85, v85, v86
	buffer_store_dword v85, off, s[0:3], 0 offset:24
.LBB102_316:
	s_or_b64 exec, exec, s[8:9]
	buffer_load_dword v85, off, s[0:3], 0 offset:20
	v_cmp_lt_u32_e64 s[6:7], 5, v0
	s_waitcnt vmcnt(0)
	ds_write_b32 v80, v85
	s_waitcnt lgkmcnt(0)
	; wave barrier
	s_waitcnt lgkmcnt(0)
	s_and_saveexec_b64 s[8:9], s[6:7]
	s_cbranch_execz .LBB102_326
; %bb.317:
	s_andn2_b64 vcc, exec, s[10:11]
	s_cbranch_vccnz .LBB102_319
; %bb.318:
	buffer_load_dword v85, v81, s[0:3], 0 offen
	ds_read_b32 v86, v80
	s_waitcnt vmcnt(0) lgkmcnt(0)
	v_mul_f32_e32 v85, v85, v86
	s_cbranch_execz .LBB102_320
	s_branch .LBB102_321
.LBB102_319:
                                        ; implicit-def: $vgpr85
.LBB102_320:
	ds_read_b32 v85, v80
.LBB102_321:
	s_and_saveexec_b64 s[12:13], s[4:5]
	s_cbranch_execz .LBB102_325
; %bb.322:
	v_add_u32_e32 v86, -6, v0
	s_movk_i32 s14, 0xb8
	s_mov_b64 s[4:5], 0
.LBB102_323:                            ; =>This Inner Loop Header: Depth=1
	buffer_load_dword v87, v84, s[0:3], 0 offen
	v_mov_b32_e32 v88, s14
	ds_read_b32 v88, v88
	v_add_u32_e32 v86, -1, v86
	s_add_i32 s14, s14, 4
	v_cmp_eq_u32_e32 vcc, 0, v86
	v_add_u32_e32 v84, 4, v84
	s_or_b64 s[4:5], vcc, s[4:5]
	s_waitcnt vmcnt(0) lgkmcnt(0)
	v_fmac_f32_e32 v85, v87, v88
	s_andn2_b64 exec, exec, s[4:5]
	s_cbranch_execnz .LBB102_323
; %bb.324:
	s_or_b64 exec, exec, s[4:5]
.LBB102_325:
	s_or_b64 exec, exec, s[12:13]
	v_mov_b32_e32 v84, 0
	ds_read_b32 v84, v84 offset:20
	s_waitcnt lgkmcnt(0)
	v_mul_f32_e32 v84, v85, v84
	buffer_store_dword v84, off, s[0:3], 0 offset:20
.LBB102_326:
	s_or_b64 exec, exec, s[8:9]
	buffer_load_dword v84, off, s[0:3], 0 offset:16
	v_cmp_lt_u32_e64 s[4:5], 4, v0
	s_waitcnt vmcnt(0)
	ds_write_b32 v80, v84
	s_waitcnt lgkmcnt(0)
	; wave barrier
	s_waitcnt lgkmcnt(0)
	s_and_saveexec_b64 s[8:9], s[4:5]
	s_cbranch_execz .LBB102_336
; %bb.327:
	s_andn2_b64 vcc, exec, s[10:11]
	s_cbranch_vccnz .LBB102_329
; %bb.328:
	buffer_load_dword v84, v81, s[0:3], 0 offen
	ds_read_b32 v85, v80
	s_waitcnt vmcnt(0) lgkmcnt(0)
	v_mul_f32_e32 v84, v84, v85
	s_cbranch_execz .LBB102_330
	s_branch .LBB102_331
.LBB102_329:
                                        ; implicit-def: $vgpr84
.LBB102_330:
	ds_read_b32 v84, v80
.LBB102_331:
	s_and_saveexec_b64 s[12:13], s[6:7]
	s_cbranch_execz .LBB102_335
; %bb.332:
	v_mov_b32_e32 v85, 0
	v_add_u32_e32 v85, 20, v85
	v_add_u32_e32 v86, -5, v0
	s_movk_i32 s14, 0xb4
	s_mov_b64 s[6:7], 0
.LBB102_333:                            ; =>This Inner Loop Header: Depth=1
	buffer_load_dword v87, v85, s[0:3], 0 offen
	v_mov_b32_e32 v88, s14
	ds_read_b32 v88, v88
	v_add_u32_e32 v86, -1, v86
	s_add_i32 s14, s14, 4
	v_cmp_eq_u32_e32 vcc, 0, v86
	v_add_u32_e32 v85, 4, v85
	s_or_b64 s[6:7], vcc, s[6:7]
	s_waitcnt vmcnt(0) lgkmcnt(0)
	v_fmac_f32_e32 v84, v87, v88
	s_andn2_b64 exec, exec, s[6:7]
	s_cbranch_execnz .LBB102_333
; %bb.334:
	s_or_b64 exec, exec, s[6:7]
.LBB102_335:
	s_or_b64 exec, exec, s[12:13]
	v_mov_b32_e32 v85, 0
	ds_read_b32 v85, v85 offset:16
	s_waitcnt lgkmcnt(0)
	v_mul_f32_e32 v84, v84, v85
	buffer_store_dword v84, off, s[0:3], 0 offset:16
.LBB102_336:
	s_or_b64 exec, exec, s[8:9]
	buffer_load_dword v84, off, s[0:3], 0 offset:12
	v_cmp_lt_u32_e64 s[6:7], 3, v0
	s_waitcnt vmcnt(0)
	ds_write_b32 v80, v84
	s_waitcnt lgkmcnt(0)
	; wave barrier
	s_waitcnt lgkmcnt(0)
	s_and_saveexec_b64 s[8:9], s[6:7]
	s_cbranch_execz .LBB102_346
; %bb.337:
	s_andn2_b64 vcc, exec, s[10:11]
	s_cbranch_vccnz .LBB102_339
; %bb.338:
	buffer_load_dword v84, v81, s[0:3], 0 offen
	ds_read_b32 v85, v80
	s_waitcnt vmcnt(0) lgkmcnt(0)
	v_mul_f32_e32 v84, v84, v85
	s_cbranch_execz .LBB102_340
	s_branch .LBB102_341
.LBB102_339:
                                        ; implicit-def: $vgpr84
.LBB102_340:
	ds_read_b32 v84, v80
.LBB102_341:
	s_and_saveexec_b64 s[12:13], s[4:5]
	s_cbranch_execz .LBB102_345
; %bb.342:
	v_add_u32_e32 v85, -4, v0
	s_movk_i32 s14, 0xb0
	s_mov_b64 s[4:5], 0
.LBB102_343:                            ; =>This Inner Loop Header: Depth=1
	buffer_load_dword v86, v83, s[0:3], 0 offen
	v_mov_b32_e32 v87, s14
	ds_read_b32 v87, v87
	v_add_u32_e32 v85, -1, v85
	s_add_i32 s14, s14, 4
	v_cmp_eq_u32_e32 vcc, 0, v85
	v_add_u32_e32 v83, 4, v83
	s_or_b64 s[4:5], vcc, s[4:5]
	s_waitcnt vmcnt(0) lgkmcnt(0)
	v_fmac_f32_e32 v84, v86, v87
	s_andn2_b64 exec, exec, s[4:5]
	s_cbranch_execnz .LBB102_343
; %bb.344:
	s_or_b64 exec, exec, s[4:5]
.LBB102_345:
	s_or_b64 exec, exec, s[12:13]
	v_mov_b32_e32 v83, 0
	ds_read_b32 v83, v83 offset:12
	s_waitcnt lgkmcnt(0)
	v_mul_f32_e32 v83, v84, v83
	buffer_store_dword v83, off, s[0:3], 0 offset:12
.LBB102_346:
	s_or_b64 exec, exec, s[8:9]
	buffer_load_dword v83, off, s[0:3], 0 offset:8
	v_cmp_lt_u32_e64 s[4:5], 2, v0
	s_waitcnt vmcnt(0)
	ds_write_b32 v80, v83
	s_waitcnt lgkmcnt(0)
	; wave barrier
	s_waitcnt lgkmcnt(0)
	s_and_saveexec_b64 s[8:9], s[4:5]
	s_cbranch_execz .LBB102_356
; %bb.347:
	s_andn2_b64 vcc, exec, s[10:11]
	s_cbranch_vccnz .LBB102_349
; %bb.348:
	buffer_load_dword v83, v81, s[0:3], 0 offen
	ds_read_b32 v84, v80
	s_waitcnt vmcnt(0) lgkmcnt(0)
	v_mul_f32_e32 v83, v83, v84
	s_cbranch_execz .LBB102_350
	s_branch .LBB102_351
.LBB102_349:
                                        ; implicit-def: $vgpr83
.LBB102_350:
	ds_read_b32 v83, v80
.LBB102_351:
	s_and_saveexec_b64 s[12:13], s[6:7]
	s_cbranch_execz .LBB102_355
; %bb.352:
	v_mov_b32_e32 v84, 0
	v_or_b32_e32 v84, 12, v84
	v_add_u32_e32 v85, -3, v0
	s_movk_i32 s14, 0xac
	s_mov_b64 s[6:7], 0
.LBB102_353:                            ; =>This Inner Loop Header: Depth=1
	buffer_load_dword v86, v84, s[0:3], 0 offen
	v_mov_b32_e32 v87, s14
	ds_read_b32 v87, v87
	v_add_u32_e32 v85, -1, v85
	s_add_i32 s14, s14, 4
	v_cmp_eq_u32_e32 vcc, 0, v85
	v_add_u32_e32 v84, 4, v84
	s_or_b64 s[6:7], vcc, s[6:7]
	s_waitcnt vmcnt(0) lgkmcnt(0)
	v_fmac_f32_e32 v83, v86, v87
	s_andn2_b64 exec, exec, s[6:7]
	s_cbranch_execnz .LBB102_353
; %bb.354:
	s_or_b64 exec, exec, s[6:7]
.LBB102_355:
	s_or_b64 exec, exec, s[12:13]
	v_mov_b32_e32 v84, 0
	ds_read_b32 v84, v84 offset:8
	s_waitcnt lgkmcnt(0)
	v_mul_f32_e32 v83, v83, v84
	buffer_store_dword v83, off, s[0:3], 0 offset:8
.LBB102_356:
	s_or_b64 exec, exec, s[8:9]
	buffer_load_dword v83, off, s[0:3], 0 offset:4
	v_cmp_lt_u32_e64 s[6:7], 1, v0
	s_waitcnt vmcnt(0)
	ds_write_b32 v80, v83
	s_waitcnt lgkmcnt(0)
	; wave barrier
	s_waitcnt lgkmcnt(0)
	s_and_saveexec_b64 s[8:9], s[6:7]
	s_cbranch_execz .LBB102_366
; %bb.357:
	s_andn2_b64 vcc, exec, s[10:11]
	s_cbranch_vccnz .LBB102_359
; %bb.358:
	buffer_load_dword v83, v81, s[0:3], 0 offen
	ds_read_b32 v84, v80
	s_waitcnt vmcnt(0) lgkmcnt(0)
	v_mul_f32_e32 v83, v83, v84
	s_cbranch_execz .LBB102_360
	s_branch .LBB102_361
.LBB102_359:
                                        ; implicit-def: $vgpr83
.LBB102_360:
	ds_read_b32 v83, v80
.LBB102_361:
	s_and_saveexec_b64 s[12:13], s[4:5]
	s_cbranch_execz .LBB102_365
; %bb.362:
	v_add_u32_e32 v84, -2, v0
	s_movk_i32 s14, 0xa8
	s_mov_b64 s[4:5], 0
.LBB102_363:                            ; =>This Inner Loop Header: Depth=1
	buffer_load_dword v85, v82, s[0:3], 0 offen
	v_mov_b32_e32 v86, s14
	ds_read_b32 v86, v86
	v_add_u32_e32 v84, -1, v84
	s_add_i32 s14, s14, 4
	v_cmp_eq_u32_e32 vcc, 0, v84
	v_add_u32_e32 v82, 4, v82
	s_or_b64 s[4:5], vcc, s[4:5]
	s_waitcnt vmcnt(0) lgkmcnt(0)
	v_fmac_f32_e32 v83, v85, v86
	s_andn2_b64 exec, exec, s[4:5]
	s_cbranch_execnz .LBB102_363
; %bb.364:
	s_or_b64 exec, exec, s[4:5]
.LBB102_365:
	s_or_b64 exec, exec, s[12:13]
	v_mov_b32_e32 v82, 0
	ds_read_b32 v82, v82 offset:4
	s_waitcnt lgkmcnt(0)
	v_mul_f32_e32 v82, v83, v82
	buffer_store_dword v82, off, s[0:3], 0 offset:4
.LBB102_366:
	s_or_b64 exec, exec, s[8:9]
	buffer_load_dword v82, off, s[0:3], 0
	v_cmp_ne_u32_e32 vcc, 0, v0
	s_waitcnt vmcnt(0)
	ds_write_b32 v80, v82
	s_waitcnt lgkmcnt(0)
	; wave barrier
	s_waitcnt lgkmcnt(0)
	s_and_saveexec_b64 s[4:5], vcc
	s_cbranch_execz .LBB102_376
; %bb.367:
	s_andn2_b64 vcc, exec, s[10:11]
	s_cbranch_vccnz .LBB102_369
; %bb.368:
	buffer_load_dword v82, v81, s[0:3], 0 offen
	ds_read_b32 v83, v80
	s_waitcnt vmcnt(0) lgkmcnt(0)
	v_mul_f32_e32 v82, v82, v83
	s_cbranch_execz .LBB102_370
	s_branch .LBB102_371
.LBB102_369:
                                        ; implicit-def: $vgpr82
.LBB102_370:
	ds_read_b32 v82, v80
.LBB102_371:
	s_and_saveexec_b64 s[8:9], s[6:7]
	s_cbranch_execz .LBB102_375
; %bb.372:
	v_mov_b32_e32 v83, 0
	v_or_b32_e32 v83, 4, v83
	v_add_u32_e32 v84, -1, v0
	s_movk_i32 s12, 0xa4
	s_mov_b64 s[6:7], 0
.LBB102_373:                            ; =>This Inner Loop Header: Depth=1
	buffer_load_dword v85, v83, s[0:3], 0 offen
	v_mov_b32_e32 v86, s12
	ds_read_b32 v86, v86
	v_add_u32_e32 v84, -1, v84
	s_add_i32 s12, s12, 4
	v_cmp_eq_u32_e32 vcc, 0, v84
	v_add_u32_e32 v83, 4, v83
	s_or_b64 s[6:7], vcc, s[6:7]
	s_waitcnt vmcnt(0) lgkmcnt(0)
	v_fmac_f32_e32 v82, v85, v86
	s_andn2_b64 exec, exec, s[6:7]
	s_cbranch_execnz .LBB102_373
; %bb.374:
	s_or_b64 exec, exec, s[6:7]
.LBB102_375:
	s_or_b64 exec, exec, s[8:9]
	v_mov_b32_e32 v83, 0
	ds_read_b32 v83, v83
	s_waitcnt lgkmcnt(0)
	v_mul_f32_e32 v82, v82, v83
	buffer_store_dword v82, off, s[0:3], 0
.LBB102_376:
	s_or_b64 exec, exec, s[4:5]
	s_mov_b64 s[4:5], 0
.LBB102_377:
	s_and_b64 vcc, exec, s[4:5]
	s_cbranch_vccz .LBB102_751
; %bb.378:
	buffer_load_dword v82, off, s[0:3], 0 offset:4
	v_cmp_eq_u32_e64 s[6:7], 0, v0
	s_waitcnt vmcnt(0)
	ds_write_b32 v80, v82
	s_waitcnt lgkmcnt(0)
	; wave barrier
	s_waitcnt lgkmcnt(0)
	s_and_saveexec_b64 s[4:5], s[6:7]
	s_cbranch_execz .LBB102_384
; %bb.379:
	s_and_b64 vcc, exec, s[10:11]
	s_cbranch_vccz .LBB102_381
; %bb.380:
	buffer_load_dword v82, v81, s[0:3], 0 offen
	ds_read_b32 v83, v80
	s_waitcnt vmcnt(0) lgkmcnt(0)
	v_mul_f32_e32 v82, v82, v83
	s_cbranch_execz .LBB102_382
	s_branch .LBB102_383
.LBB102_381:
                                        ; implicit-def: $vgpr82
.LBB102_382:
	ds_read_b32 v82, v80
.LBB102_383:
	v_mov_b32_e32 v83, 0
	ds_read_b32 v83, v83 offset:4
	s_waitcnt lgkmcnt(0)
	v_mul_f32_e32 v82, v82, v83
	buffer_store_dword v82, off, s[0:3], 0 offset:4
.LBB102_384:
	s_or_b64 exec, exec, s[4:5]
	buffer_load_dword v82, off, s[0:3], 0 offset:8
	v_cndmask_b32_e64 v83, 0, 1, s[10:11]
	v_cmp_gt_u32_e32 vcc, 2, v0
	v_cmp_ne_u32_e64 s[4:5], 1, v83
	s_waitcnt vmcnt(0)
	ds_write_b32 v80, v82
	s_waitcnt lgkmcnt(0)
	; wave barrier
	s_waitcnt lgkmcnt(0)
	s_and_saveexec_b64 s[8:9], vcc
	s_cbranch_execz .LBB102_392
; %bb.385:
	s_and_b64 vcc, exec, s[4:5]
	s_cbranch_vccnz .LBB102_387
; %bb.386:
	buffer_load_dword v82, v81, s[0:3], 0 offen
	ds_read_b32 v83, v80
	s_waitcnt vmcnt(0) lgkmcnt(0)
	v_mul_f32_e32 v82, v82, v83
	s_cbranch_execz .LBB102_388
	s_branch .LBB102_389
.LBB102_387:
                                        ; implicit-def: $vgpr82
.LBB102_388:
	ds_read_b32 v82, v80
.LBB102_389:
	s_and_saveexec_b64 s[10:11], s[6:7]
	s_cbranch_execz .LBB102_391
; %bb.390:
	buffer_load_dword v83, v81, s[0:3], 0 offen offset:4
	ds_read_b32 v84, v80 offset:4
	s_waitcnt vmcnt(0) lgkmcnt(0)
	v_fmac_f32_e32 v82, v83, v84
.LBB102_391:
	s_or_b64 exec, exec, s[10:11]
	v_mov_b32_e32 v83, 0
	ds_read_b32 v83, v83 offset:8
	s_waitcnt lgkmcnt(0)
	v_mul_f32_e32 v82, v82, v83
	buffer_store_dword v82, off, s[0:3], 0 offset:8
.LBB102_392:
	s_or_b64 exec, exec, s[8:9]
	buffer_load_dword v82, off, s[0:3], 0 offset:12
	v_cmp_gt_u32_e32 vcc, 3, v0
	s_waitcnt vmcnt(0)
	ds_write_b32 v80, v82
	s_waitcnt lgkmcnt(0)
	; wave barrier
	s_waitcnt lgkmcnt(0)
	s_and_saveexec_b64 s[8:9], vcc
	s_cbranch_execz .LBB102_400
; %bb.393:
	s_and_b64 vcc, exec, s[4:5]
	s_cbranch_vccnz .LBB102_395
; %bb.394:
	buffer_load_dword v82, v81, s[0:3], 0 offen
	ds_read_b32 v83, v80
	s_waitcnt vmcnt(0) lgkmcnt(0)
	v_mul_f32_e32 v82, v82, v83
	s_cbranch_execz .LBB102_396
	s_branch .LBB102_397
.LBB102_395:
                                        ; implicit-def: $vgpr82
.LBB102_396:
	ds_read_b32 v82, v80
.LBB102_397:
	v_cmp_ne_u32_e32 vcc, 2, v0
	s_and_saveexec_b64 s[10:11], vcc
	s_cbranch_execz .LBB102_399
; %bb.398:
	buffer_load_dword v83, v81, s[0:3], 0 offen offset:4
	buffer_load_dword v84, off, s[0:3], 0 offset:8
	v_mov_b32_e32 v85, 0
	ds_read_b32 v86, v80 offset:4
	ds_read_b32 v85, v85 offset:168
	s_waitcnt vmcnt(1) lgkmcnt(1)
	v_fmac_f32_e32 v82, v83, v86
	s_waitcnt vmcnt(0) lgkmcnt(0)
	v_fma_f32 v83, v84, v85, v82
	v_cndmask_b32_e64 v82, v82, v83, s[6:7]
.LBB102_399:
	s_or_b64 exec, exec, s[10:11]
	v_mov_b32_e32 v83, 0
	ds_read_b32 v83, v83 offset:12
	s_waitcnt lgkmcnt(0)
	v_mul_f32_e32 v82, v82, v83
	buffer_store_dword v82, off, s[0:3], 0 offset:12
.LBB102_400:
	s_or_b64 exec, exec, s[8:9]
	buffer_load_dword v82, off, s[0:3], 0 offset:16
	v_cmp_gt_u32_e32 vcc, 4, v0
	s_waitcnt vmcnt(0)
	ds_write_b32 v80, v82
	s_waitcnt lgkmcnt(0)
	; wave barrier
	s_waitcnt lgkmcnt(0)
	s_and_saveexec_b64 s[6:7], vcc
	s_cbranch_execz .LBB102_410
; %bb.401:
	s_and_b64 vcc, exec, s[4:5]
	s_cbranch_vccnz .LBB102_403
; %bb.402:
	buffer_load_dword v82, v81, s[0:3], 0 offen
	ds_read_b32 v83, v80
	s_waitcnt vmcnt(0) lgkmcnt(0)
	v_mul_f32_e32 v82, v82, v83
	s_cbranch_execz .LBB102_404
	s_branch .LBB102_405
.LBB102_403:
                                        ; implicit-def: $vgpr82
.LBB102_404:
	ds_read_b32 v82, v80
.LBB102_405:
	v_cmp_ne_u32_e32 vcc, 3, v0
	s_and_saveexec_b64 s[8:9], vcc
	s_cbranch_execz .LBB102_409
; %bb.406:
	v_mov_b32_e32 v84, 0
	v_add_u32_e32 v83, 0xa4, v1
	v_add3_u32 v84, v1, v84, 4
	s_mov_b64 s[10:11], 0
	v_mov_b32_e32 v85, v0
.LBB102_407:                            ; =>This Inner Loop Header: Depth=1
	buffer_load_dword v86, v84, s[0:3], 0 offen
	ds_read_b32 v87, v83
	v_add_u32_e32 v85, 1, v85
	v_cmp_lt_u32_e32 vcc, 2, v85
	v_add_u32_e32 v83, 4, v83
	v_add_u32_e32 v84, 4, v84
	s_or_b64 s[10:11], vcc, s[10:11]
	s_waitcnt vmcnt(0) lgkmcnt(0)
	v_fmac_f32_e32 v82, v86, v87
	s_andn2_b64 exec, exec, s[10:11]
	s_cbranch_execnz .LBB102_407
; %bb.408:
	s_or_b64 exec, exec, s[10:11]
.LBB102_409:
	s_or_b64 exec, exec, s[8:9]
	v_mov_b32_e32 v83, 0
	ds_read_b32 v83, v83 offset:16
	s_waitcnt lgkmcnt(0)
	v_mul_f32_e32 v82, v82, v83
	buffer_store_dword v82, off, s[0:3], 0 offset:16
.LBB102_410:
	s_or_b64 exec, exec, s[6:7]
	buffer_load_dword v82, off, s[0:3], 0 offset:20
	v_cmp_gt_u32_e32 vcc, 5, v0
	s_waitcnt vmcnt(0)
	ds_write_b32 v80, v82
	s_waitcnt lgkmcnt(0)
	; wave barrier
	s_waitcnt lgkmcnt(0)
	s_and_saveexec_b64 s[6:7], vcc
	s_cbranch_execz .LBB102_420
; %bb.411:
	s_and_b64 vcc, exec, s[4:5]
	s_cbranch_vccnz .LBB102_413
; %bb.412:
	buffer_load_dword v82, v81, s[0:3], 0 offen
	ds_read_b32 v83, v80
	s_waitcnt vmcnt(0) lgkmcnt(0)
	v_mul_f32_e32 v82, v82, v83
	s_cbranch_execz .LBB102_414
	s_branch .LBB102_415
.LBB102_413:
                                        ; implicit-def: $vgpr82
.LBB102_414:
	ds_read_b32 v82, v80
.LBB102_415:
	v_cmp_ne_u32_e32 vcc, 4, v0
	s_and_saveexec_b64 s[8:9], vcc
	s_cbranch_execz .LBB102_419
; %bb.416:
	v_mov_b32_e32 v84, 0
	v_add_u32_e32 v83, 0xa4, v1
	v_add3_u32 v84, v1, v84, 4
	s_mov_b64 s[10:11], 0
	v_mov_b32_e32 v85, v0
.LBB102_417:                            ; =>This Inner Loop Header: Depth=1
	buffer_load_dword v86, v84, s[0:3], 0 offen
	ds_read_b32 v87, v83
	v_add_u32_e32 v85, 1, v85
	v_cmp_lt_u32_e32 vcc, 3, v85
	v_add_u32_e32 v83, 4, v83
	v_add_u32_e32 v84, 4, v84
	s_or_b64 s[10:11], vcc, s[10:11]
	s_waitcnt vmcnt(0) lgkmcnt(0)
	v_fmac_f32_e32 v82, v86, v87
	s_andn2_b64 exec, exec, s[10:11]
	s_cbranch_execnz .LBB102_417
; %bb.418:
	s_or_b64 exec, exec, s[10:11]
.LBB102_419:
	s_or_b64 exec, exec, s[8:9]
	v_mov_b32_e32 v83, 0
	ds_read_b32 v83, v83 offset:20
	s_waitcnt lgkmcnt(0)
	v_mul_f32_e32 v82, v82, v83
	buffer_store_dword v82, off, s[0:3], 0 offset:20
.LBB102_420:
	;; [unrolled: 56-line block ×33, first 2 shown]
	s_or_b64 exec, exec, s[6:7]
	buffer_load_dword v82, off, s[0:3], 0 offset:148
	v_cmp_gt_u32_e64 s[6:7], 37, v0
	s_waitcnt vmcnt(0)
	ds_write_b32 v80, v82
	s_waitcnt lgkmcnt(0)
	; wave barrier
	s_waitcnt lgkmcnt(0)
	s_and_saveexec_b64 s[8:9], s[6:7]
	s_cbranch_execz .LBB102_740
; %bb.731:
	s_and_b64 vcc, exec, s[4:5]
	s_cbranch_vccnz .LBB102_733
; %bb.732:
	buffer_load_dword v82, v81, s[0:3], 0 offen
	ds_read_b32 v83, v80
	s_waitcnt vmcnt(0) lgkmcnt(0)
	v_mul_f32_e32 v82, v82, v83
	s_cbranch_execz .LBB102_734
	s_branch .LBB102_735
.LBB102_733:
                                        ; implicit-def: $vgpr82
.LBB102_734:
	ds_read_b32 v82, v80
.LBB102_735:
	v_cmp_ne_u32_e32 vcc, 36, v0
	s_and_saveexec_b64 s[10:11], vcc
	s_cbranch_execz .LBB102_739
; %bb.736:
	v_mov_b32_e32 v84, 0
	v_add_u32_e32 v83, 0xa4, v1
	v_add3_u32 v84, v1, v84, 4
	s_mov_b64 s[12:13], 0
	v_mov_b32_e32 v85, v0
.LBB102_737:                            ; =>This Inner Loop Header: Depth=1
	buffer_load_dword v86, v84, s[0:3], 0 offen
	ds_read_b32 v87, v83
	v_add_u32_e32 v85, 1, v85
	v_cmp_lt_u32_e32 vcc, 35, v85
	v_add_u32_e32 v83, 4, v83
	v_add_u32_e32 v84, 4, v84
	s_or_b64 s[12:13], vcc, s[12:13]
	s_waitcnt vmcnt(0) lgkmcnt(0)
	v_fmac_f32_e32 v82, v86, v87
	s_andn2_b64 exec, exec, s[12:13]
	s_cbranch_execnz .LBB102_737
; %bb.738:
	s_or_b64 exec, exec, s[12:13]
.LBB102_739:
	s_or_b64 exec, exec, s[10:11]
	v_mov_b32_e32 v83, 0
	ds_read_b32 v83, v83 offset:148
	s_waitcnt lgkmcnt(0)
	v_mul_f32_e32 v82, v82, v83
	buffer_store_dword v82, off, s[0:3], 0 offset:148
.LBB102_740:
	s_or_b64 exec, exec, s[8:9]
	buffer_load_dword v82, off, s[0:3], 0 offset:152
	v_cmp_ne_u32_e32 vcc, 38, v0
	s_waitcnt vmcnt(0)
	ds_write_b32 v80, v82
	s_waitcnt lgkmcnt(0)
	; wave barrier
	s_waitcnt lgkmcnt(0)
	s_and_saveexec_b64 s[8:9], vcc
	s_cbranch_execz .LBB102_750
; %bb.741:
	s_and_b64 vcc, exec, s[4:5]
	s_cbranch_vccnz .LBB102_743
; %bb.742:
	buffer_load_dword v81, v81, s[0:3], 0 offen
	ds_read_b32 v82, v80
	s_waitcnt vmcnt(0) lgkmcnt(0)
	v_mul_f32_e32 v81, v81, v82
	s_cbranch_execz .LBB102_744
	s_branch .LBB102_745
.LBB102_743:
                                        ; implicit-def: $vgpr81
.LBB102_744:
	ds_read_b32 v81, v80
.LBB102_745:
	s_and_saveexec_b64 s[4:5], s[6:7]
	s_cbranch_execz .LBB102_749
; %bb.746:
	v_mov_b32_e32 v82, 0
	v_add_u32_e32 v80, 0xa4, v1
	v_add3_u32 v1, v1, v82, 4
	s_mov_b64 s[6:7], 0
.LBB102_747:                            ; =>This Inner Loop Header: Depth=1
	buffer_load_dword v82, v1, s[0:3], 0 offen
	ds_read_b32 v83, v80
	v_add_u32_e32 v0, 1, v0
	v_cmp_lt_u32_e32 vcc, 36, v0
	v_add_u32_e32 v80, 4, v80
	v_add_u32_e32 v1, 4, v1
	s_or_b64 s[6:7], vcc, s[6:7]
	s_waitcnt vmcnt(0) lgkmcnt(0)
	v_fmac_f32_e32 v81, v82, v83
	s_andn2_b64 exec, exec, s[6:7]
	s_cbranch_execnz .LBB102_747
; %bb.748:
	s_or_b64 exec, exec, s[6:7]
.LBB102_749:
	s_or_b64 exec, exec, s[4:5]
	v_mov_b32_e32 v0, 0
	ds_read_b32 v0, v0 offset:152
	s_waitcnt lgkmcnt(0)
	v_mul_f32_e32 v0, v81, v0
	buffer_store_dword v0, off, s[0:3], 0 offset:152
.LBB102_750:
	s_or_b64 exec, exec, s[8:9]
.LBB102_751:
	buffer_load_dword v0, off, s[0:3], 0
	buffer_load_dword v1, off, s[0:3], 0 offset:4
	buffer_load_dword v80, off, s[0:3], 0 offset:8
	;; [unrolled: 1-line block ×38, first 2 shown]
	s_waitcnt vmcnt(38)
	global_store_dword v[74:75], v0, off
	s_waitcnt vmcnt(38)
	global_store_dword v[76:77], v1, off
	;; [unrolled: 2-line block ×39, first 2 shown]
.LBB102_752:
	s_endpgm
	.section	.rodata,"a",@progbits
	.p2align	6, 0x0
	.amdhsa_kernel _ZN9rocsolver6v33100L18trti2_kernel_smallILi39EfPKPfEEv13rocblas_fill_17rocblas_diagonal_T1_iil
		.amdhsa_group_segment_fixed_size 316
		.amdhsa_private_segment_fixed_size 160
		.amdhsa_kernarg_size 32
		.amdhsa_user_sgpr_count 8
		.amdhsa_user_sgpr_private_segment_buffer 1
		.amdhsa_user_sgpr_dispatch_ptr 0
		.amdhsa_user_sgpr_queue_ptr 0
		.amdhsa_user_sgpr_kernarg_segment_ptr 1
		.amdhsa_user_sgpr_dispatch_id 0
		.amdhsa_user_sgpr_flat_scratch_init 1
		.amdhsa_user_sgpr_kernarg_preload_length 0
		.amdhsa_user_sgpr_kernarg_preload_offset 0
		.amdhsa_user_sgpr_private_segment_size 0
		.amdhsa_uses_dynamic_stack 0
		.amdhsa_system_sgpr_private_segment_wavefront_offset 1
		.amdhsa_system_sgpr_workgroup_id_x 1
		.amdhsa_system_sgpr_workgroup_id_y 0
		.amdhsa_system_sgpr_workgroup_id_z 0
		.amdhsa_system_sgpr_workgroup_info 0
		.amdhsa_system_vgpr_workitem_id 0
		.amdhsa_next_free_vgpr 119
		.amdhsa_next_free_sgpr 16
		.amdhsa_accum_offset 120
		.amdhsa_reserve_vcc 1
		.amdhsa_reserve_flat_scratch 0
		.amdhsa_float_round_mode_32 0
		.amdhsa_float_round_mode_16_64 0
		.amdhsa_float_denorm_mode_32 3
		.amdhsa_float_denorm_mode_16_64 3
		.amdhsa_dx10_clamp 1
		.amdhsa_ieee_mode 1
		.amdhsa_fp16_overflow 0
		.amdhsa_tg_split 0
		.amdhsa_exception_fp_ieee_invalid_op 0
		.amdhsa_exception_fp_denorm_src 0
		.amdhsa_exception_fp_ieee_div_zero 0
		.amdhsa_exception_fp_ieee_overflow 0
		.amdhsa_exception_fp_ieee_underflow 0
		.amdhsa_exception_fp_ieee_inexact 0
		.amdhsa_exception_int_div_zero 0
	.end_amdhsa_kernel
	.section	.text._ZN9rocsolver6v33100L18trti2_kernel_smallILi39EfPKPfEEv13rocblas_fill_17rocblas_diagonal_T1_iil,"axG",@progbits,_ZN9rocsolver6v33100L18trti2_kernel_smallILi39EfPKPfEEv13rocblas_fill_17rocblas_diagonal_T1_iil,comdat
.Lfunc_end102:
	.size	_ZN9rocsolver6v33100L18trti2_kernel_smallILi39EfPKPfEEv13rocblas_fill_17rocblas_diagonal_T1_iil, .Lfunc_end102-_ZN9rocsolver6v33100L18trti2_kernel_smallILi39EfPKPfEEv13rocblas_fill_17rocblas_diagonal_T1_iil
                                        ; -- End function
	.section	.AMDGPU.csdata,"",@progbits
; Kernel info:
; codeLenInByte = 18952
; NumSgprs: 20
; NumVgprs: 119
; NumAgprs: 0
; TotalNumVgprs: 119
; ScratchSize: 160
; MemoryBound: 0
; FloatMode: 240
; IeeeMode: 1
; LDSByteSize: 316 bytes/workgroup (compile time only)
; SGPRBlocks: 2
; VGPRBlocks: 14
; NumSGPRsForWavesPerEU: 20
; NumVGPRsForWavesPerEU: 119
; AccumOffset: 120
; Occupancy: 4
; WaveLimiterHint : 1
; COMPUTE_PGM_RSRC2:SCRATCH_EN: 1
; COMPUTE_PGM_RSRC2:USER_SGPR: 8
; COMPUTE_PGM_RSRC2:TRAP_HANDLER: 0
; COMPUTE_PGM_RSRC2:TGID_X_EN: 1
; COMPUTE_PGM_RSRC2:TGID_Y_EN: 0
; COMPUTE_PGM_RSRC2:TGID_Z_EN: 0
; COMPUTE_PGM_RSRC2:TIDIG_COMP_CNT: 0
; COMPUTE_PGM_RSRC3_GFX90A:ACCUM_OFFSET: 29
; COMPUTE_PGM_RSRC3_GFX90A:TG_SPLIT: 0
	.section	.text._ZN9rocsolver6v33100L18trti2_kernel_smallILi40EfPKPfEEv13rocblas_fill_17rocblas_diagonal_T1_iil,"axG",@progbits,_ZN9rocsolver6v33100L18trti2_kernel_smallILi40EfPKPfEEv13rocblas_fill_17rocblas_diagonal_T1_iil,comdat
	.globl	_ZN9rocsolver6v33100L18trti2_kernel_smallILi40EfPKPfEEv13rocblas_fill_17rocblas_diagonal_T1_iil ; -- Begin function _ZN9rocsolver6v33100L18trti2_kernel_smallILi40EfPKPfEEv13rocblas_fill_17rocblas_diagonal_T1_iil
	.p2align	8
	.type	_ZN9rocsolver6v33100L18trti2_kernel_smallILi40EfPKPfEEv13rocblas_fill_17rocblas_diagonal_T1_iil,@function
_ZN9rocsolver6v33100L18trti2_kernel_smallILi40EfPKPfEEv13rocblas_fill_17rocblas_diagonal_T1_iil: ; @_ZN9rocsolver6v33100L18trti2_kernel_smallILi40EfPKPfEEv13rocblas_fill_17rocblas_diagonal_T1_iil
; %bb.0:
	s_add_u32 s0, s0, s9
	s_addc_u32 s1, s1, 0
	v_cmp_gt_u32_e32 vcc, 40, v0
	s_and_saveexec_b64 s[6:7], vcc
	s_cbranch_execz .LBB103_772
; %bb.1:
	s_load_dwordx2 s[6:7], s[4:5], 0x10
	s_load_dwordx4 s[12:15], s[4:5], 0x0
	s_ashr_i32 s9, s8, 31
	s_lshl_b64 s[4:5], s[8:9], 3
	s_waitcnt lgkmcnt(0)
	s_ashr_i32 s9, s6, 31
	s_add_u32 s4, s14, s4
	s_addc_u32 s5, s15, s5
	s_load_dwordx2 s[4:5], s[4:5], 0x0
	s_mov_b32 s8, s6
	s_lshl_b64 s[8:9], s[8:9], 2
	s_waitcnt lgkmcnt(0)
	s_add_u32 s4, s4, s8
	s_addc_u32 s5, s5, s9
	s_add_i32 s6, s7, s7
	v_add_u32_e32 v4, s6, v0
	v_ashrrev_i32_e32 v5, 31, v4
	v_lshlrev_b64 v[2:3], 2, v[4:5]
	v_add_u32_e32 v6, s7, v4
	v_mov_b32_e32 v1, s5
	v_add_co_u32_e32 v2, vcc, s4, v2
	v_ashrrev_i32_e32 v7, 31, v6
	v_addc_co_u32_e32 v3, vcc, v1, v3, vcc
	v_lshlrev_b64 v[4:5], 2, v[6:7]
	v_add_u32_e32 v8, s7, v6
	v_add_co_u32_e32 v4, vcc, s4, v4
	v_ashrrev_i32_e32 v9, 31, v8
	v_addc_co_u32_e32 v5, vcc, v1, v5, vcc
	v_lshlrev_b64 v[6:7], 2, v[8:9]
	v_add_u32_e32 v10, s7, v8
	;; [unrolled: 5-line block ×35, first 2 shown]
	v_add_co_u32_e32 v72, vcc, s4, v72
	v_ashrrev_i32_e32 v77, 31, v76
	v_addc_co_u32_e32 v73, vcc, v1, v73, vcc
	v_lshlrev_b64 v[74:75], 2, v[76:77]
	v_add_co_u32_e32 v74, vcc, s4, v74
	v_add_u32_e32 v76, s7, v76
	v_addc_co_u32_e32 v75, vcc, v1, v75, vcc
	v_ashrrev_i32_e32 v77, 31, v76
	v_lshlrev_b32_e32 v1, 2, v0
	v_lshlrev_b64 v[80:81], 2, v[76:77]
	v_mov_b32_e32 v77, s5
	v_add_co_u32_e32 v76, vcc, s4, v1
	s_ashr_i32 s9, s7, 31
	s_mov_b32 s8, s7
	v_addc_co_u32_e32 v77, vcc, 0, v77, vcc
	s_lshl_b64 s[6:7], s[8:9], 2
	v_mov_b32_e32 v79, s7
	v_add_co_u32_e32 v78, vcc, s6, v76
	v_addc_co_u32_e32 v79, vcc, v77, v79, vcc
	global_load_dword v83, v1, s[4:5]
	global_load_dword v84, v[78:79], off
	global_load_dword v85, v[2:3], off
	;; [unrolled: 1-line block ×14, first 2 shown]
                                        ; kill: killed $sgpr5
	global_load_dword v98, v[20:21], off
	global_load_dword v99, v[18:19], off
	;; [unrolled: 1-line block ×24, first 2 shown]
	v_mov_b32_e32 v82, s5
	v_add_co_u32_e32 v80, vcc, s4, v80
	v_addc_co_u32_e32 v81, vcc, v82, v81, vcc
	global_load_dword v82, v[80:81], off
	s_cmpk_lg_i32 s13, 0x84
	s_waitcnt vmcnt(39)
	buffer_store_dword v83, off, s[0:3], 0
	s_waitcnt vmcnt(39)
	buffer_store_dword v84, off, s[0:3], 0 offset:4
	s_waitcnt vmcnt(39)
	buffer_store_dword v85, off, s[0:3], 0 offset:8
	;; [unrolled: 2-line block ×11, first 2 shown]
	buffer_store_dword v93, off, s[0:3], 0 offset:48
	buffer_store_dword v94, off, s[0:3], 0 offset:52
	;; [unrolled: 1-line block ×5, first 2 shown]
	s_waitcnt vmcnt(39)
	buffer_store_dword v100, off, s[0:3], 0 offset:68
	s_waitcnt vmcnt(39)
	buffer_store_dword v101, off, s[0:3], 0 offset:72
	;; [unrolled: 2-line block ×5, first 2 shown]
	buffer_store_dword v104, off, s[0:3], 0 offset:92
	buffer_store_dword v105, off, s[0:3], 0 offset:88
	s_waitcnt vmcnt(38)
	buffer_store_dword v108, off, s[0:3], 0 offset:100
	buffer_store_dword v103, off, s[0:3], 0 offset:96
	s_waitcnt vmcnt(34)
	buffer_store_dword v114, off, s[0:3], 0 offset:108
	s_waitcnt vmcnt(34)
	buffer_store_dword v115, off, s[0:3], 0 offset:104
	buffer_store_dword v112, off, s[0:3], 0 offset:116
	;; [unrolled: 1-line block ×5, first 2 shown]
	s_waitcnt vmcnt(38)
	buffer_store_dword v116, off, s[0:3], 0 offset:132
	buffer_store_dword v109, off, s[0:3], 0 offset:128
	s_waitcnt vmcnt(36)
	buffer_store_dword v120, off, s[0:3], 0 offset:140
	s_waitcnt vmcnt(36)
	buffer_store_dword v121, off, s[0:3], 0 offset:136
	buffer_store_dword v118, off, s[0:3], 0 offset:148
	;; [unrolled: 1-line block ×3, first 2 shown]
	s_waitcnt vmcnt(38)
	buffer_store_dword v82, off, s[0:3], 0 offset:156
	buffer_store_dword v117, off, s[0:3], 0 offset:152
	s_cselect_b64 s[8:9], -1, 0
	s_cmpk_eq_i32 s13, 0x84
	v_mov_b32_e32 v101, 0
	v_mov_b32_e32 v82, -1.0
	s_cbranch_scc1 .LBB103_3
; %bb.2:
	v_lshl_add_u32 v82, v0, 2, v101
	buffer_load_dword v83, v82, s[0:3], 0 offen
	s_waitcnt vmcnt(0)
	v_div_scale_f32 v84, s[4:5], v83, v83, 1.0
	v_rcp_f32_e32 v85, v84
	v_div_scale_f32 v86, vcc, 1.0, v83, 1.0
	v_fma_f32 v87, -v84, v85, 1.0
	v_fmac_f32_e32 v85, v87, v85
	v_mul_f32_e32 v87, v86, v85
	v_fma_f32 v88, -v84, v87, v86
	v_fmac_f32_e32 v87, v88, v85
	v_fma_f32 v84, -v84, v87, v86
	v_div_fmas_f32 v84, v84, v85, v87
	v_div_fixup_f32 v83, v84, v83, 1.0
	buffer_store_dword v83, v82, s[0:3], 0 offen
	v_xor_b32_e32 v82, 0x80000000, v83
.LBB103_3:
	ds_write_b32 v1, v82
	s_cmpk_eq_i32 s12, 0x79
	v_add_u32_e32 v82, 0xa0, v1
	v_add_u32_e32 v83, 0, v1
	s_mov_b64 s[4:5], -1
	s_cbranch_scc1 .LBB103_387
; %bb.4:
	buffer_load_dword v84, off, s[0:3], 0 offset:152
	v_cmp_eq_u32_e64 s[4:5], 39, v0
	s_waitcnt vmcnt(0)
	ds_write_b32 v82, v84
	s_waitcnt lgkmcnt(0)
	; wave barrier
	s_waitcnt lgkmcnt(0)
	s_and_saveexec_b64 s[6:7], s[4:5]
	s_cbranch_execz .LBB103_10
; %bb.5:
	s_and_b64 vcc, exec, s[8:9]
	s_cbranch_vccz .LBB103_7
; %bb.6:
	buffer_load_dword v84, v83, s[0:3], 0 offen
	ds_read_b32 v85, v82
	s_waitcnt vmcnt(0) lgkmcnt(0)
	v_mul_f32_e32 v84, v84, v85
	s_cbranch_execz .LBB103_8
	s_branch .LBB103_9
.LBB103_7:
                                        ; implicit-def: $vgpr84
.LBB103_8:
	ds_read_b32 v84, v82
.LBB103_9:
	v_mov_b32_e32 v85, 0
	ds_read_b32 v85, v85 offset:152
	s_waitcnt lgkmcnt(0)
	v_mul_f32_e32 v84, v84, v85
	buffer_store_dword v84, off, s[0:3], 0 offset:152
.LBB103_10:
	s_or_b64 exec, exec, s[6:7]
	buffer_load_dword v102, off, s[0:3], 0 offset:148
	v_or_b32_e32 v84, 8, v101
	v_add_u32_e32 v85, 16, v101
	v_add_u32_e32 v86, 24, v101
	;; [unrolled: 1-line block ×17, first 2 shown]
	v_cmp_lt_u32_e64 s[6:7], 37, v0
	s_waitcnt vmcnt(0)
	ds_write_b32 v82, v102
	s_waitcnt lgkmcnt(0)
	; wave barrier
	s_waitcnt lgkmcnt(0)
	s_and_saveexec_b64 s[10:11], s[6:7]
	s_cbranch_execz .LBB103_16
; %bb.11:
	s_andn2_b64 vcc, exec, s[8:9]
	s_cbranch_vccnz .LBB103_13
; %bb.12:
	buffer_load_dword v102, v83, s[0:3], 0 offen
	ds_read_b32 v103, v82
	s_waitcnt vmcnt(0) lgkmcnt(0)
	v_mul_f32_e32 v102, v102, v103
	s_cbranch_execz .LBB103_14
	s_branch .LBB103_15
.LBB103_13:
                                        ; implicit-def: $vgpr102
.LBB103_14:
	ds_read_b32 v102, v82
.LBB103_15:
	buffer_load_dword v103, off, s[0:3], 0 offset:152
	v_mov_b32_e32 v104, 0
	ds_read2_b32 v[104:105], v104 offset0:37 offset1:78
	s_waitcnt vmcnt(0) lgkmcnt(0)
	v_fma_f32 v103, v103, v105, v102
	v_cndmask_b32_e64 v102, v102, v103, s[4:5]
	v_mul_f32_e32 v102, v102, v104
	buffer_store_dword v102, off, s[0:3], 0 offset:148
.LBB103_16:
	s_or_b64 exec, exec, s[10:11]
	buffer_load_dword v102, off, s[0:3], 0 offset:144
	v_cmp_lt_u32_e64 s[4:5], 36, v0
	s_waitcnt vmcnt(0)
	ds_write_b32 v82, v102
	s_waitcnt lgkmcnt(0)
	; wave barrier
	s_waitcnt lgkmcnt(0)
	s_and_saveexec_b64 s[10:11], s[4:5]
	s_cbranch_execz .LBB103_26
; %bb.17:
	s_andn2_b64 vcc, exec, s[8:9]
	s_cbranch_vccnz .LBB103_19
; %bb.18:
	buffer_load_dword v102, v83, s[0:3], 0 offen
	ds_read_b32 v103, v82
	s_waitcnt vmcnt(0) lgkmcnt(0)
	v_mul_f32_e32 v102, v102, v103
	s_cbranch_execz .LBB103_20
	s_branch .LBB103_21
.LBB103_19:
                                        ; implicit-def: $vgpr102
.LBB103_20:
	ds_read_b32 v102, v82
.LBB103_21:
	s_and_saveexec_b64 s[12:13], s[6:7]
	s_cbranch_execz .LBB103_25
; %bb.22:
	v_mov_b32_e32 v103, 0
	v_add_u32_e32 v103, 0x94, v103
	v_subrev_u32_e32 v104, 37, v0
	s_movk_i32 s14, 0x134
	s_mov_b64 s[6:7], 0
.LBB103_23:                             ; =>This Inner Loop Header: Depth=1
	buffer_load_dword v105, v103, s[0:3], 0 offen
	v_mov_b32_e32 v106, s14
	ds_read_b32 v106, v106
	v_add_u32_e32 v104, -1, v104
	s_add_i32 s14, s14, 4
	v_cmp_eq_u32_e32 vcc, 0, v104
	v_add_u32_e32 v103, 4, v103
	s_or_b64 s[6:7], vcc, s[6:7]
	s_waitcnt vmcnt(0) lgkmcnt(0)
	v_fmac_f32_e32 v102, v105, v106
	s_andn2_b64 exec, exec, s[6:7]
	s_cbranch_execnz .LBB103_23
; %bb.24:
	s_or_b64 exec, exec, s[6:7]
.LBB103_25:
	s_or_b64 exec, exec, s[12:13]
	v_mov_b32_e32 v103, 0
	ds_read_b32 v103, v103 offset:144
	s_waitcnt lgkmcnt(0)
	v_mul_f32_e32 v102, v102, v103
	buffer_store_dword v102, off, s[0:3], 0 offset:144
.LBB103_26:
	s_or_b64 exec, exec, s[10:11]
	buffer_load_dword v102, off, s[0:3], 0 offset:140
	v_cmp_lt_u32_e64 s[6:7], 35, v0
	s_waitcnt vmcnt(0)
	ds_write_b32 v82, v102
	s_waitcnt lgkmcnt(0)
	; wave barrier
	s_waitcnt lgkmcnt(0)
	s_and_saveexec_b64 s[10:11], s[6:7]
	s_cbranch_execz .LBB103_36
; %bb.27:
	s_andn2_b64 vcc, exec, s[8:9]
	s_cbranch_vccnz .LBB103_29
; %bb.28:
	buffer_load_dword v102, v83, s[0:3], 0 offen
	ds_read_b32 v103, v82
	s_waitcnt vmcnt(0) lgkmcnt(0)
	v_mul_f32_e32 v102, v102, v103
	s_cbranch_execz .LBB103_30
	s_branch .LBB103_31
.LBB103_29:
                                        ; implicit-def: $vgpr102
.LBB103_30:
	ds_read_b32 v102, v82
.LBB103_31:
	s_and_saveexec_b64 s[12:13], s[4:5]
	s_cbranch_execz .LBB103_35
; %bb.32:
	v_subrev_u32_e32 v103, 36, v0
	s_movk_i32 s14, 0x130
	s_mov_b64 s[4:5], 0
.LBB103_33:                             ; =>This Inner Loop Header: Depth=1
	buffer_load_dword v104, v101, s[0:3], 0 offen
	v_mov_b32_e32 v105, s14
	ds_read_b32 v105, v105
	v_add_u32_e32 v103, -1, v103
	s_add_i32 s14, s14, 4
	v_cmp_eq_u32_e32 vcc, 0, v103
	v_add_u32_e32 v101, 4, v101
	s_or_b64 s[4:5], vcc, s[4:5]
	s_waitcnt vmcnt(0) lgkmcnt(0)
	v_fmac_f32_e32 v102, v104, v105
	s_andn2_b64 exec, exec, s[4:5]
	s_cbranch_execnz .LBB103_33
; %bb.34:
	s_or_b64 exec, exec, s[4:5]
.LBB103_35:
	s_or_b64 exec, exec, s[12:13]
	v_mov_b32_e32 v101, 0
	ds_read_b32 v101, v101 offset:140
	s_waitcnt lgkmcnt(0)
	v_mul_f32_e32 v101, v102, v101
	buffer_store_dword v101, off, s[0:3], 0 offset:140
.LBB103_36:
	s_or_b64 exec, exec, s[10:11]
	buffer_load_dword v101, off, s[0:3], 0 offset:136
	v_cmp_lt_u32_e64 s[4:5], 34, v0
	s_waitcnt vmcnt(0)
	ds_write_b32 v82, v101
	s_waitcnt lgkmcnt(0)
	; wave barrier
	s_waitcnt lgkmcnt(0)
	s_and_saveexec_b64 s[10:11], s[4:5]
	s_cbranch_execz .LBB103_46
; %bb.37:
	s_andn2_b64 vcc, exec, s[8:9]
	s_cbranch_vccnz .LBB103_39
; %bb.38:
	buffer_load_dword v101, v83, s[0:3], 0 offen
	ds_read_b32 v102, v82
	s_waitcnt vmcnt(0) lgkmcnt(0)
	v_mul_f32_e32 v101, v101, v102
	s_cbranch_execz .LBB103_40
	s_branch .LBB103_41
.LBB103_39:
                                        ; implicit-def: $vgpr101
.LBB103_40:
	ds_read_b32 v101, v82
.LBB103_41:
	s_and_saveexec_b64 s[12:13], s[6:7]
	s_cbranch_execz .LBB103_45
; %bb.42:
	v_mov_b32_e32 v102, 0
	v_add_u32_e32 v102, 0x8c, v102
	v_subrev_u32_e32 v103, 35, v0
	s_movk_i32 s14, 0x12c
	s_mov_b64 s[6:7], 0
.LBB103_43:                             ; =>This Inner Loop Header: Depth=1
	buffer_load_dword v104, v102, s[0:3], 0 offen
	v_mov_b32_e32 v105, s14
	ds_read_b32 v105, v105
	v_add_u32_e32 v103, -1, v103
	s_add_i32 s14, s14, 4
	v_cmp_eq_u32_e32 vcc, 0, v103
	v_add_u32_e32 v102, 4, v102
	s_or_b64 s[6:7], vcc, s[6:7]
	s_waitcnt vmcnt(0) lgkmcnt(0)
	v_fmac_f32_e32 v101, v104, v105
	s_andn2_b64 exec, exec, s[6:7]
	s_cbranch_execnz .LBB103_43
; %bb.44:
	s_or_b64 exec, exec, s[6:7]
.LBB103_45:
	s_or_b64 exec, exec, s[12:13]
	v_mov_b32_e32 v102, 0
	ds_read_b32 v102, v102 offset:136
	s_waitcnt lgkmcnt(0)
	v_mul_f32_e32 v101, v101, v102
	buffer_store_dword v101, off, s[0:3], 0 offset:136
.LBB103_46:
	s_or_b64 exec, exec, s[10:11]
	buffer_load_dword v101, off, s[0:3], 0 offset:132
	v_cmp_lt_u32_e64 s[6:7], 33, v0
	s_waitcnt vmcnt(0)
	ds_write_b32 v82, v101
	s_waitcnt lgkmcnt(0)
	; wave barrier
	s_waitcnt lgkmcnt(0)
	s_and_saveexec_b64 s[10:11], s[6:7]
	s_cbranch_execz .LBB103_56
; %bb.47:
	s_andn2_b64 vcc, exec, s[8:9]
	s_cbranch_vccnz .LBB103_49
; %bb.48:
	buffer_load_dword v101, v83, s[0:3], 0 offen
	ds_read_b32 v102, v82
	s_waitcnt vmcnt(0) lgkmcnt(0)
	v_mul_f32_e32 v101, v101, v102
	s_cbranch_execz .LBB103_50
	s_branch .LBB103_51
.LBB103_49:
                                        ; implicit-def: $vgpr101
.LBB103_50:
	ds_read_b32 v101, v82
.LBB103_51:
	s_and_saveexec_b64 s[12:13], s[4:5]
	s_cbranch_execz .LBB103_55
; %bb.52:
	v_subrev_u32_e32 v102, 34, v0
	s_movk_i32 s14, 0x128
	s_mov_b64 s[4:5], 0
.LBB103_53:                             ; =>This Inner Loop Header: Depth=1
	buffer_load_dword v103, v100, s[0:3], 0 offen
	v_mov_b32_e32 v104, s14
	ds_read_b32 v104, v104
	v_add_u32_e32 v102, -1, v102
	s_add_i32 s14, s14, 4
	v_cmp_eq_u32_e32 vcc, 0, v102
	v_add_u32_e32 v100, 4, v100
	s_or_b64 s[4:5], vcc, s[4:5]
	s_waitcnt vmcnt(0) lgkmcnt(0)
	v_fmac_f32_e32 v101, v103, v104
	s_andn2_b64 exec, exec, s[4:5]
	s_cbranch_execnz .LBB103_53
; %bb.54:
	s_or_b64 exec, exec, s[4:5]
.LBB103_55:
	s_or_b64 exec, exec, s[12:13]
	v_mov_b32_e32 v100, 0
	ds_read_b32 v100, v100 offset:132
	s_waitcnt lgkmcnt(0)
	v_mul_f32_e32 v100, v101, v100
	buffer_store_dword v100, off, s[0:3], 0 offset:132
.LBB103_56:
	s_or_b64 exec, exec, s[10:11]
	buffer_load_dword v100, off, s[0:3], 0 offset:128
	v_cmp_lt_u32_e64 s[4:5], 32, v0
	s_waitcnt vmcnt(0)
	ds_write_b32 v82, v100
	s_waitcnt lgkmcnt(0)
	; wave barrier
	s_waitcnt lgkmcnt(0)
	s_and_saveexec_b64 s[10:11], s[4:5]
	s_cbranch_execz .LBB103_66
; %bb.57:
	s_andn2_b64 vcc, exec, s[8:9]
	s_cbranch_vccnz .LBB103_59
; %bb.58:
	buffer_load_dword v100, v83, s[0:3], 0 offen
	ds_read_b32 v101, v82
	s_waitcnt vmcnt(0) lgkmcnt(0)
	v_mul_f32_e32 v100, v100, v101
	s_cbranch_execz .LBB103_60
	s_branch .LBB103_61
.LBB103_59:
                                        ; implicit-def: $vgpr100
.LBB103_60:
	ds_read_b32 v100, v82
.LBB103_61:
	s_and_saveexec_b64 s[12:13], s[6:7]
	s_cbranch_execz .LBB103_65
; %bb.62:
	v_mov_b32_e32 v101, 0
	v_add_u32_e32 v101, 0x84, v101
	v_subrev_u32_e32 v102, 33, v0
	s_movk_i32 s14, 0x124
	s_mov_b64 s[6:7], 0
.LBB103_63:                             ; =>This Inner Loop Header: Depth=1
	buffer_load_dword v103, v101, s[0:3], 0 offen
	v_mov_b32_e32 v104, s14
	ds_read_b32 v104, v104
	v_add_u32_e32 v102, -1, v102
	s_add_i32 s14, s14, 4
	v_cmp_eq_u32_e32 vcc, 0, v102
	v_add_u32_e32 v101, 4, v101
	s_or_b64 s[6:7], vcc, s[6:7]
	s_waitcnt vmcnt(0) lgkmcnt(0)
	v_fmac_f32_e32 v100, v103, v104
	s_andn2_b64 exec, exec, s[6:7]
	s_cbranch_execnz .LBB103_63
; %bb.64:
	s_or_b64 exec, exec, s[6:7]
.LBB103_65:
	s_or_b64 exec, exec, s[12:13]
	v_mov_b32_e32 v101, 0
	ds_read_b32 v101, v101 offset:128
	s_waitcnt lgkmcnt(0)
	v_mul_f32_e32 v100, v100, v101
	buffer_store_dword v100, off, s[0:3], 0 offset:128
.LBB103_66:
	s_or_b64 exec, exec, s[10:11]
	buffer_load_dword v100, off, s[0:3], 0 offset:124
	v_cmp_lt_u32_e64 s[6:7], 31, v0
	s_waitcnt vmcnt(0)
	ds_write_b32 v82, v100
	s_waitcnt lgkmcnt(0)
	; wave barrier
	s_waitcnt lgkmcnt(0)
	s_and_saveexec_b64 s[10:11], s[6:7]
	s_cbranch_execz .LBB103_76
; %bb.67:
	s_andn2_b64 vcc, exec, s[8:9]
	s_cbranch_vccnz .LBB103_69
; %bb.68:
	buffer_load_dword v100, v83, s[0:3], 0 offen
	ds_read_b32 v101, v82
	s_waitcnt vmcnt(0) lgkmcnt(0)
	v_mul_f32_e32 v100, v100, v101
	s_cbranch_execz .LBB103_70
	s_branch .LBB103_71
.LBB103_69:
                                        ; implicit-def: $vgpr100
.LBB103_70:
	ds_read_b32 v100, v82
.LBB103_71:
	s_and_saveexec_b64 s[12:13], s[4:5]
	s_cbranch_execz .LBB103_75
; %bb.72:
	v_subrev_u32_e32 v101, 32, v0
	s_movk_i32 s14, 0x120
	s_mov_b64 s[4:5], 0
.LBB103_73:                             ; =>This Inner Loop Header: Depth=1
	buffer_load_dword v102, v99, s[0:3], 0 offen
	v_mov_b32_e32 v103, s14
	ds_read_b32 v103, v103
	v_add_u32_e32 v101, -1, v101
	s_add_i32 s14, s14, 4
	v_cmp_eq_u32_e32 vcc, 0, v101
	v_add_u32_e32 v99, 4, v99
	s_or_b64 s[4:5], vcc, s[4:5]
	s_waitcnt vmcnt(0) lgkmcnt(0)
	v_fmac_f32_e32 v100, v102, v103
	s_andn2_b64 exec, exec, s[4:5]
	s_cbranch_execnz .LBB103_73
; %bb.74:
	s_or_b64 exec, exec, s[4:5]
.LBB103_75:
	s_or_b64 exec, exec, s[12:13]
	v_mov_b32_e32 v99, 0
	ds_read_b32 v99, v99 offset:124
	s_waitcnt lgkmcnt(0)
	v_mul_f32_e32 v99, v100, v99
	buffer_store_dword v99, off, s[0:3], 0 offset:124
.LBB103_76:
	s_or_b64 exec, exec, s[10:11]
	buffer_load_dword v99, off, s[0:3], 0 offset:120
	v_cmp_lt_u32_e64 s[4:5], 30, v0
	s_waitcnt vmcnt(0)
	ds_write_b32 v82, v99
	s_waitcnt lgkmcnt(0)
	; wave barrier
	s_waitcnt lgkmcnt(0)
	s_and_saveexec_b64 s[10:11], s[4:5]
	s_cbranch_execz .LBB103_86
; %bb.77:
	s_andn2_b64 vcc, exec, s[8:9]
	s_cbranch_vccnz .LBB103_79
; %bb.78:
	buffer_load_dword v99, v83, s[0:3], 0 offen
	ds_read_b32 v100, v82
	s_waitcnt vmcnt(0) lgkmcnt(0)
	v_mul_f32_e32 v99, v99, v100
	s_cbranch_execz .LBB103_80
	s_branch .LBB103_81
.LBB103_79:
                                        ; implicit-def: $vgpr99
.LBB103_80:
	ds_read_b32 v99, v82
.LBB103_81:
	s_and_saveexec_b64 s[12:13], s[6:7]
	s_cbranch_execz .LBB103_85
; %bb.82:
	v_mov_b32_e32 v100, 0
	v_add_u32_e32 v100, 0x7c, v100
	v_subrev_u32_e32 v101, 31, v0
	s_movk_i32 s14, 0x11c
	s_mov_b64 s[6:7], 0
.LBB103_83:                             ; =>This Inner Loop Header: Depth=1
	buffer_load_dword v102, v100, s[0:3], 0 offen
	v_mov_b32_e32 v103, s14
	ds_read_b32 v103, v103
	v_add_u32_e32 v101, -1, v101
	s_add_i32 s14, s14, 4
	v_cmp_eq_u32_e32 vcc, 0, v101
	v_add_u32_e32 v100, 4, v100
	s_or_b64 s[6:7], vcc, s[6:7]
	s_waitcnt vmcnt(0) lgkmcnt(0)
	v_fmac_f32_e32 v99, v102, v103
	s_andn2_b64 exec, exec, s[6:7]
	s_cbranch_execnz .LBB103_83
; %bb.84:
	s_or_b64 exec, exec, s[6:7]
.LBB103_85:
	s_or_b64 exec, exec, s[12:13]
	v_mov_b32_e32 v100, 0
	ds_read_b32 v100, v100 offset:120
	s_waitcnt lgkmcnt(0)
	v_mul_f32_e32 v99, v99, v100
	buffer_store_dword v99, off, s[0:3], 0 offset:120
.LBB103_86:
	s_or_b64 exec, exec, s[10:11]
	buffer_load_dword v99, off, s[0:3], 0 offset:116
	v_cmp_lt_u32_e64 s[6:7], 29, v0
	s_waitcnt vmcnt(0)
	ds_write_b32 v82, v99
	s_waitcnt lgkmcnt(0)
	; wave barrier
	s_waitcnt lgkmcnt(0)
	s_and_saveexec_b64 s[10:11], s[6:7]
	s_cbranch_execz .LBB103_96
; %bb.87:
	s_andn2_b64 vcc, exec, s[8:9]
	s_cbranch_vccnz .LBB103_89
; %bb.88:
	buffer_load_dword v99, v83, s[0:3], 0 offen
	ds_read_b32 v100, v82
	s_waitcnt vmcnt(0) lgkmcnt(0)
	v_mul_f32_e32 v99, v99, v100
	s_cbranch_execz .LBB103_90
	s_branch .LBB103_91
.LBB103_89:
                                        ; implicit-def: $vgpr99
.LBB103_90:
	ds_read_b32 v99, v82
.LBB103_91:
	s_and_saveexec_b64 s[12:13], s[4:5]
	s_cbranch_execz .LBB103_95
; %bb.92:
	v_subrev_u32_e32 v100, 30, v0
	s_movk_i32 s14, 0x118
	s_mov_b64 s[4:5], 0
.LBB103_93:                             ; =>This Inner Loop Header: Depth=1
	buffer_load_dword v101, v98, s[0:3], 0 offen
	v_mov_b32_e32 v102, s14
	ds_read_b32 v102, v102
	v_add_u32_e32 v100, -1, v100
	s_add_i32 s14, s14, 4
	v_cmp_eq_u32_e32 vcc, 0, v100
	v_add_u32_e32 v98, 4, v98
	s_or_b64 s[4:5], vcc, s[4:5]
	s_waitcnt vmcnt(0) lgkmcnt(0)
	v_fmac_f32_e32 v99, v101, v102
	s_andn2_b64 exec, exec, s[4:5]
	s_cbranch_execnz .LBB103_93
; %bb.94:
	s_or_b64 exec, exec, s[4:5]
.LBB103_95:
	s_or_b64 exec, exec, s[12:13]
	v_mov_b32_e32 v98, 0
	ds_read_b32 v98, v98 offset:116
	s_waitcnt lgkmcnt(0)
	v_mul_f32_e32 v98, v99, v98
	buffer_store_dword v98, off, s[0:3], 0 offset:116
.LBB103_96:
	s_or_b64 exec, exec, s[10:11]
	buffer_load_dword v98, off, s[0:3], 0 offset:112
	v_cmp_lt_u32_e64 s[4:5], 28, v0
	s_waitcnt vmcnt(0)
	ds_write_b32 v82, v98
	s_waitcnt lgkmcnt(0)
	; wave barrier
	s_waitcnt lgkmcnt(0)
	s_and_saveexec_b64 s[10:11], s[4:5]
	s_cbranch_execz .LBB103_106
; %bb.97:
	s_andn2_b64 vcc, exec, s[8:9]
	s_cbranch_vccnz .LBB103_99
; %bb.98:
	buffer_load_dword v98, v83, s[0:3], 0 offen
	ds_read_b32 v99, v82
	s_waitcnt vmcnt(0) lgkmcnt(0)
	v_mul_f32_e32 v98, v98, v99
	s_cbranch_execz .LBB103_100
	s_branch .LBB103_101
.LBB103_99:
                                        ; implicit-def: $vgpr98
.LBB103_100:
	ds_read_b32 v98, v82
.LBB103_101:
	s_and_saveexec_b64 s[12:13], s[6:7]
	s_cbranch_execz .LBB103_105
; %bb.102:
	v_mov_b32_e32 v99, 0
	v_add_u32_e32 v99, 0x74, v99
	v_subrev_u32_e32 v100, 29, v0
	s_movk_i32 s14, 0x114
	s_mov_b64 s[6:7], 0
.LBB103_103:                            ; =>This Inner Loop Header: Depth=1
	buffer_load_dword v101, v99, s[0:3], 0 offen
	v_mov_b32_e32 v102, s14
	ds_read_b32 v102, v102
	v_add_u32_e32 v100, -1, v100
	s_add_i32 s14, s14, 4
	v_cmp_eq_u32_e32 vcc, 0, v100
	v_add_u32_e32 v99, 4, v99
	s_or_b64 s[6:7], vcc, s[6:7]
	s_waitcnt vmcnt(0) lgkmcnt(0)
	v_fmac_f32_e32 v98, v101, v102
	s_andn2_b64 exec, exec, s[6:7]
	s_cbranch_execnz .LBB103_103
; %bb.104:
	s_or_b64 exec, exec, s[6:7]
.LBB103_105:
	s_or_b64 exec, exec, s[12:13]
	v_mov_b32_e32 v99, 0
	ds_read_b32 v99, v99 offset:112
	s_waitcnt lgkmcnt(0)
	v_mul_f32_e32 v98, v98, v99
	buffer_store_dword v98, off, s[0:3], 0 offset:112
.LBB103_106:
	s_or_b64 exec, exec, s[10:11]
	buffer_load_dword v98, off, s[0:3], 0 offset:108
	v_cmp_lt_u32_e64 s[6:7], 27, v0
	s_waitcnt vmcnt(0)
	ds_write_b32 v82, v98
	s_waitcnt lgkmcnt(0)
	; wave barrier
	s_waitcnt lgkmcnt(0)
	s_and_saveexec_b64 s[10:11], s[6:7]
	s_cbranch_execz .LBB103_116
; %bb.107:
	s_andn2_b64 vcc, exec, s[8:9]
	s_cbranch_vccnz .LBB103_109
; %bb.108:
	buffer_load_dword v98, v83, s[0:3], 0 offen
	ds_read_b32 v99, v82
	s_waitcnt vmcnt(0) lgkmcnt(0)
	v_mul_f32_e32 v98, v98, v99
	s_cbranch_execz .LBB103_110
	s_branch .LBB103_111
.LBB103_109:
                                        ; implicit-def: $vgpr98
.LBB103_110:
	ds_read_b32 v98, v82
.LBB103_111:
	s_and_saveexec_b64 s[12:13], s[4:5]
	s_cbranch_execz .LBB103_115
; %bb.112:
	v_subrev_u32_e32 v99, 28, v0
	s_movk_i32 s14, 0x110
	s_mov_b64 s[4:5], 0
.LBB103_113:                            ; =>This Inner Loop Header: Depth=1
	buffer_load_dword v100, v97, s[0:3], 0 offen
	v_mov_b32_e32 v101, s14
	ds_read_b32 v101, v101
	v_add_u32_e32 v99, -1, v99
	s_add_i32 s14, s14, 4
	v_cmp_eq_u32_e32 vcc, 0, v99
	v_add_u32_e32 v97, 4, v97
	s_or_b64 s[4:5], vcc, s[4:5]
	s_waitcnt vmcnt(0) lgkmcnt(0)
	v_fmac_f32_e32 v98, v100, v101
	s_andn2_b64 exec, exec, s[4:5]
	s_cbranch_execnz .LBB103_113
; %bb.114:
	s_or_b64 exec, exec, s[4:5]
.LBB103_115:
	s_or_b64 exec, exec, s[12:13]
	v_mov_b32_e32 v97, 0
	ds_read_b32 v97, v97 offset:108
	s_waitcnt lgkmcnt(0)
	v_mul_f32_e32 v97, v98, v97
	buffer_store_dword v97, off, s[0:3], 0 offset:108
.LBB103_116:
	s_or_b64 exec, exec, s[10:11]
	buffer_load_dword v97, off, s[0:3], 0 offset:104
	v_cmp_lt_u32_e64 s[4:5], 26, v0
	s_waitcnt vmcnt(0)
	ds_write_b32 v82, v97
	s_waitcnt lgkmcnt(0)
	; wave barrier
	s_waitcnt lgkmcnt(0)
	s_and_saveexec_b64 s[10:11], s[4:5]
	s_cbranch_execz .LBB103_126
; %bb.117:
	s_andn2_b64 vcc, exec, s[8:9]
	s_cbranch_vccnz .LBB103_119
; %bb.118:
	buffer_load_dword v97, v83, s[0:3], 0 offen
	ds_read_b32 v98, v82
	s_waitcnt vmcnt(0) lgkmcnt(0)
	v_mul_f32_e32 v97, v97, v98
	s_cbranch_execz .LBB103_120
	s_branch .LBB103_121
.LBB103_119:
                                        ; implicit-def: $vgpr97
.LBB103_120:
	ds_read_b32 v97, v82
.LBB103_121:
	s_and_saveexec_b64 s[12:13], s[6:7]
	s_cbranch_execz .LBB103_125
; %bb.122:
	v_mov_b32_e32 v98, 0
	v_add_u32_e32 v98, 0x6c, v98
	v_subrev_u32_e32 v99, 27, v0
	s_movk_i32 s14, 0x10c
	s_mov_b64 s[6:7], 0
.LBB103_123:                            ; =>This Inner Loop Header: Depth=1
	buffer_load_dword v100, v98, s[0:3], 0 offen
	v_mov_b32_e32 v101, s14
	ds_read_b32 v101, v101
	v_add_u32_e32 v99, -1, v99
	s_add_i32 s14, s14, 4
	v_cmp_eq_u32_e32 vcc, 0, v99
	v_add_u32_e32 v98, 4, v98
	s_or_b64 s[6:7], vcc, s[6:7]
	s_waitcnt vmcnt(0) lgkmcnt(0)
	v_fmac_f32_e32 v97, v100, v101
	s_andn2_b64 exec, exec, s[6:7]
	s_cbranch_execnz .LBB103_123
; %bb.124:
	s_or_b64 exec, exec, s[6:7]
.LBB103_125:
	s_or_b64 exec, exec, s[12:13]
	v_mov_b32_e32 v98, 0
	ds_read_b32 v98, v98 offset:104
	s_waitcnt lgkmcnt(0)
	v_mul_f32_e32 v97, v97, v98
	buffer_store_dword v97, off, s[0:3], 0 offset:104
.LBB103_126:
	s_or_b64 exec, exec, s[10:11]
	buffer_load_dword v97, off, s[0:3], 0 offset:100
	v_cmp_lt_u32_e64 s[6:7], 25, v0
	s_waitcnt vmcnt(0)
	ds_write_b32 v82, v97
	s_waitcnt lgkmcnt(0)
	; wave barrier
	s_waitcnt lgkmcnt(0)
	s_and_saveexec_b64 s[10:11], s[6:7]
	s_cbranch_execz .LBB103_136
; %bb.127:
	s_andn2_b64 vcc, exec, s[8:9]
	s_cbranch_vccnz .LBB103_129
; %bb.128:
	buffer_load_dword v97, v83, s[0:3], 0 offen
	ds_read_b32 v98, v82
	s_waitcnt vmcnt(0) lgkmcnt(0)
	v_mul_f32_e32 v97, v97, v98
	s_cbranch_execz .LBB103_130
	s_branch .LBB103_131
.LBB103_129:
                                        ; implicit-def: $vgpr97
.LBB103_130:
	ds_read_b32 v97, v82
.LBB103_131:
	s_and_saveexec_b64 s[12:13], s[4:5]
	s_cbranch_execz .LBB103_135
; %bb.132:
	v_subrev_u32_e32 v98, 26, v0
	s_movk_i32 s14, 0x108
	s_mov_b64 s[4:5], 0
.LBB103_133:                            ; =>This Inner Loop Header: Depth=1
	buffer_load_dword v99, v96, s[0:3], 0 offen
	v_mov_b32_e32 v100, s14
	ds_read_b32 v100, v100
	v_add_u32_e32 v98, -1, v98
	s_add_i32 s14, s14, 4
	v_cmp_eq_u32_e32 vcc, 0, v98
	v_add_u32_e32 v96, 4, v96
	s_or_b64 s[4:5], vcc, s[4:5]
	s_waitcnt vmcnt(0) lgkmcnt(0)
	v_fmac_f32_e32 v97, v99, v100
	s_andn2_b64 exec, exec, s[4:5]
	s_cbranch_execnz .LBB103_133
; %bb.134:
	s_or_b64 exec, exec, s[4:5]
.LBB103_135:
	s_or_b64 exec, exec, s[12:13]
	v_mov_b32_e32 v96, 0
	ds_read_b32 v96, v96 offset:100
	s_waitcnt lgkmcnt(0)
	v_mul_f32_e32 v96, v97, v96
	buffer_store_dword v96, off, s[0:3], 0 offset:100
.LBB103_136:
	s_or_b64 exec, exec, s[10:11]
	buffer_load_dword v96, off, s[0:3], 0 offset:96
	v_cmp_lt_u32_e64 s[4:5], 24, v0
	s_waitcnt vmcnt(0)
	ds_write_b32 v82, v96
	s_waitcnt lgkmcnt(0)
	; wave barrier
	s_waitcnt lgkmcnt(0)
	s_and_saveexec_b64 s[10:11], s[4:5]
	s_cbranch_execz .LBB103_146
; %bb.137:
	s_andn2_b64 vcc, exec, s[8:9]
	s_cbranch_vccnz .LBB103_139
; %bb.138:
	buffer_load_dword v96, v83, s[0:3], 0 offen
	ds_read_b32 v97, v82
	s_waitcnt vmcnt(0) lgkmcnt(0)
	v_mul_f32_e32 v96, v96, v97
	s_cbranch_execz .LBB103_140
	s_branch .LBB103_141
.LBB103_139:
                                        ; implicit-def: $vgpr96
.LBB103_140:
	ds_read_b32 v96, v82
.LBB103_141:
	s_and_saveexec_b64 s[12:13], s[6:7]
	s_cbranch_execz .LBB103_145
; %bb.142:
	v_mov_b32_e32 v97, 0
	v_add_u32_e32 v97, 0x64, v97
	v_subrev_u32_e32 v98, 25, v0
	s_movk_i32 s14, 0x104
	s_mov_b64 s[6:7], 0
.LBB103_143:                            ; =>This Inner Loop Header: Depth=1
	buffer_load_dword v99, v97, s[0:3], 0 offen
	v_mov_b32_e32 v100, s14
	ds_read_b32 v100, v100
	v_add_u32_e32 v98, -1, v98
	s_add_i32 s14, s14, 4
	v_cmp_eq_u32_e32 vcc, 0, v98
	v_add_u32_e32 v97, 4, v97
	s_or_b64 s[6:7], vcc, s[6:7]
	s_waitcnt vmcnt(0) lgkmcnt(0)
	v_fmac_f32_e32 v96, v99, v100
	s_andn2_b64 exec, exec, s[6:7]
	s_cbranch_execnz .LBB103_143
; %bb.144:
	s_or_b64 exec, exec, s[6:7]
.LBB103_145:
	s_or_b64 exec, exec, s[12:13]
	v_mov_b32_e32 v97, 0
	ds_read_b32 v97, v97 offset:96
	s_waitcnt lgkmcnt(0)
	v_mul_f32_e32 v96, v96, v97
	buffer_store_dword v96, off, s[0:3], 0 offset:96
.LBB103_146:
	s_or_b64 exec, exec, s[10:11]
	buffer_load_dword v96, off, s[0:3], 0 offset:92
	v_cmp_lt_u32_e64 s[6:7], 23, v0
	s_waitcnt vmcnt(0)
	ds_write_b32 v82, v96
	s_waitcnt lgkmcnt(0)
	; wave barrier
	s_waitcnt lgkmcnt(0)
	s_and_saveexec_b64 s[10:11], s[6:7]
	s_cbranch_execz .LBB103_156
; %bb.147:
	s_andn2_b64 vcc, exec, s[8:9]
	s_cbranch_vccnz .LBB103_149
; %bb.148:
	buffer_load_dword v96, v83, s[0:3], 0 offen
	ds_read_b32 v97, v82
	s_waitcnt vmcnt(0) lgkmcnt(0)
	v_mul_f32_e32 v96, v96, v97
	s_cbranch_execz .LBB103_150
	s_branch .LBB103_151
.LBB103_149:
                                        ; implicit-def: $vgpr96
.LBB103_150:
	ds_read_b32 v96, v82
.LBB103_151:
	s_and_saveexec_b64 s[12:13], s[4:5]
	s_cbranch_execz .LBB103_155
; %bb.152:
	v_subrev_u32_e32 v97, 24, v0
	s_movk_i32 s14, 0x100
	s_mov_b64 s[4:5], 0
.LBB103_153:                            ; =>This Inner Loop Header: Depth=1
	buffer_load_dword v98, v95, s[0:3], 0 offen
	v_mov_b32_e32 v99, s14
	ds_read_b32 v99, v99
	v_add_u32_e32 v97, -1, v97
	s_add_i32 s14, s14, 4
	v_cmp_eq_u32_e32 vcc, 0, v97
	v_add_u32_e32 v95, 4, v95
	s_or_b64 s[4:5], vcc, s[4:5]
	s_waitcnt vmcnt(0) lgkmcnt(0)
	v_fmac_f32_e32 v96, v98, v99
	s_andn2_b64 exec, exec, s[4:5]
	s_cbranch_execnz .LBB103_153
; %bb.154:
	s_or_b64 exec, exec, s[4:5]
.LBB103_155:
	s_or_b64 exec, exec, s[12:13]
	v_mov_b32_e32 v95, 0
	ds_read_b32 v95, v95 offset:92
	s_waitcnt lgkmcnt(0)
	v_mul_f32_e32 v95, v96, v95
	buffer_store_dword v95, off, s[0:3], 0 offset:92
.LBB103_156:
	s_or_b64 exec, exec, s[10:11]
	buffer_load_dword v95, off, s[0:3], 0 offset:88
	v_cmp_lt_u32_e64 s[4:5], 22, v0
	s_waitcnt vmcnt(0)
	ds_write_b32 v82, v95
	s_waitcnt lgkmcnt(0)
	; wave barrier
	s_waitcnt lgkmcnt(0)
	s_and_saveexec_b64 s[10:11], s[4:5]
	s_cbranch_execz .LBB103_166
; %bb.157:
	s_andn2_b64 vcc, exec, s[8:9]
	s_cbranch_vccnz .LBB103_159
; %bb.158:
	buffer_load_dword v95, v83, s[0:3], 0 offen
	ds_read_b32 v96, v82
	s_waitcnt vmcnt(0) lgkmcnt(0)
	v_mul_f32_e32 v95, v95, v96
	s_cbranch_execz .LBB103_160
	s_branch .LBB103_161
.LBB103_159:
                                        ; implicit-def: $vgpr95
.LBB103_160:
	ds_read_b32 v95, v82
.LBB103_161:
	s_and_saveexec_b64 s[12:13], s[6:7]
	s_cbranch_execz .LBB103_165
; %bb.162:
	v_mov_b32_e32 v96, 0
	v_add_u32_e32 v96, 0x5c, v96
	v_subrev_u32_e32 v97, 23, v0
	s_movk_i32 s14, 0xfc
	s_mov_b64 s[6:7], 0
.LBB103_163:                            ; =>This Inner Loop Header: Depth=1
	buffer_load_dword v98, v96, s[0:3], 0 offen
	v_mov_b32_e32 v99, s14
	ds_read_b32 v99, v99
	v_add_u32_e32 v97, -1, v97
	s_add_i32 s14, s14, 4
	v_cmp_eq_u32_e32 vcc, 0, v97
	v_add_u32_e32 v96, 4, v96
	s_or_b64 s[6:7], vcc, s[6:7]
	s_waitcnt vmcnt(0) lgkmcnt(0)
	v_fmac_f32_e32 v95, v98, v99
	s_andn2_b64 exec, exec, s[6:7]
	s_cbranch_execnz .LBB103_163
; %bb.164:
	s_or_b64 exec, exec, s[6:7]
.LBB103_165:
	s_or_b64 exec, exec, s[12:13]
	v_mov_b32_e32 v96, 0
	ds_read_b32 v96, v96 offset:88
	s_waitcnt lgkmcnt(0)
	v_mul_f32_e32 v95, v95, v96
	buffer_store_dword v95, off, s[0:3], 0 offset:88
.LBB103_166:
	s_or_b64 exec, exec, s[10:11]
	buffer_load_dword v95, off, s[0:3], 0 offset:84
	v_cmp_lt_u32_e64 s[6:7], 21, v0
	s_waitcnt vmcnt(0)
	ds_write_b32 v82, v95
	s_waitcnt lgkmcnt(0)
	; wave barrier
	s_waitcnt lgkmcnt(0)
	s_and_saveexec_b64 s[10:11], s[6:7]
	s_cbranch_execz .LBB103_176
; %bb.167:
	s_andn2_b64 vcc, exec, s[8:9]
	s_cbranch_vccnz .LBB103_169
; %bb.168:
	buffer_load_dword v95, v83, s[0:3], 0 offen
	ds_read_b32 v96, v82
	s_waitcnt vmcnt(0) lgkmcnt(0)
	v_mul_f32_e32 v95, v95, v96
	s_cbranch_execz .LBB103_170
	s_branch .LBB103_171
.LBB103_169:
                                        ; implicit-def: $vgpr95
.LBB103_170:
	ds_read_b32 v95, v82
.LBB103_171:
	s_and_saveexec_b64 s[12:13], s[4:5]
	s_cbranch_execz .LBB103_175
; %bb.172:
	v_subrev_u32_e32 v96, 22, v0
	s_movk_i32 s14, 0xf8
	s_mov_b64 s[4:5], 0
.LBB103_173:                            ; =>This Inner Loop Header: Depth=1
	buffer_load_dword v97, v94, s[0:3], 0 offen
	v_mov_b32_e32 v98, s14
	ds_read_b32 v98, v98
	v_add_u32_e32 v96, -1, v96
	s_add_i32 s14, s14, 4
	v_cmp_eq_u32_e32 vcc, 0, v96
	v_add_u32_e32 v94, 4, v94
	s_or_b64 s[4:5], vcc, s[4:5]
	s_waitcnt vmcnt(0) lgkmcnt(0)
	v_fmac_f32_e32 v95, v97, v98
	s_andn2_b64 exec, exec, s[4:5]
	s_cbranch_execnz .LBB103_173
; %bb.174:
	s_or_b64 exec, exec, s[4:5]
.LBB103_175:
	s_or_b64 exec, exec, s[12:13]
	v_mov_b32_e32 v94, 0
	ds_read_b32 v94, v94 offset:84
	s_waitcnt lgkmcnt(0)
	v_mul_f32_e32 v94, v95, v94
	buffer_store_dword v94, off, s[0:3], 0 offset:84
.LBB103_176:
	s_or_b64 exec, exec, s[10:11]
	buffer_load_dword v94, off, s[0:3], 0 offset:80
	v_cmp_lt_u32_e64 s[4:5], 20, v0
	s_waitcnt vmcnt(0)
	ds_write_b32 v82, v94
	s_waitcnt lgkmcnt(0)
	; wave barrier
	s_waitcnt lgkmcnt(0)
	s_and_saveexec_b64 s[10:11], s[4:5]
	s_cbranch_execz .LBB103_186
; %bb.177:
	s_andn2_b64 vcc, exec, s[8:9]
	s_cbranch_vccnz .LBB103_179
; %bb.178:
	buffer_load_dword v94, v83, s[0:3], 0 offen
	ds_read_b32 v95, v82
	s_waitcnt vmcnt(0) lgkmcnt(0)
	v_mul_f32_e32 v94, v94, v95
	s_cbranch_execz .LBB103_180
	s_branch .LBB103_181
.LBB103_179:
                                        ; implicit-def: $vgpr94
.LBB103_180:
	ds_read_b32 v94, v82
.LBB103_181:
	s_and_saveexec_b64 s[12:13], s[6:7]
	s_cbranch_execz .LBB103_185
; %bb.182:
	v_mov_b32_e32 v95, 0
	v_add_u32_e32 v95, 0x54, v95
	v_subrev_u32_e32 v96, 21, v0
	s_movk_i32 s14, 0xf4
	s_mov_b64 s[6:7], 0
.LBB103_183:                            ; =>This Inner Loop Header: Depth=1
	buffer_load_dword v97, v95, s[0:3], 0 offen
	v_mov_b32_e32 v98, s14
	ds_read_b32 v98, v98
	v_add_u32_e32 v96, -1, v96
	s_add_i32 s14, s14, 4
	v_cmp_eq_u32_e32 vcc, 0, v96
	v_add_u32_e32 v95, 4, v95
	s_or_b64 s[6:7], vcc, s[6:7]
	s_waitcnt vmcnt(0) lgkmcnt(0)
	v_fmac_f32_e32 v94, v97, v98
	s_andn2_b64 exec, exec, s[6:7]
	s_cbranch_execnz .LBB103_183
; %bb.184:
	s_or_b64 exec, exec, s[6:7]
.LBB103_185:
	s_or_b64 exec, exec, s[12:13]
	v_mov_b32_e32 v95, 0
	ds_read_b32 v95, v95 offset:80
	s_waitcnt lgkmcnt(0)
	v_mul_f32_e32 v94, v94, v95
	buffer_store_dword v94, off, s[0:3], 0 offset:80
.LBB103_186:
	s_or_b64 exec, exec, s[10:11]
	buffer_load_dword v94, off, s[0:3], 0 offset:76
	v_cmp_lt_u32_e64 s[6:7], 19, v0
	s_waitcnt vmcnt(0)
	ds_write_b32 v82, v94
	s_waitcnt lgkmcnt(0)
	; wave barrier
	s_waitcnt lgkmcnt(0)
	s_and_saveexec_b64 s[10:11], s[6:7]
	s_cbranch_execz .LBB103_196
; %bb.187:
	s_andn2_b64 vcc, exec, s[8:9]
	s_cbranch_vccnz .LBB103_189
; %bb.188:
	buffer_load_dword v94, v83, s[0:3], 0 offen
	ds_read_b32 v95, v82
	s_waitcnt vmcnt(0) lgkmcnt(0)
	v_mul_f32_e32 v94, v94, v95
	s_cbranch_execz .LBB103_190
	s_branch .LBB103_191
.LBB103_189:
                                        ; implicit-def: $vgpr94
.LBB103_190:
	ds_read_b32 v94, v82
.LBB103_191:
	s_and_saveexec_b64 s[12:13], s[4:5]
	s_cbranch_execz .LBB103_195
; %bb.192:
	v_subrev_u32_e32 v95, 20, v0
	s_movk_i32 s14, 0xf0
	s_mov_b64 s[4:5], 0
.LBB103_193:                            ; =>This Inner Loop Header: Depth=1
	buffer_load_dword v96, v93, s[0:3], 0 offen
	v_mov_b32_e32 v97, s14
	ds_read_b32 v97, v97
	v_add_u32_e32 v95, -1, v95
	s_add_i32 s14, s14, 4
	v_cmp_eq_u32_e32 vcc, 0, v95
	v_add_u32_e32 v93, 4, v93
	s_or_b64 s[4:5], vcc, s[4:5]
	s_waitcnt vmcnt(0) lgkmcnt(0)
	v_fmac_f32_e32 v94, v96, v97
	s_andn2_b64 exec, exec, s[4:5]
	s_cbranch_execnz .LBB103_193
; %bb.194:
	s_or_b64 exec, exec, s[4:5]
.LBB103_195:
	s_or_b64 exec, exec, s[12:13]
	v_mov_b32_e32 v93, 0
	ds_read_b32 v93, v93 offset:76
	s_waitcnt lgkmcnt(0)
	v_mul_f32_e32 v93, v94, v93
	buffer_store_dword v93, off, s[0:3], 0 offset:76
.LBB103_196:
	s_or_b64 exec, exec, s[10:11]
	buffer_load_dword v93, off, s[0:3], 0 offset:72
	v_cmp_lt_u32_e64 s[4:5], 18, v0
	s_waitcnt vmcnt(0)
	ds_write_b32 v82, v93
	s_waitcnt lgkmcnt(0)
	; wave barrier
	s_waitcnt lgkmcnt(0)
	s_and_saveexec_b64 s[10:11], s[4:5]
	s_cbranch_execz .LBB103_206
; %bb.197:
	s_andn2_b64 vcc, exec, s[8:9]
	s_cbranch_vccnz .LBB103_199
; %bb.198:
	buffer_load_dword v93, v83, s[0:3], 0 offen
	ds_read_b32 v94, v82
	s_waitcnt vmcnt(0) lgkmcnt(0)
	v_mul_f32_e32 v93, v93, v94
	s_cbranch_execz .LBB103_200
	s_branch .LBB103_201
.LBB103_199:
                                        ; implicit-def: $vgpr93
.LBB103_200:
	ds_read_b32 v93, v82
.LBB103_201:
	s_and_saveexec_b64 s[12:13], s[6:7]
	s_cbranch_execz .LBB103_205
; %bb.202:
	v_mov_b32_e32 v94, 0
	v_add_u32_e32 v94, 0x4c, v94
	v_subrev_u32_e32 v95, 19, v0
	s_movk_i32 s14, 0xec
	s_mov_b64 s[6:7], 0
.LBB103_203:                            ; =>This Inner Loop Header: Depth=1
	buffer_load_dword v96, v94, s[0:3], 0 offen
	v_mov_b32_e32 v97, s14
	ds_read_b32 v97, v97
	v_add_u32_e32 v95, -1, v95
	s_add_i32 s14, s14, 4
	v_cmp_eq_u32_e32 vcc, 0, v95
	v_add_u32_e32 v94, 4, v94
	s_or_b64 s[6:7], vcc, s[6:7]
	s_waitcnt vmcnt(0) lgkmcnt(0)
	v_fmac_f32_e32 v93, v96, v97
	s_andn2_b64 exec, exec, s[6:7]
	s_cbranch_execnz .LBB103_203
; %bb.204:
	s_or_b64 exec, exec, s[6:7]
.LBB103_205:
	s_or_b64 exec, exec, s[12:13]
	v_mov_b32_e32 v94, 0
	ds_read_b32 v94, v94 offset:72
	s_waitcnt lgkmcnt(0)
	v_mul_f32_e32 v93, v93, v94
	buffer_store_dword v93, off, s[0:3], 0 offset:72
.LBB103_206:
	s_or_b64 exec, exec, s[10:11]
	buffer_load_dword v93, off, s[0:3], 0 offset:68
	v_cmp_lt_u32_e64 s[6:7], 17, v0
	s_waitcnt vmcnt(0)
	ds_write_b32 v82, v93
	s_waitcnt lgkmcnt(0)
	; wave barrier
	s_waitcnt lgkmcnt(0)
	s_and_saveexec_b64 s[10:11], s[6:7]
	s_cbranch_execz .LBB103_216
; %bb.207:
	s_andn2_b64 vcc, exec, s[8:9]
	s_cbranch_vccnz .LBB103_209
; %bb.208:
	buffer_load_dword v93, v83, s[0:3], 0 offen
	ds_read_b32 v94, v82
	s_waitcnt vmcnt(0) lgkmcnt(0)
	v_mul_f32_e32 v93, v93, v94
	s_cbranch_execz .LBB103_210
	s_branch .LBB103_211
.LBB103_209:
                                        ; implicit-def: $vgpr93
.LBB103_210:
	ds_read_b32 v93, v82
.LBB103_211:
	s_and_saveexec_b64 s[12:13], s[4:5]
	s_cbranch_execz .LBB103_215
; %bb.212:
	v_subrev_u32_e32 v94, 18, v0
	s_movk_i32 s14, 0xe8
	s_mov_b64 s[4:5], 0
.LBB103_213:                            ; =>This Inner Loop Header: Depth=1
	buffer_load_dword v95, v92, s[0:3], 0 offen
	v_mov_b32_e32 v96, s14
	ds_read_b32 v96, v96
	v_add_u32_e32 v94, -1, v94
	s_add_i32 s14, s14, 4
	v_cmp_eq_u32_e32 vcc, 0, v94
	v_add_u32_e32 v92, 4, v92
	s_or_b64 s[4:5], vcc, s[4:5]
	s_waitcnt vmcnt(0) lgkmcnt(0)
	v_fmac_f32_e32 v93, v95, v96
	s_andn2_b64 exec, exec, s[4:5]
	s_cbranch_execnz .LBB103_213
; %bb.214:
	s_or_b64 exec, exec, s[4:5]
.LBB103_215:
	s_or_b64 exec, exec, s[12:13]
	v_mov_b32_e32 v92, 0
	ds_read_b32 v92, v92 offset:68
	s_waitcnt lgkmcnt(0)
	v_mul_f32_e32 v92, v93, v92
	buffer_store_dword v92, off, s[0:3], 0 offset:68
.LBB103_216:
	s_or_b64 exec, exec, s[10:11]
	buffer_load_dword v92, off, s[0:3], 0 offset:64
	v_cmp_lt_u32_e64 s[4:5], 16, v0
	s_waitcnt vmcnt(0)
	ds_write_b32 v82, v92
	s_waitcnt lgkmcnt(0)
	; wave barrier
	s_waitcnt lgkmcnt(0)
	s_and_saveexec_b64 s[10:11], s[4:5]
	s_cbranch_execz .LBB103_226
; %bb.217:
	s_andn2_b64 vcc, exec, s[8:9]
	s_cbranch_vccnz .LBB103_219
; %bb.218:
	buffer_load_dword v92, v83, s[0:3], 0 offen
	ds_read_b32 v93, v82
	s_waitcnt vmcnt(0) lgkmcnt(0)
	v_mul_f32_e32 v92, v92, v93
	s_cbranch_execz .LBB103_220
	s_branch .LBB103_221
.LBB103_219:
                                        ; implicit-def: $vgpr92
.LBB103_220:
	ds_read_b32 v92, v82
.LBB103_221:
	s_and_saveexec_b64 s[12:13], s[6:7]
	s_cbranch_execz .LBB103_225
; %bb.222:
	v_mov_b32_e32 v93, 0
	v_add_u32_e32 v93, 0x44, v93
	v_subrev_u32_e32 v94, 17, v0
	s_movk_i32 s14, 0xe4
	s_mov_b64 s[6:7], 0
.LBB103_223:                            ; =>This Inner Loop Header: Depth=1
	buffer_load_dword v95, v93, s[0:3], 0 offen
	v_mov_b32_e32 v96, s14
	ds_read_b32 v96, v96
	v_add_u32_e32 v94, -1, v94
	s_add_i32 s14, s14, 4
	v_cmp_eq_u32_e32 vcc, 0, v94
	v_add_u32_e32 v93, 4, v93
	s_or_b64 s[6:7], vcc, s[6:7]
	s_waitcnt vmcnt(0) lgkmcnt(0)
	v_fmac_f32_e32 v92, v95, v96
	s_andn2_b64 exec, exec, s[6:7]
	s_cbranch_execnz .LBB103_223
; %bb.224:
	s_or_b64 exec, exec, s[6:7]
.LBB103_225:
	s_or_b64 exec, exec, s[12:13]
	v_mov_b32_e32 v93, 0
	ds_read_b32 v93, v93 offset:64
	s_waitcnt lgkmcnt(0)
	v_mul_f32_e32 v92, v92, v93
	buffer_store_dword v92, off, s[0:3], 0 offset:64
.LBB103_226:
	s_or_b64 exec, exec, s[10:11]
	buffer_load_dword v92, off, s[0:3], 0 offset:60
	v_cmp_lt_u32_e64 s[6:7], 15, v0
	s_waitcnt vmcnt(0)
	ds_write_b32 v82, v92
	s_waitcnt lgkmcnt(0)
	; wave barrier
	s_waitcnt lgkmcnt(0)
	s_and_saveexec_b64 s[10:11], s[6:7]
	s_cbranch_execz .LBB103_236
; %bb.227:
	s_andn2_b64 vcc, exec, s[8:9]
	s_cbranch_vccnz .LBB103_229
; %bb.228:
	buffer_load_dword v92, v83, s[0:3], 0 offen
	ds_read_b32 v93, v82
	s_waitcnt vmcnt(0) lgkmcnt(0)
	v_mul_f32_e32 v92, v92, v93
	s_cbranch_execz .LBB103_230
	s_branch .LBB103_231
.LBB103_229:
                                        ; implicit-def: $vgpr92
.LBB103_230:
	ds_read_b32 v92, v82
.LBB103_231:
	s_and_saveexec_b64 s[12:13], s[4:5]
	s_cbranch_execz .LBB103_235
; %bb.232:
	v_add_u32_e32 v93, -16, v0
	s_movk_i32 s14, 0xe0
	s_mov_b64 s[4:5], 0
.LBB103_233:                            ; =>This Inner Loop Header: Depth=1
	buffer_load_dword v94, v91, s[0:3], 0 offen
	v_mov_b32_e32 v95, s14
	ds_read_b32 v95, v95
	v_add_u32_e32 v93, -1, v93
	s_add_i32 s14, s14, 4
	v_cmp_eq_u32_e32 vcc, 0, v93
	v_add_u32_e32 v91, 4, v91
	s_or_b64 s[4:5], vcc, s[4:5]
	s_waitcnt vmcnt(0) lgkmcnt(0)
	v_fmac_f32_e32 v92, v94, v95
	s_andn2_b64 exec, exec, s[4:5]
	s_cbranch_execnz .LBB103_233
; %bb.234:
	s_or_b64 exec, exec, s[4:5]
.LBB103_235:
	s_or_b64 exec, exec, s[12:13]
	v_mov_b32_e32 v91, 0
	ds_read_b32 v91, v91 offset:60
	s_waitcnt lgkmcnt(0)
	v_mul_f32_e32 v91, v92, v91
	buffer_store_dword v91, off, s[0:3], 0 offset:60
.LBB103_236:
	s_or_b64 exec, exec, s[10:11]
	buffer_load_dword v91, off, s[0:3], 0 offset:56
	v_cmp_lt_u32_e64 s[4:5], 14, v0
	s_waitcnt vmcnt(0)
	ds_write_b32 v82, v91
	s_waitcnt lgkmcnt(0)
	; wave barrier
	s_waitcnt lgkmcnt(0)
	s_and_saveexec_b64 s[10:11], s[4:5]
	s_cbranch_execz .LBB103_246
; %bb.237:
	s_andn2_b64 vcc, exec, s[8:9]
	s_cbranch_vccnz .LBB103_239
; %bb.238:
	buffer_load_dword v91, v83, s[0:3], 0 offen
	ds_read_b32 v92, v82
	s_waitcnt vmcnt(0) lgkmcnt(0)
	v_mul_f32_e32 v91, v91, v92
	s_cbranch_execz .LBB103_240
	s_branch .LBB103_241
.LBB103_239:
                                        ; implicit-def: $vgpr91
.LBB103_240:
	ds_read_b32 v91, v82
.LBB103_241:
	s_and_saveexec_b64 s[12:13], s[6:7]
	s_cbranch_execz .LBB103_245
; %bb.242:
	v_mov_b32_e32 v92, 0
	v_add_u32_e32 v92, 60, v92
	v_add_u32_e32 v93, -15, v0
	s_movk_i32 s14, 0xdc
	s_mov_b64 s[6:7], 0
.LBB103_243:                            ; =>This Inner Loop Header: Depth=1
	buffer_load_dword v94, v92, s[0:3], 0 offen
	v_mov_b32_e32 v95, s14
	ds_read_b32 v95, v95
	v_add_u32_e32 v93, -1, v93
	s_add_i32 s14, s14, 4
	v_cmp_eq_u32_e32 vcc, 0, v93
	v_add_u32_e32 v92, 4, v92
	s_or_b64 s[6:7], vcc, s[6:7]
	s_waitcnt vmcnt(0) lgkmcnt(0)
	v_fmac_f32_e32 v91, v94, v95
	s_andn2_b64 exec, exec, s[6:7]
	s_cbranch_execnz .LBB103_243
; %bb.244:
	s_or_b64 exec, exec, s[6:7]
.LBB103_245:
	s_or_b64 exec, exec, s[12:13]
	v_mov_b32_e32 v92, 0
	ds_read_b32 v92, v92 offset:56
	s_waitcnt lgkmcnt(0)
	v_mul_f32_e32 v91, v91, v92
	buffer_store_dword v91, off, s[0:3], 0 offset:56
.LBB103_246:
	s_or_b64 exec, exec, s[10:11]
	buffer_load_dword v91, off, s[0:3], 0 offset:52
	v_cmp_lt_u32_e64 s[6:7], 13, v0
	s_waitcnt vmcnt(0)
	ds_write_b32 v82, v91
	s_waitcnt lgkmcnt(0)
	; wave barrier
	s_waitcnt lgkmcnt(0)
	s_and_saveexec_b64 s[10:11], s[6:7]
	s_cbranch_execz .LBB103_256
; %bb.247:
	s_andn2_b64 vcc, exec, s[8:9]
	s_cbranch_vccnz .LBB103_249
; %bb.248:
	buffer_load_dword v91, v83, s[0:3], 0 offen
	ds_read_b32 v92, v82
	s_waitcnt vmcnt(0) lgkmcnt(0)
	v_mul_f32_e32 v91, v91, v92
	s_cbranch_execz .LBB103_250
	s_branch .LBB103_251
.LBB103_249:
                                        ; implicit-def: $vgpr91
.LBB103_250:
	ds_read_b32 v91, v82
.LBB103_251:
	s_and_saveexec_b64 s[12:13], s[4:5]
	s_cbranch_execz .LBB103_255
; %bb.252:
	v_add_u32_e32 v92, -14, v0
	s_movk_i32 s14, 0xd8
	s_mov_b64 s[4:5], 0
.LBB103_253:                            ; =>This Inner Loop Header: Depth=1
	buffer_load_dword v93, v90, s[0:3], 0 offen
	v_mov_b32_e32 v94, s14
	ds_read_b32 v94, v94
	v_add_u32_e32 v92, -1, v92
	s_add_i32 s14, s14, 4
	v_cmp_eq_u32_e32 vcc, 0, v92
	v_add_u32_e32 v90, 4, v90
	s_or_b64 s[4:5], vcc, s[4:5]
	s_waitcnt vmcnt(0) lgkmcnt(0)
	v_fmac_f32_e32 v91, v93, v94
	s_andn2_b64 exec, exec, s[4:5]
	s_cbranch_execnz .LBB103_253
; %bb.254:
	s_or_b64 exec, exec, s[4:5]
.LBB103_255:
	s_or_b64 exec, exec, s[12:13]
	v_mov_b32_e32 v90, 0
	ds_read_b32 v90, v90 offset:52
	s_waitcnt lgkmcnt(0)
	v_mul_f32_e32 v90, v91, v90
	buffer_store_dword v90, off, s[0:3], 0 offset:52
.LBB103_256:
	s_or_b64 exec, exec, s[10:11]
	buffer_load_dword v90, off, s[0:3], 0 offset:48
	v_cmp_lt_u32_e64 s[4:5], 12, v0
	s_waitcnt vmcnt(0)
	ds_write_b32 v82, v90
	s_waitcnt lgkmcnt(0)
	; wave barrier
	s_waitcnt lgkmcnt(0)
	s_and_saveexec_b64 s[10:11], s[4:5]
	s_cbranch_execz .LBB103_266
; %bb.257:
	s_andn2_b64 vcc, exec, s[8:9]
	s_cbranch_vccnz .LBB103_259
; %bb.258:
	buffer_load_dword v90, v83, s[0:3], 0 offen
	ds_read_b32 v91, v82
	s_waitcnt vmcnt(0) lgkmcnt(0)
	v_mul_f32_e32 v90, v90, v91
	s_cbranch_execz .LBB103_260
	s_branch .LBB103_261
.LBB103_259:
                                        ; implicit-def: $vgpr90
.LBB103_260:
	ds_read_b32 v90, v82
.LBB103_261:
	s_and_saveexec_b64 s[12:13], s[6:7]
	s_cbranch_execz .LBB103_265
; %bb.262:
	v_mov_b32_e32 v91, 0
	v_add_u32_e32 v91, 52, v91
	v_add_u32_e32 v92, -13, v0
	s_movk_i32 s14, 0xd4
	s_mov_b64 s[6:7], 0
.LBB103_263:                            ; =>This Inner Loop Header: Depth=1
	buffer_load_dword v93, v91, s[0:3], 0 offen
	v_mov_b32_e32 v94, s14
	ds_read_b32 v94, v94
	v_add_u32_e32 v92, -1, v92
	s_add_i32 s14, s14, 4
	v_cmp_eq_u32_e32 vcc, 0, v92
	v_add_u32_e32 v91, 4, v91
	s_or_b64 s[6:7], vcc, s[6:7]
	s_waitcnt vmcnt(0) lgkmcnt(0)
	v_fmac_f32_e32 v90, v93, v94
	s_andn2_b64 exec, exec, s[6:7]
	s_cbranch_execnz .LBB103_263
; %bb.264:
	s_or_b64 exec, exec, s[6:7]
.LBB103_265:
	s_or_b64 exec, exec, s[12:13]
	v_mov_b32_e32 v91, 0
	ds_read_b32 v91, v91 offset:48
	s_waitcnt lgkmcnt(0)
	v_mul_f32_e32 v90, v90, v91
	buffer_store_dword v90, off, s[0:3], 0 offset:48
.LBB103_266:
	s_or_b64 exec, exec, s[10:11]
	buffer_load_dword v90, off, s[0:3], 0 offset:44
	v_cmp_lt_u32_e64 s[6:7], 11, v0
	s_waitcnt vmcnt(0)
	ds_write_b32 v82, v90
	s_waitcnt lgkmcnt(0)
	; wave barrier
	s_waitcnt lgkmcnt(0)
	s_and_saveexec_b64 s[10:11], s[6:7]
	s_cbranch_execz .LBB103_276
; %bb.267:
	s_andn2_b64 vcc, exec, s[8:9]
	s_cbranch_vccnz .LBB103_269
; %bb.268:
	buffer_load_dword v90, v83, s[0:3], 0 offen
	ds_read_b32 v91, v82
	s_waitcnt vmcnt(0) lgkmcnt(0)
	v_mul_f32_e32 v90, v90, v91
	s_cbranch_execz .LBB103_270
	s_branch .LBB103_271
.LBB103_269:
                                        ; implicit-def: $vgpr90
.LBB103_270:
	ds_read_b32 v90, v82
.LBB103_271:
	s_and_saveexec_b64 s[12:13], s[4:5]
	s_cbranch_execz .LBB103_275
; %bb.272:
	v_add_u32_e32 v91, -12, v0
	s_movk_i32 s14, 0xd0
	s_mov_b64 s[4:5], 0
.LBB103_273:                            ; =>This Inner Loop Header: Depth=1
	buffer_load_dword v92, v89, s[0:3], 0 offen
	v_mov_b32_e32 v93, s14
	ds_read_b32 v93, v93
	v_add_u32_e32 v91, -1, v91
	s_add_i32 s14, s14, 4
	v_cmp_eq_u32_e32 vcc, 0, v91
	v_add_u32_e32 v89, 4, v89
	s_or_b64 s[4:5], vcc, s[4:5]
	s_waitcnt vmcnt(0) lgkmcnt(0)
	v_fmac_f32_e32 v90, v92, v93
	s_andn2_b64 exec, exec, s[4:5]
	s_cbranch_execnz .LBB103_273
; %bb.274:
	s_or_b64 exec, exec, s[4:5]
.LBB103_275:
	s_or_b64 exec, exec, s[12:13]
	v_mov_b32_e32 v89, 0
	ds_read_b32 v89, v89 offset:44
	s_waitcnt lgkmcnt(0)
	v_mul_f32_e32 v89, v90, v89
	buffer_store_dword v89, off, s[0:3], 0 offset:44
.LBB103_276:
	s_or_b64 exec, exec, s[10:11]
	buffer_load_dword v89, off, s[0:3], 0 offset:40
	v_cmp_lt_u32_e64 s[4:5], 10, v0
	s_waitcnt vmcnt(0)
	ds_write_b32 v82, v89
	s_waitcnt lgkmcnt(0)
	; wave barrier
	s_waitcnt lgkmcnt(0)
	s_and_saveexec_b64 s[10:11], s[4:5]
	s_cbranch_execz .LBB103_286
; %bb.277:
	s_andn2_b64 vcc, exec, s[8:9]
	s_cbranch_vccnz .LBB103_279
; %bb.278:
	buffer_load_dword v89, v83, s[0:3], 0 offen
	ds_read_b32 v90, v82
	s_waitcnt vmcnt(0) lgkmcnt(0)
	v_mul_f32_e32 v89, v89, v90
	s_cbranch_execz .LBB103_280
	s_branch .LBB103_281
.LBB103_279:
                                        ; implicit-def: $vgpr89
.LBB103_280:
	ds_read_b32 v89, v82
.LBB103_281:
	s_and_saveexec_b64 s[12:13], s[6:7]
	s_cbranch_execz .LBB103_285
; %bb.282:
	v_mov_b32_e32 v90, 0
	v_add_u32_e32 v90, 44, v90
	v_add_u32_e32 v91, -11, v0
	s_movk_i32 s14, 0xcc
	s_mov_b64 s[6:7], 0
.LBB103_283:                            ; =>This Inner Loop Header: Depth=1
	buffer_load_dword v92, v90, s[0:3], 0 offen
	v_mov_b32_e32 v93, s14
	ds_read_b32 v93, v93
	v_add_u32_e32 v91, -1, v91
	s_add_i32 s14, s14, 4
	v_cmp_eq_u32_e32 vcc, 0, v91
	v_add_u32_e32 v90, 4, v90
	s_or_b64 s[6:7], vcc, s[6:7]
	s_waitcnt vmcnt(0) lgkmcnt(0)
	v_fmac_f32_e32 v89, v92, v93
	s_andn2_b64 exec, exec, s[6:7]
	s_cbranch_execnz .LBB103_283
; %bb.284:
	s_or_b64 exec, exec, s[6:7]
.LBB103_285:
	s_or_b64 exec, exec, s[12:13]
	v_mov_b32_e32 v90, 0
	ds_read_b32 v90, v90 offset:40
	s_waitcnt lgkmcnt(0)
	v_mul_f32_e32 v89, v89, v90
	buffer_store_dword v89, off, s[0:3], 0 offset:40
.LBB103_286:
	s_or_b64 exec, exec, s[10:11]
	buffer_load_dword v89, off, s[0:3], 0 offset:36
	v_cmp_lt_u32_e64 s[6:7], 9, v0
	s_waitcnt vmcnt(0)
	ds_write_b32 v82, v89
	s_waitcnt lgkmcnt(0)
	; wave barrier
	s_waitcnt lgkmcnt(0)
	s_and_saveexec_b64 s[10:11], s[6:7]
	s_cbranch_execz .LBB103_296
; %bb.287:
	s_andn2_b64 vcc, exec, s[8:9]
	s_cbranch_vccnz .LBB103_289
; %bb.288:
	buffer_load_dword v89, v83, s[0:3], 0 offen
	ds_read_b32 v90, v82
	s_waitcnt vmcnt(0) lgkmcnt(0)
	v_mul_f32_e32 v89, v89, v90
	s_cbranch_execz .LBB103_290
	s_branch .LBB103_291
.LBB103_289:
                                        ; implicit-def: $vgpr89
.LBB103_290:
	ds_read_b32 v89, v82
.LBB103_291:
	s_and_saveexec_b64 s[12:13], s[4:5]
	s_cbranch_execz .LBB103_295
; %bb.292:
	v_add_u32_e32 v90, -10, v0
	s_movk_i32 s14, 0xc8
	s_mov_b64 s[4:5], 0
.LBB103_293:                            ; =>This Inner Loop Header: Depth=1
	buffer_load_dword v91, v88, s[0:3], 0 offen
	v_mov_b32_e32 v92, s14
	ds_read_b32 v92, v92
	v_add_u32_e32 v90, -1, v90
	s_add_i32 s14, s14, 4
	v_cmp_eq_u32_e32 vcc, 0, v90
	v_add_u32_e32 v88, 4, v88
	s_or_b64 s[4:5], vcc, s[4:5]
	s_waitcnt vmcnt(0) lgkmcnt(0)
	v_fmac_f32_e32 v89, v91, v92
	s_andn2_b64 exec, exec, s[4:5]
	s_cbranch_execnz .LBB103_293
; %bb.294:
	s_or_b64 exec, exec, s[4:5]
.LBB103_295:
	s_or_b64 exec, exec, s[12:13]
	v_mov_b32_e32 v88, 0
	ds_read_b32 v88, v88 offset:36
	s_waitcnt lgkmcnt(0)
	v_mul_f32_e32 v88, v89, v88
	buffer_store_dword v88, off, s[0:3], 0 offset:36
.LBB103_296:
	s_or_b64 exec, exec, s[10:11]
	buffer_load_dword v88, off, s[0:3], 0 offset:32
	v_cmp_lt_u32_e64 s[4:5], 8, v0
	s_waitcnt vmcnt(0)
	ds_write_b32 v82, v88
	s_waitcnt lgkmcnt(0)
	; wave barrier
	s_waitcnt lgkmcnt(0)
	s_and_saveexec_b64 s[10:11], s[4:5]
	s_cbranch_execz .LBB103_306
; %bb.297:
	s_andn2_b64 vcc, exec, s[8:9]
	s_cbranch_vccnz .LBB103_299
; %bb.298:
	buffer_load_dword v88, v83, s[0:3], 0 offen
	ds_read_b32 v89, v82
	s_waitcnt vmcnt(0) lgkmcnt(0)
	v_mul_f32_e32 v88, v88, v89
	s_cbranch_execz .LBB103_300
	s_branch .LBB103_301
.LBB103_299:
                                        ; implicit-def: $vgpr88
.LBB103_300:
	ds_read_b32 v88, v82
.LBB103_301:
	s_and_saveexec_b64 s[12:13], s[6:7]
	s_cbranch_execz .LBB103_305
; %bb.302:
	v_mov_b32_e32 v89, 0
	v_add_u32_e32 v89, 36, v89
	v_add_u32_e32 v90, -9, v0
	s_movk_i32 s14, 0xc4
	s_mov_b64 s[6:7], 0
.LBB103_303:                            ; =>This Inner Loop Header: Depth=1
	buffer_load_dword v91, v89, s[0:3], 0 offen
	v_mov_b32_e32 v92, s14
	ds_read_b32 v92, v92
	v_add_u32_e32 v90, -1, v90
	s_add_i32 s14, s14, 4
	v_cmp_eq_u32_e32 vcc, 0, v90
	v_add_u32_e32 v89, 4, v89
	s_or_b64 s[6:7], vcc, s[6:7]
	s_waitcnt vmcnt(0) lgkmcnt(0)
	v_fmac_f32_e32 v88, v91, v92
	s_andn2_b64 exec, exec, s[6:7]
	s_cbranch_execnz .LBB103_303
; %bb.304:
	s_or_b64 exec, exec, s[6:7]
.LBB103_305:
	s_or_b64 exec, exec, s[12:13]
	v_mov_b32_e32 v89, 0
	ds_read_b32 v89, v89 offset:32
	s_waitcnt lgkmcnt(0)
	v_mul_f32_e32 v88, v88, v89
	buffer_store_dword v88, off, s[0:3], 0 offset:32
.LBB103_306:
	s_or_b64 exec, exec, s[10:11]
	buffer_load_dword v88, off, s[0:3], 0 offset:28
	v_cmp_lt_u32_e64 s[6:7], 7, v0
	s_waitcnt vmcnt(0)
	ds_write_b32 v82, v88
	s_waitcnt lgkmcnt(0)
	; wave barrier
	s_waitcnt lgkmcnt(0)
	s_and_saveexec_b64 s[10:11], s[6:7]
	s_cbranch_execz .LBB103_316
; %bb.307:
	s_andn2_b64 vcc, exec, s[8:9]
	s_cbranch_vccnz .LBB103_309
; %bb.308:
	buffer_load_dword v88, v83, s[0:3], 0 offen
	ds_read_b32 v89, v82
	s_waitcnt vmcnt(0) lgkmcnt(0)
	v_mul_f32_e32 v88, v88, v89
	s_cbranch_execz .LBB103_310
	s_branch .LBB103_311
.LBB103_309:
                                        ; implicit-def: $vgpr88
.LBB103_310:
	ds_read_b32 v88, v82
.LBB103_311:
	s_and_saveexec_b64 s[12:13], s[4:5]
	s_cbranch_execz .LBB103_315
; %bb.312:
	v_add_u32_e32 v89, -8, v0
	s_movk_i32 s14, 0xc0
	s_mov_b64 s[4:5], 0
.LBB103_313:                            ; =>This Inner Loop Header: Depth=1
	buffer_load_dword v90, v87, s[0:3], 0 offen
	v_mov_b32_e32 v91, s14
	ds_read_b32 v91, v91
	v_add_u32_e32 v89, -1, v89
	s_add_i32 s14, s14, 4
	v_cmp_eq_u32_e32 vcc, 0, v89
	v_add_u32_e32 v87, 4, v87
	s_or_b64 s[4:5], vcc, s[4:5]
	s_waitcnt vmcnt(0) lgkmcnt(0)
	v_fmac_f32_e32 v88, v90, v91
	s_andn2_b64 exec, exec, s[4:5]
	s_cbranch_execnz .LBB103_313
; %bb.314:
	s_or_b64 exec, exec, s[4:5]
.LBB103_315:
	s_or_b64 exec, exec, s[12:13]
	v_mov_b32_e32 v87, 0
	ds_read_b32 v87, v87 offset:28
	s_waitcnt lgkmcnt(0)
	v_mul_f32_e32 v87, v88, v87
	buffer_store_dword v87, off, s[0:3], 0 offset:28
.LBB103_316:
	s_or_b64 exec, exec, s[10:11]
	buffer_load_dword v87, off, s[0:3], 0 offset:24
	v_cmp_lt_u32_e64 s[4:5], 6, v0
	s_waitcnt vmcnt(0)
	ds_write_b32 v82, v87
	s_waitcnt lgkmcnt(0)
	; wave barrier
	s_waitcnt lgkmcnt(0)
	s_and_saveexec_b64 s[10:11], s[4:5]
	s_cbranch_execz .LBB103_326
; %bb.317:
	s_andn2_b64 vcc, exec, s[8:9]
	s_cbranch_vccnz .LBB103_319
; %bb.318:
	buffer_load_dword v87, v83, s[0:3], 0 offen
	ds_read_b32 v88, v82
	s_waitcnt vmcnt(0) lgkmcnt(0)
	v_mul_f32_e32 v87, v87, v88
	s_cbranch_execz .LBB103_320
	s_branch .LBB103_321
.LBB103_319:
                                        ; implicit-def: $vgpr87
.LBB103_320:
	ds_read_b32 v87, v82
.LBB103_321:
	s_and_saveexec_b64 s[12:13], s[6:7]
	s_cbranch_execz .LBB103_325
; %bb.322:
	v_mov_b32_e32 v88, 0
	v_add_u32_e32 v88, 28, v88
	v_add_u32_e32 v89, -7, v0
	s_movk_i32 s14, 0xbc
	s_mov_b64 s[6:7], 0
.LBB103_323:                            ; =>This Inner Loop Header: Depth=1
	buffer_load_dword v90, v88, s[0:3], 0 offen
	v_mov_b32_e32 v91, s14
	ds_read_b32 v91, v91
	v_add_u32_e32 v89, -1, v89
	s_add_i32 s14, s14, 4
	v_cmp_eq_u32_e32 vcc, 0, v89
	v_add_u32_e32 v88, 4, v88
	s_or_b64 s[6:7], vcc, s[6:7]
	s_waitcnt vmcnt(0) lgkmcnt(0)
	v_fmac_f32_e32 v87, v90, v91
	s_andn2_b64 exec, exec, s[6:7]
	s_cbranch_execnz .LBB103_323
; %bb.324:
	s_or_b64 exec, exec, s[6:7]
.LBB103_325:
	s_or_b64 exec, exec, s[12:13]
	v_mov_b32_e32 v88, 0
	ds_read_b32 v88, v88 offset:24
	s_waitcnt lgkmcnt(0)
	v_mul_f32_e32 v87, v87, v88
	buffer_store_dword v87, off, s[0:3], 0 offset:24
.LBB103_326:
	s_or_b64 exec, exec, s[10:11]
	buffer_load_dword v87, off, s[0:3], 0 offset:20
	v_cmp_lt_u32_e64 s[6:7], 5, v0
	s_waitcnt vmcnt(0)
	ds_write_b32 v82, v87
	s_waitcnt lgkmcnt(0)
	; wave barrier
	s_waitcnt lgkmcnt(0)
	s_and_saveexec_b64 s[10:11], s[6:7]
	s_cbranch_execz .LBB103_336
; %bb.327:
	s_andn2_b64 vcc, exec, s[8:9]
	s_cbranch_vccnz .LBB103_329
; %bb.328:
	buffer_load_dword v87, v83, s[0:3], 0 offen
	ds_read_b32 v88, v82
	s_waitcnt vmcnt(0) lgkmcnt(0)
	v_mul_f32_e32 v87, v87, v88
	s_cbranch_execz .LBB103_330
	s_branch .LBB103_331
.LBB103_329:
                                        ; implicit-def: $vgpr87
.LBB103_330:
	ds_read_b32 v87, v82
.LBB103_331:
	s_and_saveexec_b64 s[12:13], s[4:5]
	s_cbranch_execz .LBB103_335
; %bb.332:
	v_add_u32_e32 v88, -6, v0
	s_movk_i32 s14, 0xb8
	s_mov_b64 s[4:5], 0
.LBB103_333:                            ; =>This Inner Loop Header: Depth=1
	buffer_load_dword v89, v86, s[0:3], 0 offen
	v_mov_b32_e32 v90, s14
	ds_read_b32 v90, v90
	v_add_u32_e32 v88, -1, v88
	s_add_i32 s14, s14, 4
	v_cmp_eq_u32_e32 vcc, 0, v88
	v_add_u32_e32 v86, 4, v86
	s_or_b64 s[4:5], vcc, s[4:5]
	s_waitcnt vmcnt(0) lgkmcnt(0)
	v_fmac_f32_e32 v87, v89, v90
	s_andn2_b64 exec, exec, s[4:5]
	s_cbranch_execnz .LBB103_333
; %bb.334:
	s_or_b64 exec, exec, s[4:5]
.LBB103_335:
	s_or_b64 exec, exec, s[12:13]
	v_mov_b32_e32 v86, 0
	ds_read_b32 v86, v86 offset:20
	s_waitcnt lgkmcnt(0)
	v_mul_f32_e32 v86, v87, v86
	buffer_store_dword v86, off, s[0:3], 0 offset:20
.LBB103_336:
	s_or_b64 exec, exec, s[10:11]
	buffer_load_dword v86, off, s[0:3], 0 offset:16
	v_cmp_lt_u32_e64 s[4:5], 4, v0
	s_waitcnt vmcnt(0)
	ds_write_b32 v82, v86
	s_waitcnt lgkmcnt(0)
	; wave barrier
	s_waitcnt lgkmcnt(0)
	s_and_saveexec_b64 s[10:11], s[4:5]
	s_cbranch_execz .LBB103_346
; %bb.337:
	s_andn2_b64 vcc, exec, s[8:9]
	s_cbranch_vccnz .LBB103_339
; %bb.338:
	buffer_load_dword v86, v83, s[0:3], 0 offen
	ds_read_b32 v87, v82
	s_waitcnt vmcnt(0) lgkmcnt(0)
	v_mul_f32_e32 v86, v86, v87
	s_cbranch_execz .LBB103_340
	s_branch .LBB103_341
.LBB103_339:
                                        ; implicit-def: $vgpr86
.LBB103_340:
	ds_read_b32 v86, v82
.LBB103_341:
	s_and_saveexec_b64 s[12:13], s[6:7]
	s_cbranch_execz .LBB103_345
; %bb.342:
	v_mov_b32_e32 v87, 0
	v_add_u32_e32 v87, 20, v87
	v_add_u32_e32 v88, -5, v0
	s_movk_i32 s14, 0xb4
	s_mov_b64 s[6:7], 0
.LBB103_343:                            ; =>This Inner Loop Header: Depth=1
	buffer_load_dword v89, v87, s[0:3], 0 offen
	v_mov_b32_e32 v90, s14
	ds_read_b32 v90, v90
	v_add_u32_e32 v88, -1, v88
	s_add_i32 s14, s14, 4
	v_cmp_eq_u32_e32 vcc, 0, v88
	v_add_u32_e32 v87, 4, v87
	s_or_b64 s[6:7], vcc, s[6:7]
	s_waitcnt vmcnt(0) lgkmcnt(0)
	v_fmac_f32_e32 v86, v89, v90
	s_andn2_b64 exec, exec, s[6:7]
	s_cbranch_execnz .LBB103_343
; %bb.344:
	s_or_b64 exec, exec, s[6:7]
.LBB103_345:
	s_or_b64 exec, exec, s[12:13]
	v_mov_b32_e32 v87, 0
	ds_read_b32 v87, v87 offset:16
	s_waitcnt lgkmcnt(0)
	v_mul_f32_e32 v86, v86, v87
	buffer_store_dword v86, off, s[0:3], 0 offset:16
.LBB103_346:
	s_or_b64 exec, exec, s[10:11]
	buffer_load_dword v86, off, s[0:3], 0 offset:12
	v_cmp_lt_u32_e64 s[6:7], 3, v0
	s_waitcnt vmcnt(0)
	ds_write_b32 v82, v86
	s_waitcnt lgkmcnt(0)
	; wave barrier
	s_waitcnt lgkmcnt(0)
	s_and_saveexec_b64 s[10:11], s[6:7]
	s_cbranch_execz .LBB103_356
; %bb.347:
	s_andn2_b64 vcc, exec, s[8:9]
	s_cbranch_vccnz .LBB103_349
; %bb.348:
	buffer_load_dword v86, v83, s[0:3], 0 offen
	ds_read_b32 v87, v82
	s_waitcnt vmcnt(0) lgkmcnt(0)
	v_mul_f32_e32 v86, v86, v87
	s_cbranch_execz .LBB103_350
	s_branch .LBB103_351
.LBB103_349:
                                        ; implicit-def: $vgpr86
.LBB103_350:
	ds_read_b32 v86, v82
.LBB103_351:
	s_and_saveexec_b64 s[12:13], s[4:5]
	s_cbranch_execz .LBB103_355
; %bb.352:
	v_add_u32_e32 v87, -4, v0
	s_movk_i32 s14, 0xb0
	s_mov_b64 s[4:5], 0
.LBB103_353:                            ; =>This Inner Loop Header: Depth=1
	buffer_load_dword v88, v85, s[0:3], 0 offen
	v_mov_b32_e32 v89, s14
	ds_read_b32 v89, v89
	v_add_u32_e32 v87, -1, v87
	s_add_i32 s14, s14, 4
	v_cmp_eq_u32_e32 vcc, 0, v87
	v_add_u32_e32 v85, 4, v85
	s_or_b64 s[4:5], vcc, s[4:5]
	s_waitcnt vmcnt(0) lgkmcnt(0)
	v_fmac_f32_e32 v86, v88, v89
	s_andn2_b64 exec, exec, s[4:5]
	s_cbranch_execnz .LBB103_353
; %bb.354:
	s_or_b64 exec, exec, s[4:5]
.LBB103_355:
	s_or_b64 exec, exec, s[12:13]
	v_mov_b32_e32 v85, 0
	ds_read_b32 v85, v85 offset:12
	s_waitcnt lgkmcnt(0)
	v_mul_f32_e32 v85, v86, v85
	buffer_store_dword v85, off, s[0:3], 0 offset:12
.LBB103_356:
	s_or_b64 exec, exec, s[10:11]
	buffer_load_dword v85, off, s[0:3], 0 offset:8
	v_cmp_lt_u32_e64 s[4:5], 2, v0
	s_waitcnt vmcnt(0)
	ds_write_b32 v82, v85
	s_waitcnt lgkmcnt(0)
	; wave barrier
	s_waitcnt lgkmcnt(0)
	s_and_saveexec_b64 s[10:11], s[4:5]
	s_cbranch_execz .LBB103_366
; %bb.357:
	s_andn2_b64 vcc, exec, s[8:9]
	s_cbranch_vccnz .LBB103_359
; %bb.358:
	buffer_load_dword v85, v83, s[0:3], 0 offen
	ds_read_b32 v86, v82
	s_waitcnt vmcnt(0) lgkmcnt(0)
	v_mul_f32_e32 v85, v85, v86
	s_cbranch_execz .LBB103_360
	s_branch .LBB103_361
.LBB103_359:
                                        ; implicit-def: $vgpr85
.LBB103_360:
	ds_read_b32 v85, v82
.LBB103_361:
	s_and_saveexec_b64 s[12:13], s[6:7]
	s_cbranch_execz .LBB103_365
; %bb.362:
	v_mov_b32_e32 v86, 0
	v_or_b32_e32 v86, 12, v86
	v_add_u32_e32 v87, -3, v0
	s_movk_i32 s14, 0xac
	s_mov_b64 s[6:7], 0
.LBB103_363:                            ; =>This Inner Loop Header: Depth=1
	buffer_load_dword v88, v86, s[0:3], 0 offen
	v_mov_b32_e32 v89, s14
	ds_read_b32 v89, v89
	v_add_u32_e32 v87, -1, v87
	s_add_i32 s14, s14, 4
	v_cmp_eq_u32_e32 vcc, 0, v87
	v_add_u32_e32 v86, 4, v86
	s_or_b64 s[6:7], vcc, s[6:7]
	s_waitcnt vmcnt(0) lgkmcnt(0)
	v_fmac_f32_e32 v85, v88, v89
	s_andn2_b64 exec, exec, s[6:7]
	s_cbranch_execnz .LBB103_363
; %bb.364:
	s_or_b64 exec, exec, s[6:7]
.LBB103_365:
	s_or_b64 exec, exec, s[12:13]
	v_mov_b32_e32 v86, 0
	ds_read_b32 v86, v86 offset:8
	s_waitcnt lgkmcnt(0)
	v_mul_f32_e32 v85, v85, v86
	buffer_store_dword v85, off, s[0:3], 0 offset:8
.LBB103_366:
	s_or_b64 exec, exec, s[10:11]
	buffer_load_dword v85, off, s[0:3], 0 offset:4
	v_cmp_lt_u32_e64 s[6:7], 1, v0
	s_waitcnt vmcnt(0)
	ds_write_b32 v82, v85
	s_waitcnt lgkmcnt(0)
	; wave barrier
	s_waitcnt lgkmcnt(0)
	s_and_saveexec_b64 s[10:11], s[6:7]
	s_cbranch_execz .LBB103_376
; %bb.367:
	s_andn2_b64 vcc, exec, s[8:9]
	s_cbranch_vccnz .LBB103_369
; %bb.368:
	buffer_load_dword v85, v83, s[0:3], 0 offen
	ds_read_b32 v86, v82
	s_waitcnt vmcnt(0) lgkmcnt(0)
	v_mul_f32_e32 v85, v85, v86
	s_cbranch_execz .LBB103_370
	s_branch .LBB103_371
.LBB103_369:
                                        ; implicit-def: $vgpr85
.LBB103_370:
	ds_read_b32 v85, v82
.LBB103_371:
	s_and_saveexec_b64 s[12:13], s[4:5]
	s_cbranch_execz .LBB103_375
; %bb.372:
	v_add_u32_e32 v86, -2, v0
	s_movk_i32 s14, 0xa8
	s_mov_b64 s[4:5], 0
.LBB103_373:                            ; =>This Inner Loop Header: Depth=1
	buffer_load_dword v87, v84, s[0:3], 0 offen
	v_mov_b32_e32 v88, s14
	ds_read_b32 v88, v88
	v_add_u32_e32 v86, -1, v86
	s_add_i32 s14, s14, 4
	v_cmp_eq_u32_e32 vcc, 0, v86
	v_add_u32_e32 v84, 4, v84
	s_or_b64 s[4:5], vcc, s[4:5]
	s_waitcnt vmcnt(0) lgkmcnt(0)
	v_fmac_f32_e32 v85, v87, v88
	s_andn2_b64 exec, exec, s[4:5]
	s_cbranch_execnz .LBB103_373
; %bb.374:
	s_or_b64 exec, exec, s[4:5]
.LBB103_375:
	s_or_b64 exec, exec, s[12:13]
	v_mov_b32_e32 v84, 0
	ds_read_b32 v84, v84 offset:4
	s_waitcnt lgkmcnt(0)
	v_mul_f32_e32 v84, v85, v84
	buffer_store_dword v84, off, s[0:3], 0 offset:4
.LBB103_376:
	s_or_b64 exec, exec, s[10:11]
	buffer_load_dword v84, off, s[0:3], 0
	v_cmp_ne_u32_e32 vcc, 0, v0
	s_waitcnt vmcnt(0)
	ds_write_b32 v82, v84
	s_waitcnt lgkmcnt(0)
	; wave barrier
	s_waitcnt lgkmcnt(0)
	s_and_saveexec_b64 s[4:5], vcc
	s_cbranch_execz .LBB103_386
; %bb.377:
	s_andn2_b64 vcc, exec, s[8:9]
	s_cbranch_vccnz .LBB103_379
; %bb.378:
	buffer_load_dword v84, v83, s[0:3], 0 offen
	ds_read_b32 v85, v82
	s_waitcnt vmcnt(0) lgkmcnt(0)
	v_mul_f32_e32 v84, v84, v85
	s_cbranch_execz .LBB103_380
	s_branch .LBB103_381
.LBB103_379:
                                        ; implicit-def: $vgpr84
.LBB103_380:
	ds_read_b32 v84, v82
.LBB103_381:
	s_and_saveexec_b64 s[10:11], s[6:7]
	s_cbranch_execz .LBB103_385
; %bb.382:
	v_mov_b32_e32 v85, 0
	v_or_b32_e32 v85, 4, v85
	v_add_u32_e32 v86, -1, v0
	s_movk_i32 s12, 0xa4
	s_mov_b64 s[6:7], 0
.LBB103_383:                            ; =>This Inner Loop Header: Depth=1
	buffer_load_dword v87, v85, s[0:3], 0 offen
	v_mov_b32_e32 v88, s12
	ds_read_b32 v88, v88
	v_add_u32_e32 v86, -1, v86
	s_add_i32 s12, s12, 4
	v_cmp_eq_u32_e32 vcc, 0, v86
	v_add_u32_e32 v85, 4, v85
	s_or_b64 s[6:7], vcc, s[6:7]
	s_waitcnt vmcnt(0) lgkmcnt(0)
	v_fmac_f32_e32 v84, v87, v88
	s_andn2_b64 exec, exec, s[6:7]
	s_cbranch_execnz .LBB103_383
; %bb.384:
	s_or_b64 exec, exec, s[6:7]
.LBB103_385:
	s_or_b64 exec, exec, s[10:11]
	v_mov_b32_e32 v85, 0
	ds_read_b32 v85, v85
	s_waitcnt lgkmcnt(0)
	v_mul_f32_e32 v84, v84, v85
	buffer_store_dword v84, off, s[0:3], 0
.LBB103_386:
	s_or_b64 exec, exec, s[4:5]
	s_mov_b64 s[4:5], 0
.LBB103_387:
	s_and_b64 vcc, exec, s[4:5]
	s_cbranch_vccz .LBB103_771
; %bb.388:
	buffer_load_dword v84, off, s[0:3], 0 offset:4
	v_cmp_eq_u32_e64 s[6:7], 0, v0
	s_waitcnt vmcnt(0)
	ds_write_b32 v82, v84
	s_waitcnt lgkmcnt(0)
	; wave barrier
	s_waitcnt lgkmcnt(0)
	s_and_saveexec_b64 s[4:5], s[6:7]
	s_cbranch_execz .LBB103_394
; %bb.389:
	s_and_b64 vcc, exec, s[8:9]
	s_cbranch_vccz .LBB103_391
; %bb.390:
	buffer_load_dword v84, v83, s[0:3], 0 offen
	ds_read_b32 v85, v82
	s_waitcnt vmcnt(0) lgkmcnt(0)
	v_mul_f32_e32 v84, v84, v85
	s_cbranch_execz .LBB103_392
	s_branch .LBB103_393
.LBB103_391:
                                        ; implicit-def: $vgpr84
.LBB103_392:
	ds_read_b32 v84, v82
.LBB103_393:
	v_mov_b32_e32 v85, 0
	ds_read_b32 v85, v85 offset:4
	s_waitcnt lgkmcnt(0)
	v_mul_f32_e32 v84, v84, v85
	buffer_store_dword v84, off, s[0:3], 0 offset:4
.LBB103_394:
	s_or_b64 exec, exec, s[4:5]
	buffer_load_dword v84, off, s[0:3], 0 offset:8
	v_cndmask_b32_e64 v85, 0, 1, s[8:9]
	v_cmp_gt_u32_e32 vcc, 2, v0
	v_cmp_ne_u32_e64 s[4:5], 1, v85
	s_waitcnt vmcnt(0)
	ds_write_b32 v82, v84
	s_waitcnt lgkmcnt(0)
	; wave barrier
	s_waitcnt lgkmcnt(0)
	s_and_saveexec_b64 s[8:9], vcc
	s_cbranch_execz .LBB103_402
; %bb.395:
	s_and_b64 vcc, exec, s[4:5]
	s_cbranch_vccnz .LBB103_397
; %bb.396:
	buffer_load_dword v84, v83, s[0:3], 0 offen
	ds_read_b32 v85, v82
	s_waitcnt vmcnt(0) lgkmcnt(0)
	v_mul_f32_e32 v84, v84, v85
	s_cbranch_execz .LBB103_398
	s_branch .LBB103_399
.LBB103_397:
                                        ; implicit-def: $vgpr84
.LBB103_398:
	ds_read_b32 v84, v82
.LBB103_399:
	s_and_saveexec_b64 s[10:11], s[6:7]
	s_cbranch_execz .LBB103_401
; %bb.400:
	buffer_load_dword v85, v83, s[0:3], 0 offen offset:4
	ds_read_b32 v86, v82 offset:4
	s_waitcnt vmcnt(0) lgkmcnt(0)
	v_fmac_f32_e32 v84, v85, v86
.LBB103_401:
	s_or_b64 exec, exec, s[10:11]
	v_mov_b32_e32 v85, 0
	ds_read_b32 v85, v85 offset:8
	s_waitcnt lgkmcnt(0)
	v_mul_f32_e32 v84, v84, v85
	buffer_store_dword v84, off, s[0:3], 0 offset:8
.LBB103_402:
	s_or_b64 exec, exec, s[8:9]
	buffer_load_dword v84, off, s[0:3], 0 offset:12
	v_cmp_gt_u32_e32 vcc, 3, v0
	s_waitcnt vmcnt(0)
	ds_write_b32 v82, v84
	s_waitcnt lgkmcnt(0)
	; wave barrier
	s_waitcnt lgkmcnt(0)
	s_and_saveexec_b64 s[8:9], vcc
	s_cbranch_execz .LBB103_410
; %bb.403:
	s_and_b64 vcc, exec, s[4:5]
	s_cbranch_vccnz .LBB103_405
; %bb.404:
	buffer_load_dword v84, v83, s[0:3], 0 offen
	ds_read_b32 v85, v82
	s_waitcnt vmcnt(0) lgkmcnt(0)
	v_mul_f32_e32 v84, v84, v85
	s_cbranch_execz .LBB103_406
	s_branch .LBB103_407
.LBB103_405:
                                        ; implicit-def: $vgpr84
.LBB103_406:
	ds_read_b32 v84, v82
.LBB103_407:
	v_cmp_ne_u32_e32 vcc, 2, v0
	s_and_saveexec_b64 s[10:11], vcc
	s_cbranch_execz .LBB103_409
; %bb.408:
	buffer_load_dword v85, v83, s[0:3], 0 offen offset:4
	buffer_load_dword v86, off, s[0:3], 0 offset:8
	v_mov_b32_e32 v87, 0
	ds_read_b32 v88, v82 offset:4
	ds_read_b32 v87, v87 offset:168
	s_waitcnt vmcnt(1) lgkmcnt(1)
	v_fmac_f32_e32 v84, v85, v88
	s_waitcnt vmcnt(0) lgkmcnt(0)
	v_fma_f32 v85, v86, v87, v84
	v_cndmask_b32_e64 v84, v84, v85, s[6:7]
.LBB103_409:
	s_or_b64 exec, exec, s[10:11]
	v_mov_b32_e32 v85, 0
	ds_read_b32 v85, v85 offset:12
	s_waitcnt lgkmcnt(0)
	v_mul_f32_e32 v84, v84, v85
	buffer_store_dword v84, off, s[0:3], 0 offset:12
.LBB103_410:
	s_or_b64 exec, exec, s[8:9]
	buffer_load_dword v84, off, s[0:3], 0 offset:16
	v_cmp_gt_u32_e32 vcc, 4, v0
	s_waitcnt vmcnt(0)
	ds_write_b32 v82, v84
	s_waitcnt lgkmcnt(0)
	; wave barrier
	s_waitcnt lgkmcnt(0)
	s_and_saveexec_b64 s[6:7], vcc
	s_cbranch_execz .LBB103_420
; %bb.411:
	s_and_b64 vcc, exec, s[4:5]
	s_cbranch_vccnz .LBB103_413
; %bb.412:
	buffer_load_dword v84, v83, s[0:3], 0 offen
	ds_read_b32 v85, v82
	s_waitcnt vmcnt(0) lgkmcnt(0)
	v_mul_f32_e32 v84, v84, v85
	s_cbranch_execz .LBB103_414
	s_branch .LBB103_415
.LBB103_413:
                                        ; implicit-def: $vgpr84
.LBB103_414:
	ds_read_b32 v84, v82
.LBB103_415:
	v_cmp_ne_u32_e32 vcc, 3, v0
	s_and_saveexec_b64 s[8:9], vcc
	s_cbranch_execz .LBB103_419
; %bb.416:
	v_mov_b32_e32 v86, 0
	v_add_u32_e32 v85, 0xa4, v1
	v_add3_u32 v86, v1, v86, 4
	s_mov_b64 s[10:11], 0
	v_mov_b32_e32 v87, v0
.LBB103_417:                            ; =>This Inner Loop Header: Depth=1
	buffer_load_dword v88, v86, s[0:3], 0 offen
	ds_read_b32 v89, v85
	v_add_u32_e32 v87, 1, v87
	v_cmp_lt_u32_e32 vcc, 2, v87
	v_add_u32_e32 v85, 4, v85
	v_add_u32_e32 v86, 4, v86
	s_or_b64 s[10:11], vcc, s[10:11]
	s_waitcnt vmcnt(0) lgkmcnt(0)
	v_fmac_f32_e32 v84, v88, v89
	s_andn2_b64 exec, exec, s[10:11]
	s_cbranch_execnz .LBB103_417
; %bb.418:
	s_or_b64 exec, exec, s[10:11]
.LBB103_419:
	s_or_b64 exec, exec, s[8:9]
	v_mov_b32_e32 v85, 0
	ds_read_b32 v85, v85 offset:16
	s_waitcnt lgkmcnt(0)
	v_mul_f32_e32 v84, v84, v85
	buffer_store_dword v84, off, s[0:3], 0 offset:16
.LBB103_420:
	s_or_b64 exec, exec, s[6:7]
	buffer_load_dword v84, off, s[0:3], 0 offset:20
	v_cmp_gt_u32_e32 vcc, 5, v0
	s_waitcnt vmcnt(0)
	ds_write_b32 v82, v84
	s_waitcnt lgkmcnt(0)
	; wave barrier
	s_waitcnt lgkmcnt(0)
	s_and_saveexec_b64 s[6:7], vcc
	s_cbranch_execz .LBB103_430
; %bb.421:
	s_and_b64 vcc, exec, s[4:5]
	s_cbranch_vccnz .LBB103_423
; %bb.422:
	buffer_load_dword v84, v83, s[0:3], 0 offen
	ds_read_b32 v85, v82
	s_waitcnt vmcnt(0) lgkmcnt(0)
	v_mul_f32_e32 v84, v84, v85
	s_cbranch_execz .LBB103_424
	s_branch .LBB103_425
.LBB103_423:
                                        ; implicit-def: $vgpr84
.LBB103_424:
	ds_read_b32 v84, v82
.LBB103_425:
	v_cmp_ne_u32_e32 vcc, 4, v0
	s_and_saveexec_b64 s[8:9], vcc
	s_cbranch_execz .LBB103_429
; %bb.426:
	v_mov_b32_e32 v86, 0
	v_add_u32_e32 v85, 0xa4, v1
	v_add3_u32 v86, v1, v86, 4
	s_mov_b64 s[10:11], 0
	v_mov_b32_e32 v87, v0
.LBB103_427:                            ; =>This Inner Loop Header: Depth=1
	buffer_load_dword v88, v86, s[0:3], 0 offen
	ds_read_b32 v89, v85
	v_add_u32_e32 v87, 1, v87
	v_cmp_lt_u32_e32 vcc, 3, v87
	v_add_u32_e32 v85, 4, v85
	v_add_u32_e32 v86, 4, v86
	s_or_b64 s[10:11], vcc, s[10:11]
	s_waitcnt vmcnt(0) lgkmcnt(0)
	v_fmac_f32_e32 v84, v88, v89
	s_andn2_b64 exec, exec, s[10:11]
	s_cbranch_execnz .LBB103_427
; %bb.428:
	s_or_b64 exec, exec, s[10:11]
.LBB103_429:
	s_or_b64 exec, exec, s[8:9]
	v_mov_b32_e32 v85, 0
	ds_read_b32 v85, v85 offset:20
	s_waitcnt lgkmcnt(0)
	v_mul_f32_e32 v84, v84, v85
	buffer_store_dword v84, off, s[0:3], 0 offset:20
.LBB103_430:
	;; [unrolled: 56-line block ×34, first 2 shown]
	s_or_b64 exec, exec, s[6:7]
	buffer_load_dword v84, off, s[0:3], 0 offset:152
	v_cmp_gt_u32_e64 s[6:7], 38, v0
	s_waitcnt vmcnt(0)
	ds_write_b32 v82, v84
	s_waitcnt lgkmcnt(0)
	; wave barrier
	s_waitcnt lgkmcnt(0)
	s_and_saveexec_b64 s[8:9], s[6:7]
	s_cbranch_execz .LBB103_760
; %bb.751:
	s_and_b64 vcc, exec, s[4:5]
	s_cbranch_vccnz .LBB103_753
; %bb.752:
	buffer_load_dword v84, v83, s[0:3], 0 offen
	ds_read_b32 v85, v82
	s_waitcnt vmcnt(0) lgkmcnt(0)
	v_mul_f32_e32 v84, v84, v85
	s_cbranch_execz .LBB103_754
	s_branch .LBB103_755
.LBB103_753:
                                        ; implicit-def: $vgpr84
.LBB103_754:
	ds_read_b32 v84, v82
.LBB103_755:
	v_cmp_ne_u32_e32 vcc, 37, v0
	s_and_saveexec_b64 s[10:11], vcc
	s_cbranch_execz .LBB103_759
; %bb.756:
	v_mov_b32_e32 v86, 0
	v_add_u32_e32 v85, 0xa4, v1
	v_add3_u32 v86, v1, v86, 4
	s_mov_b64 s[12:13], 0
	v_mov_b32_e32 v87, v0
.LBB103_757:                            ; =>This Inner Loop Header: Depth=1
	buffer_load_dword v88, v86, s[0:3], 0 offen
	ds_read_b32 v89, v85
	v_add_u32_e32 v87, 1, v87
	v_cmp_lt_u32_e32 vcc, 36, v87
	v_add_u32_e32 v85, 4, v85
	v_add_u32_e32 v86, 4, v86
	s_or_b64 s[12:13], vcc, s[12:13]
	s_waitcnt vmcnt(0) lgkmcnt(0)
	v_fmac_f32_e32 v84, v88, v89
	s_andn2_b64 exec, exec, s[12:13]
	s_cbranch_execnz .LBB103_757
; %bb.758:
	s_or_b64 exec, exec, s[12:13]
.LBB103_759:
	s_or_b64 exec, exec, s[10:11]
	v_mov_b32_e32 v85, 0
	ds_read_b32 v85, v85 offset:152
	s_waitcnt lgkmcnt(0)
	v_mul_f32_e32 v84, v84, v85
	buffer_store_dword v84, off, s[0:3], 0 offset:152
.LBB103_760:
	s_or_b64 exec, exec, s[8:9]
	buffer_load_dword v84, off, s[0:3], 0 offset:156
	v_cmp_ne_u32_e32 vcc, 39, v0
	s_waitcnt vmcnt(0)
	ds_write_b32 v82, v84
	s_waitcnt lgkmcnt(0)
	; wave barrier
	s_waitcnt lgkmcnt(0)
	s_and_saveexec_b64 s[8:9], vcc
	s_cbranch_execz .LBB103_770
; %bb.761:
	s_and_b64 vcc, exec, s[4:5]
	s_cbranch_vccnz .LBB103_763
; %bb.762:
	buffer_load_dword v83, v83, s[0:3], 0 offen
	ds_read_b32 v84, v82
	s_waitcnt vmcnt(0) lgkmcnt(0)
	v_mul_f32_e32 v83, v83, v84
	s_cbranch_execz .LBB103_764
	s_branch .LBB103_765
.LBB103_763:
                                        ; implicit-def: $vgpr83
.LBB103_764:
	ds_read_b32 v83, v82
.LBB103_765:
	s_and_saveexec_b64 s[4:5], s[6:7]
	s_cbranch_execz .LBB103_769
; %bb.766:
	v_mov_b32_e32 v84, 0
	v_add_u32_e32 v82, 0xa4, v1
	v_add3_u32 v1, v1, v84, 4
	s_mov_b64 s[6:7], 0
.LBB103_767:                            ; =>This Inner Loop Header: Depth=1
	buffer_load_dword v84, v1, s[0:3], 0 offen
	ds_read_b32 v85, v82
	v_add_u32_e32 v0, 1, v0
	v_cmp_lt_u32_e32 vcc, 37, v0
	v_add_u32_e32 v82, 4, v82
	v_add_u32_e32 v1, 4, v1
	s_or_b64 s[6:7], vcc, s[6:7]
	s_waitcnt vmcnt(0) lgkmcnt(0)
	v_fmac_f32_e32 v83, v84, v85
	s_andn2_b64 exec, exec, s[6:7]
	s_cbranch_execnz .LBB103_767
; %bb.768:
	s_or_b64 exec, exec, s[6:7]
.LBB103_769:
	s_or_b64 exec, exec, s[4:5]
	v_mov_b32_e32 v0, 0
	ds_read_b32 v0, v0 offset:156
	s_waitcnt lgkmcnt(0)
	v_mul_f32_e32 v0, v83, v0
	buffer_store_dword v0, off, s[0:3], 0 offset:156
.LBB103_770:
	s_or_b64 exec, exec, s[8:9]
.LBB103_771:
	buffer_load_dword v0, off, s[0:3], 0
	buffer_load_dword v1, off, s[0:3], 0 offset:4
	buffer_load_dword v82, off, s[0:3], 0 offset:8
	buffer_load_dword v83, off, s[0:3], 0 offset:12
	buffer_load_dword v84, off, s[0:3], 0 offset:16
	buffer_load_dword v85, off, s[0:3], 0 offset:20
	buffer_load_dword v86, off, s[0:3], 0 offset:24
	buffer_load_dword v87, off, s[0:3], 0 offset:28
	buffer_load_dword v88, off, s[0:3], 0 offset:32
	buffer_load_dword v89, off, s[0:3], 0 offset:36
	buffer_load_dword v90, off, s[0:3], 0 offset:40
	buffer_load_dword v91, off, s[0:3], 0 offset:44
	buffer_load_dword v92, off, s[0:3], 0 offset:48
	buffer_load_dword v93, off, s[0:3], 0 offset:52
	buffer_load_dword v94, off, s[0:3], 0 offset:56
	buffer_load_dword v95, off, s[0:3], 0 offset:60
	buffer_load_dword v96, off, s[0:3], 0 offset:64
	buffer_load_dword v97, off, s[0:3], 0 offset:68
	buffer_load_dword v98, off, s[0:3], 0 offset:72
	buffer_load_dword v99, off, s[0:3], 0 offset:76
	buffer_load_dword v100, off, s[0:3], 0 offset:80
	buffer_load_dword v101, off, s[0:3], 0 offset:84
	buffer_load_dword v102, off, s[0:3], 0 offset:88
	buffer_load_dword v103, off, s[0:3], 0 offset:92
	buffer_load_dword v104, off, s[0:3], 0 offset:96
	buffer_load_dword v105, off, s[0:3], 0 offset:100
	buffer_load_dword v106, off, s[0:3], 0 offset:104
	buffer_load_dword v107, off, s[0:3], 0 offset:108
	buffer_load_dword v108, off, s[0:3], 0 offset:112
	buffer_load_dword v109, off, s[0:3], 0 offset:116
	buffer_load_dword v110, off, s[0:3], 0 offset:120
	buffer_load_dword v111, off, s[0:3], 0 offset:124
	buffer_load_dword v112, off, s[0:3], 0 offset:128
	buffer_load_dword v113, off, s[0:3], 0 offset:132
	buffer_load_dword v114, off, s[0:3], 0 offset:136
	buffer_load_dword v115, off, s[0:3], 0 offset:140
	buffer_load_dword v116, off, s[0:3], 0 offset:144
	buffer_load_dword v117, off, s[0:3], 0 offset:148
	buffer_load_dword v118, off, s[0:3], 0 offset:152
	buffer_load_dword v119, off, s[0:3], 0 offset:156
	s_waitcnt vmcnt(39)
	global_store_dword v[76:77], v0, off
	s_waitcnt vmcnt(39)
	global_store_dword v[78:79], v1, off
	;; [unrolled: 2-line block ×40, first 2 shown]
.LBB103_772:
	s_endpgm
	.section	.rodata,"a",@progbits
	.p2align	6, 0x0
	.amdhsa_kernel _ZN9rocsolver6v33100L18trti2_kernel_smallILi40EfPKPfEEv13rocblas_fill_17rocblas_diagonal_T1_iil
		.amdhsa_group_segment_fixed_size 320
		.amdhsa_private_segment_fixed_size 176
		.amdhsa_kernarg_size 32
		.amdhsa_user_sgpr_count 8
		.amdhsa_user_sgpr_private_segment_buffer 1
		.amdhsa_user_sgpr_dispatch_ptr 0
		.amdhsa_user_sgpr_queue_ptr 0
		.amdhsa_user_sgpr_kernarg_segment_ptr 1
		.amdhsa_user_sgpr_dispatch_id 0
		.amdhsa_user_sgpr_flat_scratch_init 1
		.amdhsa_user_sgpr_kernarg_preload_length 0
		.amdhsa_user_sgpr_kernarg_preload_offset 0
		.amdhsa_user_sgpr_private_segment_size 0
		.amdhsa_uses_dynamic_stack 0
		.amdhsa_system_sgpr_private_segment_wavefront_offset 1
		.amdhsa_system_sgpr_workgroup_id_x 1
		.amdhsa_system_sgpr_workgroup_id_y 0
		.amdhsa_system_sgpr_workgroup_id_z 0
		.amdhsa_system_sgpr_workgroup_info 0
		.amdhsa_system_vgpr_workitem_id 0
		.amdhsa_next_free_vgpr 122
		.amdhsa_next_free_sgpr 16
		.amdhsa_accum_offset 124
		.amdhsa_reserve_vcc 1
		.amdhsa_reserve_flat_scratch 0
		.amdhsa_float_round_mode_32 0
		.amdhsa_float_round_mode_16_64 0
		.amdhsa_float_denorm_mode_32 3
		.amdhsa_float_denorm_mode_16_64 3
		.amdhsa_dx10_clamp 1
		.amdhsa_ieee_mode 1
		.amdhsa_fp16_overflow 0
		.amdhsa_tg_split 0
		.amdhsa_exception_fp_ieee_invalid_op 0
		.amdhsa_exception_fp_denorm_src 0
		.amdhsa_exception_fp_ieee_div_zero 0
		.amdhsa_exception_fp_ieee_overflow 0
		.amdhsa_exception_fp_ieee_underflow 0
		.amdhsa_exception_fp_ieee_inexact 0
		.amdhsa_exception_int_div_zero 0
	.end_amdhsa_kernel
	.section	.text._ZN9rocsolver6v33100L18trti2_kernel_smallILi40EfPKPfEEv13rocblas_fill_17rocblas_diagonal_T1_iil,"axG",@progbits,_ZN9rocsolver6v33100L18trti2_kernel_smallILi40EfPKPfEEv13rocblas_fill_17rocblas_diagonal_T1_iil,comdat
.Lfunc_end103:
	.size	_ZN9rocsolver6v33100L18trti2_kernel_smallILi40EfPKPfEEv13rocblas_fill_17rocblas_diagonal_T1_iil, .Lfunc_end103-_ZN9rocsolver6v33100L18trti2_kernel_smallILi40EfPKPfEEv13rocblas_fill_17rocblas_diagonal_T1_iil
                                        ; -- End function
	.section	.AMDGPU.csdata,"",@progbits
; Kernel info:
; codeLenInByte = 19452
; NumSgprs: 20
; NumVgprs: 122
; NumAgprs: 0
; TotalNumVgprs: 122
; ScratchSize: 176
; MemoryBound: 0
; FloatMode: 240
; IeeeMode: 1
; LDSByteSize: 320 bytes/workgroup (compile time only)
; SGPRBlocks: 2
; VGPRBlocks: 15
; NumSGPRsForWavesPerEU: 20
; NumVGPRsForWavesPerEU: 122
; AccumOffset: 124
; Occupancy: 4
; WaveLimiterHint : 1
; COMPUTE_PGM_RSRC2:SCRATCH_EN: 1
; COMPUTE_PGM_RSRC2:USER_SGPR: 8
; COMPUTE_PGM_RSRC2:TRAP_HANDLER: 0
; COMPUTE_PGM_RSRC2:TGID_X_EN: 1
; COMPUTE_PGM_RSRC2:TGID_Y_EN: 0
; COMPUTE_PGM_RSRC2:TGID_Z_EN: 0
; COMPUTE_PGM_RSRC2:TIDIG_COMP_CNT: 0
; COMPUTE_PGM_RSRC3_GFX90A:ACCUM_OFFSET: 30
; COMPUTE_PGM_RSRC3_GFX90A:TG_SPLIT: 0
	.section	.text._ZN9rocsolver6v33100L18trti2_kernel_smallILi41EfPKPfEEv13rocblas_fill_17rocblas_diagonal_T1_iil,"axG",@progbits,_ZN9rocsolver6v33100L18trti2_kernel_smallILi41EfPKPfEEv13rocblas_fill_17rocblas_diagonal_T1_iil,comdat
	.globl	_ZN9rocsolver6v33100L18trti2_kernel_smallILi41EfPKPfEEv13rocblas_fill_17rocblas_diagonal_T1_iil ; -- Begin function _ZN9rocsolver6v33100L18trti2_kernel_smallILi41EfPKPfEEv13rocblas_fill_17rocblas_diagonal_T1_iil
	.p2align	8
	.type	_ZN9rocsolver6v33100L18trti2_kernel_smallILi41EfPKPfEEv13rocblas_fill_17rocblas_diagonal_T1_iil,@function
_ZN9rocsolver6v33100L18trti2_kernel_smallILi41EfPKPfEEv13rocblas_fill_17rocblas_diagonal_T1_iil: ; @_ZN9rocsolver6v33100L18trti2_kernel_smallILi41EfPKPfEEv13rocblas_fill_17rocblas_diagonal_T1_iil
; %bb.0:
	s_add_u32 s0, s0, s9
	s_addc_u32 s1, s1, 0
	v_cmp_gt_u32_e32 vcc, 41, v0
	s_and_saveexec_b64 s[6:7], vcc
	s_cbranch_execz .LBB104_792
; %bb.1:
	s_load_dwordx2 s[6:7], s[4:5], 0x10
	s_load_dwordx4 s[12:15], s[4:5], 0x0
	s_ashr_i32 s9, s8, 31
	s_lshl_b64 s[4:5], s[8:9], 3
	s_waitcnt lgkmcnt(0)
	s_ashr_i32 s9, s6, 31
	s_add_u32 s4, s14, s4
	s_addc_u32 s5, s15, s5
	s_load_dwordx2 s[4:5], s[4:5], 0x0
	s_mov_b32 s8, s6
	s_lshl_b64 s[8:9], s[8:9], 2
	s_waitcnt lgkmcnt(0)
	s_add_u32 s4, s4, s8
	s_addc_u32 s5, s5, s9
	s_add_i32 s6, s7, s7
	v_add_u32_e32 v4, s6, v0
	v_ashrrev_i32_e32 v5, 31, v4
	v_lshlrev_b64 v[2:3], 2, v[4:5]
	v_add_u32_e32 v6, s7, v4
	v_mov_b32_e32 v1, s5
	v_add_co_u32_e32 v2, vcc, s4, v2
	v_ashrrev_i32_e32 v7, 31, v6
	v_addc_co_u32_e32 v3, vcc, v1, v3, vcc
	v_lshlrev_b64 v[4:5], 2, v[6:7]
	v_add_u32_e32 v8, s7, v6
	v_add_co_u32_e32 v4, vcc, s4, v4
	v_ashrrev_i32_e32 v9, 31, v8
	v_addc_co_u32_e32 v5, vcc, v1, v5, vcc
	v_lshlrev_b64 v[6:7], 2, v[8:9]
	v_add_u32_e32 v10, s7, v8
	;; [unrolled: 5-line block ×33, first 2 shown]
	v_add_co_u32_e32 v68, vcc, s4, v68
	v_ashrrev_i32_e32 v73, 31, v72
	v_addc_co_u32_e32 v69, vcc, v1, v69, vcc
	v_lshlrev_b64 v[70:71], 2, v[72:73]
	v_add_co_u32_e32 v70, vcc, s4, v70
	v_addc_co_u32_e32 v71, vcc, v1, v71, vcc
	v_lshlrev_b32_e32 v1, 2, v0
	global_load_dword v84, v1, s[4:5]
	v_add_u32_e32 v74, s7, v72
	v_ashrrev_i32_e32 v75, 31, v74
	v_lshlrev_b64 v[72:73], 2, v[74:75]
	v_mov_b32_e32 v76, s5
	v_add_co_u32_e32 v72, vcc, s4, v72
	v_addc_co_u32_e32 v73, vcc, v76, v73, vcc
	v_add_u32_e32 v76, s7, v74
	v_ashrrev_i32_e32 v77, 31, v76
	v_lshlrev_b64 v[74:75], 2, v[76:77]
	v_mov_b32_e32 v78, s5
	v_add_co_u32_e32 v74, vcc, s4, v74
	v_addc_co_u32_e32 v75, vcc, v78, v75, vcc
	v_add_u32_e32 v78, s7, v76
	v_ashrrev_i32_e32 v79, 31, v78
	v_lshlrev_b64 v[76:77], 2, v[78:79]
	v_mov_b32_e32 v80, s5
	v_add_co_u32_e32 v76, vcc, s4, v76
	v_add_u32_e32 v78, s7, v78
	v_addc_co_u32_e32 v77, vcc, v80, v77, vcc
	v_ashrrev_i32_e32 v79, 31, v78
	v_lshlrev_b64 v[82:83], 2, v[78:79]
	v_mov_b32_e32 v79, s5
	v_add_co_u32_e32 v78, vcc, s4, v1
	s_ashr_i32 s9, s7, 31
	s_mov_b32 s8, s7
	v_addc_co_u32_e32 v79, vcc, 0, v79, vcc
	s_lshl_b64 s[6:7], s[8:9], 2
	v_mov_b32_e32 v81, s7
	v_add_co_u32_e32 v80, vcc, s6, v78
	v_addc_co_u32_e32 v81, vcc, v79, v81, vcc
	v_mov_b32_e32 v85, s5
	v_add_co_u32_e32 v82, vcc, s4, v82
	global_load_dword v86, v[80:81], off
	global_load_dword v87, v[2:3], off
	;; [unrolled: 1-line block ×32, first 2 shown]
	v_addc_co_u32_e32 v83, vcc, v85, v83, vcc
	global_load_dword v85, v[64:65], off
	global_load_dword v118, v[82:83], off
	;; [unrolled: 1-line block ×7, first 2 shown]
	s_cmpk_lg_i32 s13, 0x84
	s_cselect_b64 s[10:11], -1, 0
	s_cmpk_eq_i32 s13, 0x84
	s_waitcnt vmcnt(39)
	buffer_store_dword v84, off, s[0:3], 0
	global_load_dword v84, v[76:77], off
	s_waitcnt vmcnt(40)
	buffer_store_dword v86, off, s[0:3], 0 offset:4
	s_waitcnt vmcnt(40)
	buffer_store_dword v87, off, s[0:3], 0 offset:8
	;; [unrolled: 2-line block ×11, first 2 shown]
	buffer_store_dword v95, off, s[0:3], 0 offset:48
	buffer_store_dword v96, off, s[0:3], 0 offset:52
	;; [unrolled: 1-line block ×5, first 2 shown]
	s_waitcnt vmcnt(40)
	buffer_store_dword v102, off, s[0:3], 0 offset:68
	s_waitcnt vmcnt(40)
	buffer_store_dword v103, off, s[0:3], 0 offset:72
	;; [unrolled: 2-line block ×5, first 2 shown]
	buffer_store_dword v106, off, s[0:3], 0 offset:92
	buffer_store_dword v107, off, s[0:3], 0 offset:88
	s_waitcnt vmcnt(39)
	buffer_store_dword v110, off, s[0:3], 0 offset:100
	buffer_store_dword v105, off, s[0:3], 0 offset:96
	s_waitcnt vmcnt(35)
	buffer_store_dword v116, off, s[0:3], 0 offset:108
	s_waitcnt vmcnt(35)
	buffer_store_dword v117, off, s[0:3], 0 offset:104
	buffer_store_dword v114, off, s[0:3], 0 offset:116
	;; [unrolled: 1-line block ×5, first 2 shown]
	s_waitcnt vmcnt(39)
	buffer_store_dword v85, off, s[0:3], 0 offset:132
	buffer_store_dword v111, off, s[0:3], 0 offset:128
	s_waitcnt vmcnt(37)
	buffer_store_dword v121, off, s[0:3], 0 offset:140
	s_waitcnt vmcnt(37)
	;; [unrolled: 2-line block ×3, first 2 shown]
	buffer_store_dword v123, off, s[0:3], 0 offset:148
	buffer_store_dword v120, off, s[0:3], 0 offset:144
	s_waitcnt vmcnt(37)
	buffer_store_dword v84, off, s[0:3], 0 offset:156
	buffer_store_dword v119, off, s[0:3], 0 offset:152
	;; [unrolled: 1-line block ×3, first 2 shown]
	v_mov_b32_e32 v104, 0
	v_mov_b32_e32 v84, -1.0
	s_cbranch_scc1 .LBB104_3
; %bb.2:
	v_lshl_add_u32 v84, v0, 2, v104
	buffer_load_dword v85, v84, s[0:3], 0 offen
	s_waitcnt vmcnt(0)
	v_div_scale_f32 v86, s[4:5], v85, v85, 1.0
	v_rcp_f32_e32 v87, v86
	v_div_scale_f32 v88, vcc, 1.0, v85, 1.0
	v_fma_f32 v89, -v86, v87, 1.0
	v_fmac_f32_e32 v87, v89, v87
	v_mul_f32_e32 v89, v88, v87
	v_fma_f32 v90, -v86, v89, v88
	v_fmac_f32_e32 v89, v90, v87
	v_fma_f32 v86, -v86, v89, v88
	v_div_fmas_f32 v86, v86, v87, v89
	v_div_fixup_f32 v85, v86, v85, 1.0
	buffer_store_dword v85, v84, s[0:3], 0 offen
	v_xor_b32_e32 v84, 0x80000000, v85
.LBB104_3:
	ds_write_b32 v1, v84
	s_cmpk_eq_i32 s12, 0x79
	v_add_u32_e32 v84, 0xb0, v1
	v_add_u32_e32 v85, 0, v1
	s_mov_b64 s[4:5], -1
	s_cbranch_scc1 .LBB104_397
; %bb.4:
	buffer_load_dword v86, off, s[0:3], 0 offset:156
	v_cmp_eq_u32_e64 s[4:5], 40, v0
	s_waitcnt vmcnt(0)
	ds_write_b32 v84, v86
	s_waitcnt lgkmcnt(0)
	; wave barrier
	s_waitcnt lgkmcnt(0)
	s_and_saveexec_b64 s[6:7], s[4:5]
	s_cbranch_execz .LBB104_10
; %bb.5:
	s_and_b64 vcc, exec, s[10:11]
	s_cbranch_vccz .LBB104_7
; %bb.6:
	buffer_load_dword v86, v85, s[0:3], 0 offen
	ds_read_b32 v87, v84
	s_waitcnt vmcnt(0) lgkmcnt(0)
	v_mul_f32_e32 v86, v86, v87
	s_cbranch_execz .LBB104_8
	s_branch .LBB104_9
.LBB104_7:
                                        ; implicit-def: $vgpr86
.LBB104_8:
	ds_read_b32 v86, v84
.LBB104_9:
	v_mov_b32_e32 v87, 0
	ds_read_b32 v87, v87 offset:156
	s_waitcnt lgkmcnt(0)
	v_mul_f32_e32 v86, v86, v87
	buffer_store_dword v86, off, s[0:3], 0 offset:156
.LBB104_10:
	s_or_b64 exec, exec, s[6:7]
	buffer_load_dword v105, off, s[0:3], 0 offset:152
	v_or_b32_e32 v86, 8, v104
	v_add_u32_e32 v87, 16, v104
	v_add_u32_e32 v88, 24, v104
	;; [unrolled: 1-line block ×18, first 2 shown]
	v_cmp_lt_u32_e64 s[8:9], 38, v0
	s_waitcnt vmcnt(0)
	ds_write_b32 v84, v105
	s_waitcnt lgkmcnt(0)
	; wave barrier
	s_waitcnt lgkmcnt(0)
	s_and_saveexec_b64 s[6:7], s[8:9]
	s_cbranch_execz .LBB104_16
; %bb.11:
	s_andn2_b64 vcc, exec, s[10:11]
	s_cbranch_vccnz .LBB104_13
; %bb.12:
	buffer_load_dword v105, v85, s[0:3], 0 offen
	ds_read_b32 v106, v84
	s_waitcnt vmcnt(0) lgkmcnt(0)
	v_mul_f32_e32 v105, v105, v106
	s_cbranch_execz .LBB104_14
	s_branch .LBB104_15
.LBB104_13:
                                        ; implicit-def: $vgpr105
.LBB104_14:
	ds_read_b32 v105, v84
.LBB104_15:
	buffer_load_dword v108, off, s[0:3], 0 offset:156
	v_mov_b32_e32 v106, 0
	ds_read2_b32 v[106:107], v106 offset0:38 offset1:83
	s_waitcnt vmcnt(0) lgkmcnt(0)
	v_fma_f32 v107, v108, v107, v105
	v_cndmask_b32_e64 v105, v105, v107, s[4:5]
	v_mul_f32_e32 v105, v105, v106
	buffer_store_dword v105, off, s[0:3], 0 offset:152
.LBB104_16:
	s_or_b64 exec, exec, s[6:7]
	buffer_load_dword v105, off, s[0:3], 0 offset:148
	v_cmp_lt_u32_e64 s[6:7], 37, v0
	s_waitcnt vmcnt(0)
	ds_write_b32 v84, v105
	s_waitcnt lgkmcnt(0)
	; wave barrier
	s_waitcnt lgkmcnt(0)
	s_and_saveexec_b64 s[4:5], s[6:7]
	s_cbranch_execz .LBB104_26
; %bb.17:
	s_andn2_b64 vcc, exec, s[10:11]
	s_cbranch_vccnz .LBB104_19
; %bb.18:
	buffer_load_dword v105, v85, s[0:3], 0 offen
	ds_read_b32 v106, v84
	s_waitcnt vmcnt(0) lgkmcnt(0)
	v_mul_f32_e32 v105, v105, v106
	s_cbranch_execz .LBB104_20
	s_branch .LBB104_21
.LBB104_19:
                                        ; implicit-def: $vgpr105
.LBB104_20:
	ds_read_b32 v105, v84
.LBB104_21:
	s_and_saveexec_b64 s[12:13], s[8:9]
	s_cbranch_execz .LBB104_25
; %bb.22:
	v_subrev_u32_e32 v106, 38, v0
	s_movk_i32 s14, 0x148
	s_mov_b64 s[8:9], 0
.LBB104_23:                             ; =>This Inner Loop Header: Depth=1
	buffer_load_dword v107, v104, s[0:3], 0 offen
	v_mov_b32_e32 v108, s14
	ds_read_b32 v108, v108
	v_add_u32_e32 v106, -1, v106
	s_add_i32 s14, s14, 4
	v_cmp_eq_u32_e32 vcc, 0, v106
	v_add_u32_e32 v104, 4, v104
	s_or_b64 s[8:9], vcc, s[8:9]
	s_waitcnt vmcnt(0) lgkmcnt(0)
	v_fmac_f32_e32 v105, v107, v108
	s_andn2_b64 exec, exec, s[8:9]
	s_cbranch_execnz .LBB104_23
; %bb.24:
	s_or_b64 exec, exec, s[8:9]
.LBB104_25:
	s_or_b64 exec, exec, s[12:13]
	v_mov_b32_e32 v104, 0
	ds_read_b32 v104, v104 offset:148
	s_waitcnt lgkmcnt(0)
	v_mul_f32_e32 v104, v105, v104
	buffer_store_dword v104, off, s[0:3], 0 offset:148
.LBB104_26:
	s_or_b64 exec, exec, s[4:5]
	buffer_load_dword v104, off, s[0:3], 0 offset:144
	v_cmp_lt_u32_e64 s[4:5], 36, v0
	s_waitcnt vmcnt(0)
	ds_write_b32 v84, v104
	s_waitcnt lgkmcnt(0)
	; wave barrier
	s_waitcnt lgkmcnt(0)
	s_and_saveexec_b64 s[8:9], s[4:5]
	s_cbranch_execz .LBB104_36
; %bb.27:
	s_andn2_b64 vcc, exec, s[10:11]
	s_cbranch_vccnz .LBB104_29
; %bb.28:
	buffer_load_dword v104, v85, s[0:3], 0 offen
	ds_read_b32 v105, v84
	s_waitcnt vmcnt(0) lgkmcnt(0)
	v_mul_f32_e32 v104, v104, v105
	s_cbranch_execz .LBB104_30
	s_branch .LBB104_31
.LBB104_29:
                                        ; implicit-def: $vgpr104
.LBB104_30:
	ds_read_b32 v104, v84
.LBB104_31:
	s_and_saveexec_b64 s[12:13], s[6:7]
	s_cbranch_execz .LBB104_35
; %bb.32:
	v_mov_b32_e32 v105, 0
	v_add_u32_e32 v105, 0x94, v105
	v_subrev_u32_e32 v106, 37, v0
	s_movk_i32 s14, 0x144
	s_mov_b64 s[6:7], 0
.LBB104_33:                             ; =>This Inner Loop Header: Depth=1
	buffer_load_dword v107, v105, s[0:3], 0 offen
	v_mov_b32_e32 v108, s14
	ds_read_b32 v108, v108
	v_add_u32_e32 v106, -1, v106
	s_add_i32 s14, s14, 4
	v_cmp_eq_u32_e32 vcc, 0, v106
	v_add_u32_e32 v105, 4, v105
	s_or_b64 s[6:7], vcc, s[6:7]
	s_waitcnt vmcnt(0) lgkmcnt(0)
	v_fmac_f32_e32 v104, v107, v108
	s_andn2_b64 exec, exec, s[6:7]
	s_cbranch_execnz .LBB104_33
; %bb.34:
	s_or_b64 exec, exec, s[6:7]
.LBB104_35:
	s_or_b64 exec, exec, s[12:13]
	v_mov_b32_e32 v105, 0
	ds_read_b32 v105, v105 offset:144
	s_waitcnt lgkmcnt(0)
	v_mul_f32_e32 v104, v104, v105
	buffer_store_dword v104, off, s[0:3], 0 offset:144
.LBB104_36:
	s_or_b64 exec, exec, s[8:9]
	buffer_load_dword v104, off, s[0:3], 0 offset:140
	v_cmp_lt_u32_e64 s[6:7], 35, v0
	s_waitcnt vmcnt(0)
	ds_write_b32 v84, v104
	s_waitcnt lgkmcnt(0)
	; wave barrier
	s_waitcnt lgkmcnt(0)
	s_and_saveexec_b64 s[8:9], s[6:7]
	s_cbranch_execz .LBB104_46
; %bb.37:
	s_andn2_b64 vcc, exec, s[10:11]
	s_cbranch_vccnz .LBB104_39
; %bb.38:
	buffer_load_dword v104, v85, s[0:3], 0 offen
	ds_read_b32 v105, v84
	s_waitcnt vmcnt(0) lgkmcnt(0)
	v_mul_f32_e32 v104, v104, v105
	s_cbranch_execz .LBB104_40
	s_branch .LBB104_41
.LBB104_39:
                                        ; implicit-def: $vgpr104
.LBB104_40:
	ds_read_b32 v104, v84
.LBB104_41:
	s_and_saveexec_b64 s[12:13], s[4:5]
	s_cbranch_execz .LBB104_45
; %bb.42:
	v_subrev_u32_e32 v105, 36, v0
	s_movk_i32 s14, 0x140
	s_mov_b64 s[4:5], 0
.LBB104_43:                             ; =>This Inner Loop Header: Depth=1
	buffer_load_dword v106, v103, s[0:3], 0 offen
	v_mov_b32_e32 v107, s14
	ds_read_b32 v107, v107
	v_add_u32_e32 v105, -1, v105
	s_add_i32 s14, s14, 4
	v_cmp_eq_u32_e32 vcc, 0, v105
	v_add_u32_e32 v103, 4, v103
	s_or_b64 s[4:5], vcc, s[4:5]
	s_waitcnt vmcnt(0) lgkmcnt(0)
	v_fmac_f32_e32 v104, v106, v107
	s_andn2_b64 exec, exec, s[4:5]
	s_cbranch_execnz .LBB104_43
; %bb.44:
	s_or_b64 exec, exec, s[4:5]
.LBB104_45:
	s_or_b64 exec, exec, s[12:13]
	v_mov_b32_e32 v103, 0
	ds_read_b32 v103, v103 offset:140
	s_waitcnt lgkmcnt(0)
	v_mul_f32_e32 v103, v104, v103
	buffer_store_dword v103, off, s[0:3], 0 offset:140
.LBB104_46:
	s_or_b64 exec, exec, s[8:9]
	buffer_load_dword v103, off, s[0:3], 0 offset:136
	v_cmp_lt_u32_e64 s[4:5], 34, v0
	s_waitcnt vmcnt(0)
	ds_write_b32 v84, v103
	s_waitcnt lgkmcnt(0)
	; wave barrier
	s_waitcnt lgkmcnt(0)
	s_and_saveexec_b64 s[8:9], s[4:5]
	s_cbranch_execz .LBB104_56
; %bb.47:
	s_andn2_b64 vcc, exec, s[10:11]
	s_cbranch_vccnz .LBB104_49
; %bb.48:
	buffer_load_dword v103, v85, s[0:3], 0 offen
	ds_read_b32 v104, v84
	s_waitcnt vmcnt(0) lgkmcnt(0)
	v_mul_f32_e32 v103, v103, v104
	s_cbranch_execz .LBB104_50
	s_branch .LBB104_51
.LBB104_49:
                                        ; implicit-def: $vgpr103
.LBB104_50:
	ds_read_b32 v103, v84
.LBB104_51:
	s_and_saveexec_b64 s[12:13], s[6:7]
	s_cbranch_execz .LBB104_55
; %bb.52:
	v_mov_b32_e32 v104, 0
	v_add_u32_e32 v104, 0x8c, v104
	v_subrev_u32_e32 v105, 35, v0
	s_movk_i32 s14, 0x13c
	s_mov_b64 s[6:7], 0
.LBB104_53:                             ; =>This Inner Loop Header: Depth=1
	buffer_load_dword v106, v104, s[0:3], 0 offen
	v_mov_b32_e32 v107, s14
	ds_read_b32 v107, v107
	v_add_u32_e32 v105, -1, v105
	s_add_i32 s14, s14, 4
	v_cmp_eq_u32_e32 vcc, 0, v105
	v_add_u32_e32 v104, 4, v104
	s_or_b64 s[6:7], vcc, s[6:7]
	s_waitcnt vmcnt(0) lgkmcnt(0)
	v_fmac_f32_e32 v103, v106, v107
	s_andn2_b64 exec, exec, s[6:7]
	s_cbranch_execnz .LBB104_53
; %bb.54:
	s_or_b64 exec, exec, s[6:7]
.LBB104_55:
	s_or_b64 exec, exec, s[12:13]
	v_mov_b32_e32 v104, 0
	ds_read_b32 v104, v104 offset:136
	s_waitcnt lgkmcnt(0)
	v_mul_f32_e32 v103, v103, v104
	buffer_store_dword v103, off, s[0:3], 0 offset:136
.LBB104_56:
	s_or_b64 exec, exec, s[8:9]
	buffer_load_dword v103, off, s[0:3], 0 offset:132
	v_cmp_lt_u32_e64 s[6:7], 33, v0
	s_waitcnt vmcnt(0)
	ds_write_b32 v84, v103
	s_waitcnt lgkmcnt(0)
	; wave barrier
	s_waitcnt lgkmcnt(0)
	s_and_saveexec_b64 s[8:9], s[6:7]
	s_cbranch_execz .LBB104_66
; %bb.57:
	s_andn2_b64 vcc, exec, s[10:11]
	s_cbranch_vccnz .LBB104_59
; %bb.58:
	buffer_load_dword v103, v85, s[0:3], 0 offen
	ds_read_b32 v104, v84
	s_waitcnt vmcnt(0) lgkmcnt(0)
	v_mul_f32_e32 v103, v103, v104
	s_cbranch_execz .LBB104_60
	s_branch .LBB104_61
.LBB104_59:
                                        ; implicit-def: $vgpr103
.LBB104_60:
	ds_read_b32 v103, v84
.LBB104_61:
	s_and_saveexec_b64 s[12:13], s[4:5]
	s_cbranch_execz .LBB104_65
; %bb.62:
	v_subrev_u32_e32 v104, 34, v0
	s_movk_i32 s14, 0x138
	s_mov_b64 s[4:5], 0
.LBB104_63:                             ; =>This Inner Loop Header: Depth=1
	buffer_load_dword v105, v102, s[0:3], 0 offen
	v_mov_b32_e32 v106, s14
	ds_read_b32 v106, v106
	v_add_u32_e32 v104, -1, v104
	s_add_i32 s14, s14, 4
	v_cmp_eq_u32_e32 vcc, 0, v104
	v_add_u32_e32 v102, 4, v102
	s_or_b64 s[4:5], vcc, s[4:5]
	s_waitcnt vmcnt(0) lgkmcnt(0)
	v_fmac_f32_e32 v103, v105, v106
	s_andn2_b64 exec, exec, s[4:5]
	s_cbranch_execnz .LBB104_63
; %bb.64:
	s_or_b64 exec, exec, s[4:5]
.LBB104_65:
	s_or_b64 exec, exec, s[12:13]
	v_mov_b32_e32 v102, 0
	ds_read_b32 v102, v102 offset:132
	s_waitcnt lgkmcnt(0)
	v_mul_f32_e32 v102, v103, v102
	buffer_store_dword v102, off, s[0:3], 0 offset:132
.LBB104_66:
	s_or_b64 exec, exec, s[8:9]
	buffer_load_dword v102, off, s[0:3], 0 offset:128
	v_cmp_lt_u32_e64 s[4:5], 32, v0
	s_waitcnt vmcnt(0)
	ds_write_b32 v84, v102
	s_waitcnt lgkmcnt(0)
	; wave barrier
	s_waitcnt lgkmcnt(0)
	s_and_saveexec_b64 s[8:9], s[4:5]
	s_cbranch_execz .LBB104_76
; %bb.67:
	s_andn2_b64 vcc, exec, s[10:11]
	s_cbranch_vccnz .LBB104_69
; %bb.68:
	buffer_load_dword v102, v85, s[0:3], 0 offen
	ds_read_b32 v103, v84
	s_waitcnt vmcnt(0) lgkmcnt(0)
	v_mul_f32_e32 v102, v102, v103
	s_cbranch_execz .LBB104_70
	s_branch .LBB104_71
.LBB104_69:
                                        ; implicit-def: $vgpr102
.LBB104_70:
	ds_read_b32 v102, v84
.LBB104_71:
	s_and_saveexec_b64 s[12:13], s[6:7]
	s_cbranch_execz .LBB104_75
; %bb.72:
	v_mov_b32_e32 v103, 0
	v_add_u32_e32 v103, 0x84, v103
	v_subrev_u32_e32 v104, 33, v0
	s_movk_i32 s14, 0x134
	s_mov_b64 s[6:7], 0
.LBB104_73:                             ; =>This Inner Loop Header: Depth=1
	buffer_load_dword v105, v103, s[0:3], 0 offen
	v_mov_b32_e32 v106, s14
	ds_read_b32 v106, v106
	v_add_u32_e32 v104, -1, v104
	s_add_i32 s14, s14, 4
	v_cmp_eq_u32_e32 vcc, 0, v104
	v_add_u32_e32 v103, 4, v103
	s_or_b64 s[6:7], vcc, s[6:7]
	s_waitcnt vmcnt(0) lgkmcnt(0)
	v_fmac_f32_e32 v102, v105, v106
	s_andn2_b64 exec, exec, s[6:7]
	s_cbranch_execnz .LBB104_73
; %bb.74:
	s_or_b64 exec, exec, s[6:7]
.LBB104_75:
	s_or_b64 exec, exec, s[12:13]
	v_mov_b32_e32 v103, 0
	ds_read_b32 v103, v103 offset:128
	s_waitcnt lgkmcnt(0)
	v_mul_f32_e32 v102, v102, v103
	buffer_store_dword v102, off, s[0:3], 0 offset:128
.LBB104_76:
	s_or_b64 exec, exec, s[8:9]
	buffer_load_dword v102, off, s[0:3], 0 offset:124
	v_cmp_lt_u32_e64 s[6:7], 31, v0
	s_waitcnt vmcnt(0)
	ds_write_b32 v84, v102
	s_waitcnt lgkmcnt(0)
	; wave barrier
	s_waitcnt lgkmcnt(0)
	s_and_saveexec_b64 s[8:9], s[6:7]
	s_cbranch_execz .LBB104_86
; %bb.77:
	s_andn2_b64 vcc, exec, s[10:11]
	s_cbranch_vccnz .LBB104_79
; %bb.78:
	buffer_load_dword v102, v85, s[0:3], 0 offen
	ds_read_b32 v103, v84
	s_waitcnt vmcnt(0) lgkmcnt(0)
	v_mul_f32_e32 v102, v102, v103
	s_cbranch_execz .LBB104_80
	s_branch .LBB104_81
.LBB104_79:
                                        ; implicit-def: $vgpr102
.LBB104_80:
	ds_read_b32 v102, v84
.LBB104_81:
	s_and_saveexec_b64 s[12:13], s[4:5]
	s_cbranch_execz .LBB104_85
; %bb.82:
	v_subrev_u32_e32 v103, 32, v0
	s_movk_i32 s14, 0x130
	s_mov_b64 s[4:5], 0
.LBB104_83:                             ; =>This Inner Loop Header: Depth=1
	buffer_load_dword v104, v101, s[0:3], 0 offen
	v_mov_b32_e32 v105, s14
	ds_read_b32 v105, v105
	v_add_u32_e32 v103, -1, v103
	s_add_i32 s14, s14, 4
	v_cmp_eq_u32_e32 vcc, 0, v103
	v_add_u32_e32 v101, 4, v101
	s_or_b64 s[4:5], vcc, s[4:5]
	s_waitcnt vmcnt(0) lgkmcnt(0)
	v_fmac_f32_e32 v102, v104, v105
	s_andn2_b64 exec, exec, s[4:5]
	s_cbranch_execnz .LBB104_83
; %bb.84:
	s_or_b64 exec, exec, s[4:5]
.LBB104_85:
	s_or_b64 exec, exec, s[12:13]
	v_mov_b32_e32 v101, 0
	ds_read_b32 v101, v101 offset:124
	s_waitcnt lgkmcnt(0)
	v_mul_f32_e32 v101, v102, v101
	buffer_store_dword v101, off, s[0:3], 0 offset:124
.LBB104_86:
	s_or_b64 exec, exec, s[8:9]
	buffer_load_dword v101, off, s[0:3], 0 offset:120
	v_cmp_lt_u32_e64 s[4:5], 30, v0
	s_waitcnt vmcnt(0)
	ds_write_b32 v84, v101
	s_waitcnt lgkmcnt(0)
	; wave barrier
	s_waitcnt lgkmcnt(0)
	s_and_saveexec_b64 s[8:9], s[4:5]
	s_cbranch_execz .LBB104_96
; %bb.87:
	s_andn2_b64 vcc, exec, s[10:11]
	s_cbranch_vccnz .LBB104_89
; %bb.88:
	buffer_load_dword v101, v85, s[0:3], 0 offen
	ds_read_b32 v102, v84
	s_waitcnt vmcnt(0) lgkmcnt(0)
	v_mul_f32_e32 v101, v101, v102
	s_cbranch_execz .LBB104_90
	s_branch .LBB104_91
.LBB104_89:
                                        ; implicit-def: $vgpr101
.LBB104_90:
	ds_read_b32 v101, v84
.LBB104_91:
	s_and_saveexec_b64 s[12:13], s[6:7]
	s_cbranch_execz .LBB104_95
; %bb.92:
	v_mov_b32_e32 v102, 0
	v_add_u32_e32 v102, 0x7c, v102
	v_subrev_u32_e32 v103, 31, v0
	s_movk_i32 s14, 0x12c
	s_mov_b64 s[6:7], 0
.LBB104_93:                             ; =>This Inner Loop Header: Depth=1
	buffer_load_dword v104, v102, s[0:3], 0 offen
	v_mov_b32_e32 v105, s14
	ds_read_b32 v105, v105
	v_add_u32_e32 v103, -1, v103
	s_add_i32 s14, s14, 4
	v_cmp_eq_u32_e32 vcc, 0, v103
	v_add_u32_e32 v102, 4, v102
	s_or_b64 s[6:7], vcc, s[6:7]
	s_waitcnt vmcnt(0) lgkmcnt(0)
	v_fmac_f32_e32 v101, v104, v105
	s_andn2_b64 exec, exec, s[6:7]
	s_cbranch_execnz .LBB104_93
; %bb.94:
	s_or_b64 exec, exec, s[6:7]
.LBB104_95:
	s_or_b64 exec, exec, s[12:13]
	v_mov_b32_e32 v102, 0
	ds_read_b32 v102, v102 offset:120
	s_waitcnt lgkmcnt(0)
	v_mul_f32_e32 v101, v101, v102
	buffer_store_dword v101, off, s[0:3], 0 offset:120
.LBB104_96:
	s_or_b64 exec, exec, s[8:9]
	buffer_load_dword v101, off, s[0:3], 0 offset:116
	v_cmp_lt_u32_e64 s[6:7], 29, v0
	s_waitcnt vmcnt(0)
	ds_write_b32 v84, v101
	s_waitcnt lgkmcnt(0)
	; wave barrier
	s_waitcnt lgkmcnt(0)
	s_and_saveexec_b64 s[8:9], s[6:7]
	s_cbranch_execz .LBB104_106
; %bb.97:
	s_andn2_b64 vcc, exec, s[10:11]
	s_cbranch_vccnz .LBB104_99
; %bb.98:
	buffer_load_dword v101, v85, s[0:3], 0 offen
	ds_read_b32 v102, v84
	s_waitcnt vmcnt(0) lgkmcnt(0)
	v_mul_f32_e32 v101, v101, v102
	s_cbranch_execz .LBB104_100
	s_branch .LBB104_101
.LBB104_99:
                                        ; implicit-def: $vgpr101
.LBB104_100:
	ds_read_b32 v101, v84
.LBB104_101:
	s_and_saveexec_b64 s[12:13], s[4:5]
	s_cbranch_execz .LBB104_105
; %bb.102:
	v_subrev_u32_e32 v102, 30, v0
	s_movk_i32 s14, 0x128
	s_mov_b64 s[4:5], 0
.LBB104_103:                            ; =>This Inner Loop Header: Depth=1
	buffer_load_dword v103, v100, s[0:3], 0 offen
	v_mov_b32_e32 v104, s14
	ds_read_b32 v104, v104
	v_add_u32_e32 v102, -1, v102
	s_add_i32 s14, s14, 4
	v_cmp_eq_u32_e32 vcc, 0, v102
	v_add_u32_e32 v100, 4, v100
	s_or_b64 s[4:5], vcc, s[4:5]
	s_waitcnt vmcnt(0) lgkmcnt(0)
	v_fmac_f32_e32 v101, v103, v104
	s_andn2_b64 exec, exec, s[4:5]
	s_cbranch_execnz .LBB104_103
; %bb.104:
	s_or_b64 exec, exec, s[4:5]
.LBB104_105:
	s_or_b64 exec, exec, s[12:13]
	v_mov_b32_e32 v100, 0
	ds_read_b32 v100, v100 offset:116
	s_waitcnt lgkmcnt(0)
	v_mul_f32_e32 v100, v101, v100
	buffer_store_dword v100, off, s[0:3], 0 offset:116
.LBB104_106:
	s_or_b64 exec, exec, s[8:9]
	buffer_load_dword v100, off, s[0:3], 0 offset:112
	v_cmp_lt_u32_e64 s[4:5], 28, v0
	s_waitcnt vmcnt(0)
	ds_write_b32 v84, v100
	s_waitcnt lgkmcnt(0)
	; wave barrier
	s_waitcnt lgkmcnt(0)
	s_and_saveexec_b64 s[8:9], s[4:5]
	s_cbranch_execz .LBB104_116
; %bb.107:
	s_andn2_b64 vcc, exec, s[10:11]
	s_cbranch_vccnz .LBB104_109
; %bb.108:
	buffer_load_dword v100, v85, s[0:3], 0 offen
	ds_read_b32 v101, v84
	s_waitcnt vmcnt(0) lgkmcnt(0)
	v_mul_f32_e32 v100, v100, v101
	s_cbranch_execz .LBB104_110
	s_branch .LBB104_111
.LBB104_109:
                                        ; implicit-def: $vgpr100
.LBB104_110:
	ds_read_b32 v100, v84
.LBB104_111:
	s_and_saveexec_b64 s[12:13], s[6:7]
	s_cbranch_execz .LBB104_115
; %bb.112:
	v_mov_b32_e32 v101, 0
	v_add_u32_e32 v101, 0x74, v101
	v_subrev_u32_e32 v102, 29, v0
	s_movk_i32 s14, 0x124
	s_mov_b64 s[6:7], 0
.LBB104_113:                            ; =>This Inner Loop Header: Depth=1
	buffer_load_dword v103, v101, s[0:3], 0 offen
	v_mov_b32_e32 v104, s14
	ds_read_b32 v104, v104
	v_add_u32_e32 v102, -1, v102
	s_add_i32 s14, s14, 4
	v_cmp_eq_u32_e32 vcc, 0, v102
	v_add_u32_e32 v101, 4, v101
	s_or_b64 s[6:7], vcc, s[6:7]
	s_waitcnt vmcnt(0) lgkmcnt(0)
	v_fmac_f32_e32 v100, v103, v104
	s_andn2_b64 exec, exec, s[6:7]
	s_cbranch_execnz .LBB104_113
; %bb.114:
	s_or_b64 exec, exec, s[6:7]
.LBB104_115:
	s_or_b64 exec, exec, s[12:13]
	v_mov_b32_e32 v101, 0
	ds_read_b32 v101, v101 offset:112
	s_waitcnt lgkmcnt(0)
	v_mul_f32_e32 v100, v100, v101
	buffer_store_dword v100, off, s[0:3], 0 offset:112
.LBB104_116:
	s_or_b64 exec, exec, s[8:9]
	buffer_load_dword v100, off, s[0:3], 0 offset:108
	v_cmp_lt_u32_e64 s[6:7], 27, v0
	s_waitcnt vmcnt(0)
	ds_write_b32 v84, v100
	s_waitcnt lgkmcnt(0)
	; wave barrier
	s_waitcnt lgkmcnt(0)
	s_and_saveexec_b64 s[8:9], s[6:7]
	s_cbranch_execz .LBB104_126
; %bb.117:
	s_andn2_b64 vcc, exec, s[10:11]
	s_cbranch_vccnz .LBB104_119
; %bb.118:
	buffer_load_dword v100, v85, s[0:3], 0 offen
	ds_read_b32 v101, v84
	s_waitcnt vmcnt(0) lgkmcnt(0)
	v_mul_f32_e32 v100, v100, v101
	s_cbranch_execz .LBB104_120
	s_branch .LBB104_121
.LBB104_119:
                                        ; implicit-def: $vgpr100
.LBB104_120:
	ds_read_b32 v100, v84
.LBB104_121:
	s_and_saveexec_b64 s[12:13], s[4:5]
	s_cbranch_execz .LBB104_125
; %bb.122:
	v_subrev_u32_e32 v101, 28, v0
	s_movk_i32 s14, 0x120
	s_mov_b64 s[4:5], 0
.LBB104_123:                            ; =>This Inner Loop Header: Depth=1
	buffer_load_dword v102, v99, s[0:3], 0 offen
	v_mov_b32_e32 v103, s14
	ds_read_b32 v103, v103
	v_add_u32_e32 v101, -1, v101
	s_add_i32 s14, s14, 4
	v_cmp_eq_u32_e32 vcc, 0, v101
	v_add_u32_e32 v99, 4, v99
	s_or_b64 s[4:5], vcc, s[4:5]
	s_waitcnt vmcnt(0) lgkmcnt(0)
	v_fmac_f32_e32 v100, v102, v103
	s_andn2_b64 exec, exec, s[4:5]
	s_cbranch_execnz .LBB104_123
; %bb.124:
	s_or_b64 exec, exec, s[4:5]
.LBB104_125:
	s_or_b64 exec, exec, s[12:13]
	v_mov_b32_e32 v99, 0
	ds_read_b32 v99, v99 offset:108
	s_waitcnt lgkmcnt(0)
	v_mul_f32_e32 v99, v100, v99
	buffer_store_dword v99, off, s[0:3], 0 offset:108
.LBB104_126:
	s_or_b64 exec, exec, s[8:9]
	buffer_load_dword v99, off, s[0:3], 0 offset:104
	v_cmp_lt_u32_e64 s[4:5], 26, v0
	s_waitcnt vmcnt(0)
	ds_write_b32 v84, v99
	s_waitcnt lgkmcnt(0)
	; wave barrier
	s_waitcnt lgkmcnt(0)
	s_and_saveexec_b64 s[8:9], s[4:5]
	s_cbranch_execz .LBB104_136
; %bb.127:
	s_andn2_b64 vcc, exec, s[10:11]
	s_cbranch_vccnz .LBB104_129
; %bb.128:
	buffer_load_dword v99, v85, s[0:3], 0 offen
	ds_read_b32 v100, v84
	s_waitcnt vmcnt(0) lgkmcnt(0)
	v_mul_f32_e32 v99, v99, v100
	s_cbranch_execz .LBB104_130
	s_branch .LBB104_131
.LBB104_129:
                                        ; implicit-def: $vgpr99
.LBB104_130:
	ds_read_b32 v99, v84
.LBB104_131:
	s_and_saveexec_b64 s[12:13], s[6:7]
	s_cbranch_execz .LBB104_135
; %bb.132:
	v_mov_b32_e32 v100, 0
	v_add_u32_e32 v100, 0x6c, v100
	v_subrev_u32_e32 v101, 27, v0
	s_movk_i32 s14, 0x11c
	s_mov_b64 s[6:7], 0
.LBB104_133:                            ; =>This Inner Loop Header: Depth=1
	buffer_load_dword v102, v100, s[0:3], 0 offen
	v_mov_b32_e32 v103, s14
	ds_read_b32 v103, v103
	v_add_u32_e32 v101, -1, v101
	s_add_i32 s14, s14, 4
	v_cmp_eq_u32_e32 vcc, 0, v101
	v_add_u32_e32 v100, 4, v100
	s_or_b64 s[6:7], vcc, s[6:7]
	s_waitcnt vmcnt(0) lgkmcnt(0)
	v_fmac_f32_e32 v99, v102, v103
	s_andn2_b64 exec, exec, s[6:7]
	s_cbranch_execnz .LBB104_133
; %bb.134:
	s_or_b64 exec, exec, s[6:7]
.LBB104_135:
	s_or_b64 exec, exec, s[12:13]
	v_mov_b32_e32 v100, 0
	ds_read_b32 v100, v100 offset:104
	s_waitcnt lgkmcnt(0)
	v_mul_f32_e32 v99, v99, v100
	buffer_store_dword v99, off, s[0:3], 0 offset:104
.LBB104_136:
	s_or_b64 exec, exec, s[8:9]
	buffer_load_dword v99, off, s[0:3], 0 offset:100
	v_cmp_lt_u32_e64 s[6:7], 25, v0
	s_waitcnt vmcnt(0)
	ds_write_b32 v84, v99
	s_waitcnt lgkmcnt(0)
	; wave barrier
	s_waitcnt lgkmcnt(0)
	s_and_saveexec_b64 s[8:9], s[6:7]
	s_cbranch_execz .LBB104_146
; %bb.137:
	s_andn2_b64 vcc, exec, s[10:11]
	s_cbranch_vccnz .LBB104_139
; %bb.138:
	buffer_load_dword v99, v85, s[0:3], 0 offen
	ds_read_b32 v100, v84
	s_waitcnt vmcnt(0) lgkmcnt(0)
	v_mul_f32_e32 v99, v99, v100
	s_cbranch_execz .LBB104_140
	s_branch .LBB104_141
.LBB104_139:
                                        ; implicit-def: $vgpr99
.LBB104_140:
	ds_read_b32 v99, v84
.LBB104_141:
	s_and_saveexec_b64 s[12:13], s[4:5]
	s_cbranch_execz .LBB104_145
; %bb.142:
	v_subrev_u32_e32 v100, 26, v0
	s_movk_i32 s14, 0x118
	s_mov_b64 s[4:5], 0
.LBB104_143:                            ; =>This Inner Loop Header: Depth=1
	buffer_load_dword v101, v98, s[0:3], 0 offen
	v_mov_b32_e32 v102, s14
	ds_read_b32 v102, v102
	v_add_u32_e32 v100, -1, v100
	s_add_i32 s14, s14, 4
	v_cmp_eq_u32_e32 vcc, 0, v100
	v_add_u32_e32 v98, 4, v98
	s_or_b64 s[4:5], vcc, s[4:5]
	s_waitcnt vmcnt(0) lgkmcnt(0)
	v_fmac_f32_e32 v99, v101, v102
	s_andn2_b64 exec, exec, s[4:5]
	s_cbranch_execnz .LBB104_143
; %bb.144:
	s_or_b64 exec, exec, s[4:5]
.LBB104_145:
	s_or_b64 exec, exec, s[12:13]
	v_mov_b32_e32 v98, 0
	ds_read_b32 v98, v98 offset:100
	s_waitcnt lgkmcnt(0)
	v_mul_f32_e32 v98, v99, v98
	buffer_store_dword v98, off, s[0:3], 0 offset:100
.LBB104_146:
	s_or_b64 exec, exec, s[8:9]
	buffer_load_dword v98, off, s[0:3], 0 offset:96
	v_cmp_lt_u32_e64 s[4:5], 24, v0
	s_waitcnt vmcnt(0)
	ds_write_b32 v84, v98
	s_waitcnt lgkmcnt(0)
	; wave barrier
	s_waitcnt lgkmcnt(0)
	s_and_saveexec_b64 s[8:9], s[4:5]
	s_cbranch_execz .LBB104_156
; %bb.147:
	s_andn2_b64 vcc, exec, s[10:11]
	s_cbranch_vccnz .LBB104_149
; %bb.148:
	buffer_load_dword v98, v85, s[0:3], 0 offen
	ds_read_b32 v99, v84
	s_waitcnt vmcnt(0) lgkmcnt(0)
	v_mul_f32_e32 v98, v98, v99
	s_cbranch_execz .LBB104_150
	s_branch .LBB104_151
.LBB104_149:
                                        ; implicit-def: $vgpr98
.LBB104_150:
	ds_read_b32 v98, v84
.LBB104_151:
	s_and_saveexec_b64 s[12:13], s[6:7]
	s_cbranch_execz .LBB104_155
; %bb.152:
	v_mov_b32_e32 v99, 0
	v_add_u32_e32 v99, 0x64, v99
	v_subrev_u32_e32 v100, 25, v0
	s_movk_i32 s14, 0x114
	s_mov_b64 s[6:7], 0
.LBB104_153:                            ; =>This Inner Loop Header: Depth=1
	buffer_load_dword v101, v99, s[0:3], 0 offen
	v_mov_b32_e32 v102, s14
	ds_read_b32 v102, v102
	v_add_u32_e32 v100, -1, v100
	s_add_i32 s14, s14, 4
	v_cmp_eq_u32_e32 vcc, 0, v100
	v_add_u32_e32 v99, 4, v99
	s_or_b64 s[6:7], vcc, s[6:7]
	s_waitcnt vmcnt(0) lgkmcnt(0)
	v_fmac_f32_e32 v98, v101, v102
	s_andn2_b64 exec, exec, s[6:7]
	s_cbranch_execnz .LBB104_153
; %bb.154:
	s_or_b64 exec, exec, s[6:7]
.LBB104_155:
	s_or_b64 exec, exec, s[12:13]
	v_mov_b32_e32 v99, 0
	ds_read_b32 v99, v99 offset:96
	s_waitcnt lgkmcnt(0)
	v_mul_f32_e32 v98, v98, v99
	buffer_store_dword v98, off, s[0:3], 0 offset:96
.LBB104_156:
	s_or_b64 exec, exec, s[8:9]
	buffer_load_dword v98, off, s[0:3], 0 offset:92
	v_cmp_lt_u32_e64 s[6:7], 23, v0
	s_waitcnt vmcnt(0)
	ds_write_b32 v84, v98
	s_waitcnt lgkmcnt(0)
	; wave barrier
	s_waitcnt lgkmcnt(0)
	s_and_saveexec_b64 s[8:9], s[6:7]
	s_cbranch_execz .LBB104_166
; %bb.157:
	s_andn2_b64 vcc, exec, s[10:11]
	s_cbranch_vccnz .LBB104_159
; %bb.158:
	buffer_load_dword v98, v85, s[0:3], 0 offen
	ds_read_b32 v99, v84
	s_waitcnt vmcnt(0) lgkmcnt(0)
	v_mul_f32_e32 v98, v98, v99
	s_cbranch_execz .LBB104_160
	s_branch .LBB104_161
.LBB104_159:
                                        ; implicit-def: $vgpr98
.LBB104_160:
	ds_read_b32 v98, v84
.LBB104_161:
	s_and_saveexec_b64 s[12:13], s[4:5]
	s_cbranch_execz .LBB104_165
; %bb.162:
	v_subrev_u32_e32 v99, 24, v0
	s_movk_i32 s14, 0x110
	s_mov_b64 s[4:5], 0
.LBB104_163:                            ; =>This Inner Loop Header: Depth=1
	buffer_load_dword v100, v97, s[0:3], 0 offen
	v_mov_b32_e32 v101, s14
	ds_read_b32 v101, v101
	v_add_u32_e32 v99, -1, v99
	s_add_i32 s14, s14, 4
	v_cmp_eq_u32_e32 vcc, 0, v99
	v_add_u32_e32 v97, 4, v97
	s_or_b64 s[4:5], vcc, s[4:5]
	s_waitcnt vmcnt(0) lgkmcnt(0)
	v_fmac_f32_e32 v98, v100, v101
	s_andn2_b64 exec, exec, s[4:5]
	s_cbranch_execnz .LBB104_163
; %bb.164:
	s_or_b64 exec, exec, s[4:5]
.LBB104_165:
	s_or_b64 exec, exec, s[12:13]
	v_mov_b32_e32 v97, 0
	ds_read_b32 v97, v97 offset:92
	s_waitcnt lgkmcnt(0)
	v_mul_f32_e32 v97, v98, v97
	buffer_store_dword v97, off, s[0:3], 0 offset:92
.LBB104_166:
	s_or_b64 exec, exec, s[8:9]
	buffer_load_dword v97, off, s[0:3], 0 offset:88
	v_cmp_lt_u32_e64 s[4:5], 22, v0
	s_waitcnt vmcnt(0)
	ds_write_b32 v84, v97
	s_waitcnt lgkmcnt(0)
	; wave barrier
	s_waitcnt lgkmcnt(0)
	s_and_saveexec_b64 s[8:9], s[4:5]
	s_cbranch_execz .LBB104_176
; %bb.167:
	s_andn2_b64 vcc, exec, s[10:11]
	s_cbranch_vccnz .LBB104_169
; %bb.168:
	buffer_load_dword v97, v85, s[0:3], 0 offen
	ds_read_b32 v98, v84
	s_waitcnt vmcnt(0) lgkmcnt(0)
	v_mul_f32_e32 v97, v97, v98
	s_cbranch_execz .LBB104_170
	s_branch .LBB104_171
.LBB104_169:
                                        ; implicit-def: $vgpr97
.LBB104_170:
	ds_read_b32 v97, v84
.LBB104_171:
	s_and_saveexec_b64 s[12:13], s[6:7]
	s_cbranch_execz .LBB104_175
; %bb.172:
	v_mov_b32_e32 v98, 0
	v_add_u32_e32 v98, 0x5c, v98
	v_subrev_u32_e32 v99, 23, v0
	s_movk_i32 s14, 0x10c
	s_mov_b64 s[6:7], 0
.LBB104_173:                            ; =>This Inner Loop Header: Depth=1
	buffer_load_dword v100, v98, s[0:3], 0 offen
	v_mov_b32_e32 v101, s14
	ds_read_b32 v101, v101
	v_add_u32_e32 v99, -1, v99
	s_add_i32 s14, s14, 4
	v_cmp_eq_u32_e32 vcc, 0, v99
	v_add_u32_e32 v98, 4, v98
	s_or_b64 s[6:7], vcc, s[6:7]
	s_waitcnt vmcnt(0) lgkmcnt(0)
	v_fmac_f32_e32 v97, v100, v101
	s_andn2_b64 exec, exec, s[6:7]
	s_cbranch_execnz .LBB104_173
; %bb.174:
	s_or_b64 exec, exec, s[6:7]
.LBB104_175:
	s_or_b64 exec, exec, s[12:13]
	v_mov_b32_e32 v98, 0
	ds_read_b32 v98, v98 offset:88
	s_waitcnt lgkmcnt(0)
	v_mul_f32_e32 v97, v97, v98
	buffer_store_dword v97, off, s[0:3], 0 offset:88
.LBB104_176:
	s_or_b64 exec, exec, s[8:9]
	buffer_load_dword v97, off, s[0:3], 0 offset:84
	v_cmp_lt_u32_e64 s[6:7], 21, v0
	s_waitcnt vmcnt(0)
	ds_write_b32 v84, v97
	s_waitcnt lgkmcnt(0)
	; wave barrier
	s_waitcnt lgkmcnt(0)
	s_and_saveexec_b64 s[8:9], s[6:7]
	s_cbranch_execz .LBB104_186
; %bb.177:
	s_andn2_b64 vcc, exec, s[10:11]
	s_cbranch_vccnz .LBB104_179
; %bb.178:
	buffer_load_dword v97, v85, s[0:3], 0 offen
	ds_read_b32 v98, v84
	s_waitcnt vmcnt(0) lgkmcnt(0)
	v_mul_f32_e32 v97, v97, v98
	s_cbranch_execz .LBB104_180
	s_branch .LBB104_181
.LBB104_179:
                                        ; implicit-def: $vgpr97
.LBB104_180:
	ds_read_b32 v97, v84
.LBB104_181:
	s_and_saveexec_b64 s[12:13], s[4:5]
	s_cbranch_execz .LBB104_185
; %bb.182:
	v_subrev_u32_e32 v98, 22, v0
	s_movk_i32 s14, 0x108
	s_mov_b64 s[4:5], 0
.LBB104_183:                            ; =>This Inner Loop Header: Depth=1
	buffer_load_dword v99, v96, s[0:3], 0 offen
	v_mov_b32_e32 v100, s14
	ds_read_b32 v100, v100
	v_add_u32_e32 v98, -1, v98
	s_add_i32 s14, s14, 4
	v_cmp_eq_u32_e32 vcc, 0, v98
	v_add_u32_e32 v96, 4, v96
	s_or_b64 s[4:5], vcc, s[4:5]
	s_waitcnt vmcnt(0) lgkmcnt(0)
	v_fmac_f32_e32 v97, v99, v100
	s_andn2_b64 exec, exec, s[4:5]
	s_cbranch_execnz .LBB104_183
; %bb.184:
	s_or_b64 exec, exec, s[4:5]
.LBB104_185:
	s_or_b64 exec, exec, s[12:13]
	v_mov_b32_e32 v96, 0
	ds_read_b32 v96, v96 offset:84
	s_waitcnt lgkmcnt(0)
	v_mul_f32_e32 v96, v97, v96
	buffer_store_dword v96, off, s[0:3], 0 offset:84
.LBB104_186:
	s_or_b64 exec, exec, s[8:9]
	buffer_load_dword v96, off, s[0:3], 0 offset:80
	v_cmp_lt_u32_e64 s[4:5], 20, v0
	s_waitcnt vmcnt(0)
	ds_write_b32 v84, v96
	s_waitcnt lgkmcnt(0)
	; wave barrier
	s_waitcnt lgkmcnt(0)
	s_and_saveexec_b64 s[8:9], s[4:5]
	s_cbranch_execz .LBB104_196
; %bb.187:
	s_andn2_b64 vcc, exec, s[10:11]
	s_cbranch_vccnz .LBB104_189
; %bb.188:
	buffer_load_dword v96, v85, s[0:3], 0 offen
	ds_read_b32 v97, v84
	s_waitcnt vmcnt(0) lgkmcnt(0)
	v_mul_f32_e32 v96, v96, v97
	s_cbranch_execz .LBB104_190
	s_branch .LBB104_191
.LBB104_189:
                                        ; implicit-def: $vgpr96
.LBB104_190:
	ds_read_b32 v96, v84
.LBB104_191:
	s_and_saveexec_b64 s[12:13], s[6:7]
	s_cbranch_execz .LBB104_195
; %bb.192:
	v_mov_b32_e32 v97, 0
	v_add_u32_e32 v97, 0x54, v97
	v_subrev_u32_e32 v98, 21, v0
	s_movk_i32 s14, 0x104
	s_mov_b64 s[6:7], 0
.LBB104_193:                            ; =>This Inner Loop Header: Depth=1
	buffer_load_dword v99, v97, s[0:3], 0 offen
	v_mov_b32_e32 v100, s14
	ds_read_b32 v100, v100
	v_add_u32_e32 v98, -1, v98
	s_add_i32 s14, s14, 4
	v_cmp_eq_u32_e32 vcc, 0, v98
	v_add_u32_e32 v97, 4, v97
	s_or_b64 s[6:7], vcc, s[6:7]
	s_waitcnt vmcnt(0) lgkmcnt(0)
	v_fmac_f32_e32 v96, v99, v100
	s_andn2_b64 exec, exec, s[6:7]
	s_cbranch_execnz .LBB104_193
; %bb.194:
	s_or_b64 exec, exec, s[6:7]
.LBB104_195:
	s_or_b64 exec, exec, s[12:13]
	v_mov_b32_e32 v97, 0
	ds_read_b32 v97, v97 offset:80
	s_waitcnt lgkmcnt(0)
	v_mul_f32_e32 v96, v96, v97
	buffer_store_dword v96, off, s[0:3], 0 offset:80
.LBB104_196:
	s_or_b64 exec, exec, s[8:9]
	buffer_load_dword v96, off, s[0:3], 0 offset:76
	v_cmp_lt_u32_e64 s[6:7], 19, v0
	s_waitcnt vmcnt(0)
	ds_write_b32 v84, v96
	s_waitcnt lgkmcnt(0)
	; wave barrier
	s_waitcnt lgkmcnt(0)
	s_and_saveexec_b64 s[8:9], s[6:7]
	s_cbranch_execz .LBB104_206
; %bb.197:
	s_andn2_b64 vcc, exec, s[10:11]
	s_cbranch_vccnz .LBB104_199
; %bb.198:
	buffer_load_dword v96, v85, s[0:3], 0 offen
	ds_read_b32 v97, v84
	s_waitcnt vmcnt(0) lgkmcnt(0)
	v_mul_f32_e32 v96, v96, v97
	s_cbranch_execz .LBB104_200
	s_branch .LBB104_201
.LBB104_199:
                                        ; implicit-def: $vgpr96
.LBB104_200:
	ds_read_b32 v96, v84
.LBB104_201:
	s_and_saveexec_b64 s[12:13], s[4:5]
	s_cbranch_execz .LBB104_205
; %bb.202:
	v_subrev_u32_e32 v97, 20, v0
	s_movk_i32 s14, 0x100
	s_mov_b64 s[4:5], 0
.LBB104_203:                            ; =>This Inner Loop Header: Depth=1
	buffer_load_dword v98, v95, s[0:3], 0 offen
	v_mov_b32_e32 v99, s14
	ds_read_b32 v99, v99
	v_add_u32_e32 v97, -1, v97
	s_add_i32 s14, s14, 4
	v_cmp_eq_u32_e32 vcc, 0, v97
	v_add_u32_e32 v95, 4, v95
	s_or_b64 s[4:5], vcc, s[4:5]
	s_waitcnt vmcnt(0) lgkmcnt(0)
	v_fmac_f32_e32 v96, v98, v99
	s_andn2_b64 exec, exec, s[4:5]
	s_cbranch_execnz .LBB104_203
; %bb.204:
	s_or_b64 exec, exec, s[4:5]
.LBB104_205:
	s_or_b64 exec, exec, s[12:13]
	v_mov_b32_e32 v95, 0
	ds_read_b32 v95, v95 offset:76
	s_waitcnt lgkmcnt(0)
	v_mul_f32_e32 v95, v96, v95
	buffer_store_dword v95, off, s[0:3], 0 offset:76
.LBB104_206:
	s_or_b64 exec, exec, s[8:9]
	buffer_load_dword v95, off, s[0:3], 0 offset:72
	v_cmp_lt_u32_e64 s[4:5], 18, v0
	s_waitcnt vmcnt(0)
	ds_write_b32 v84, v95
	s_waitcnt lgkmcnt(0)
	; wave barrier
	s_waitcnt lgkmcnt(0)
	s_and_saveexec_b64 s[8:9], s[4:5]
	s_cbranch_execz .LBB104_216
; %bb.207:
	s_andn2_b64 vcc, exec, s[10:11]
	s_cbranch_vccnz .LBB104_209
; %bb.208:
	buffer_load_dword v95, v85, s[0:3], 0 offen
	ds_read_b32 v96, v84
	s_waitcnt vmcnt(0) lgkmcnt(0)
	v_mul_f32_e32 v95, v95, v96
	s_cbranch_execz .LBB104_210
	s_branch .LBB104_211
.LBB104_209:
                                        ; implicit-def: $vgpr95
.LBB104_210:
	ds_read_b32 v95, v84
.LBB104_211:
	s_and_saveexec_b64 s[12:13], s[6:7]
	s_cbranch_execz .LBB104_215
; %bb.212:
	v_mov_b32_e32 v96, 0
	v_add_u32_e32 v96, 0x4c, v96
	v_subrev_u32_e32 v97, 19, v0
	s_movk_i32 s14, 0xfc
	s_mov_b64 s[6:7], 0
.LBB104_213:                            ; =>This Inner Loop Header: Depth=1
	buffer_load_dword v98, v96, s[0:3], 0 offen
	v_mov_b32_e32 v99, s14
	ds_read_b32 v99, v99
	v_add_u32_e32 v97, -1, v97
	s_add_i32 s14, s14, 4
	v_cmp_eq_u32_e32 vcc, 0, v97
	v_add_u32_e32 v96, 4, v96
	s_or_b64 s[6:7], vcc, s[6:7]
	s_waitcnt vmcnt(0) lgkmcnt(0)
	v_fmac_f32_e32 v95, v98, v99
	s_andn2_b64 exec, exec, s[6:7]
	s_cbranch_execnz .LBB104_213
; %bb.214:
	s_or_b64 exec, exec, s[6:7]
.LBB104_215:
	s_or_b64 exec, exec, s[12:13]
	v_mov_b32_e32 v96, 0
	ds_read_b32 v96, v96 offset:72
	s_waitcnt lgkmcnt(0)
	v_mul_f32_e32 v95, v95, v96
	buffer_store_dword v95, off, s[0:3], 0 offset:72
.LBB104_216:
	s_or_b64 exec, exec, s[8:9]
	buffer_load_dword v95, off, s[0:3], 0 offset:68
	v_cmp_lt_u32_e64 s[6:7], 17, v0
	s_waitcnt vmcnt(0)
	ds_write_b32 v84, v95
	s_waitcnt lgkmcnt(0)
	; wave barrier
	s_waitcnt lgkmcnt(0)
	s_and_saveexec_b64 s[8:9], s[6:7]
	s_cbranch_execz .LBB104_226
; %bb.217:
	s_andn2_b64 vcc, exec, s[10:11]
	s_cbranch_vccnz .LBB104_219
; %bb.218:
	buffer_load_dword v95, v85, s[0:3], 0 offen
	ds_read_b32 v96, v84
	s_waitcnt vmcnt(0) lgkmcnt(0)
	v_mul_f32_e32 v95, v95, v96
	s_cbranch_execz .LBB104_220
	s_branch .LBB104_221
.LBB104_219:
                                        ; implicit-def: $vgpr95
.LBB104_220:
	ds_read_b32 v95, v84
.LBB104_221:
	s_and_saveexec_b64 s[12:13], s[4:5]
	s_cbranch_execz .LBB104_225
; %bb.222:
	v_subrev_u32_e32 v96, 18, v0
	s_movk_i32 s14, 0xf8
	s_mov_b64 s[4:5], 0
.LBB104_223:                            ; =>This Inner Loop Header: Depth=1
	buffer_load_dword v97, v94, s[0:3], 0 offen
	v_mov_b32_e32 v98, s14
	ds_read_b32 v98, v98
	v_add_u32_e32 v96, -1, v96
	s_add_i32 s14, s14, 4
	v_cmp_eq_u32_e32 vcc, 0, v96
	v_add_u32_e32 v94, 4, v94
	s_or_b64 s[4:5], vcc, s[4:5]
	s_waitcnt vmcnt(0) lgkmcnt(0)
	v_fmac_f32_e32 v95, v97, v98
	s_andn2_b64 exec, exec, s[4:5]
	s_cbranch_execnz .LBB104_223
; %bb.224:
	s_or_b64 exec, exec, s[4:5]
.LBB104_225:
	s_or_b64 exec, exec, s[12:13]
	v_mov_b32_e32 v94, 0
	ds_read_b32 v94, v94 offset:68
	s_waitcnt lgkmcnt(0)
	v_mul_f32_e32 v94, v95, v94
	buffer_store_dword v94, off, s[0:3], 0 offset:68
.LBB104_226:
	s_or_b64 exec, exec, s[8:9]
	buffer_load_dword v94, off, s[0:3], 0 offset:64
	v_cmp_lt_u32_e64 s[4:5], 16, v0
	s_waitcnt vmcnt(0)
	ds_write_b32 v84, v94
	s_waitcnt lgkmcnt(0)
	; wave barrier
	s_waitcnt lgkmcnt(0)
	s_and_saveexec_b64 s[8:9], s[4:5]
	s_cbranch_execz .LBB104_236
; %bb.227:
	s_andn2_b64 vcc, exec, s[10:11]
	s_cbranch_vccnz .LBB104_229
; %bb.228:
	buffer_load_dword v94, v85, s[0:3], 0 offen
	ds_read_b32 v95, v84
	s_waitcnt vmcnt(0) lgkmcnt(0)
	v_mul_f32_e32 v94, v94, v95
	s_cbranch_execz .LBB104_230
	s_branch .LBB104_231
.LBB104_229:
                                        ; implicit-def: $vgpr94
.LBB104_230:
	ds_read_b32 v94, v84
.LBB104_231:
	s_and_saveexec_b64 s[12:13], s[6:7]
	s_cbranch_execz .LBB104_235
; %bb.232:
	v_mov_b32_e32 v95, 0
	v_add_u32_e32 v95, 0x44, v95
	v_subrev_u32_e32 v96, 17, v0
	s_movk_i32 s14, 0xf4
	s_mov_b64 s[6:7], 0
.LBB104_233:                            ; =>This Inner Loop Header: Depth=1
	buffer_load_dword v97, v95, s[0:3], 0 offen
	v_mov_b32_e32 v98, s14
	ds_read_b32 v98, v98
	v_add_u32_e32 v96, -1, v96
	s_add_i32 s14, s14, 4
	v_cmp_eq_u32_e32 vcc, 0, v96
	v_add_u32_e32 v95, 4, v95
	s_or_b64 s[6:7], vcc, s[6:7]
	s_waitcnt vmcnt(0) lgkmcnt(0)
	v_fmac_f32_e32 v94, v97, v98
	s_andn2_b64 exec, exec, s[6:7]
	s_cbranch_execnz .LBB104_233
; %bb.234:
	s_or_b64 exec, exec, s[6:7]
.LBB104_235:
	s_or_b64 exec, exec, s[12:13]
	v_mov_b32_e32 v95, 0
	ds_read_b32 v95, v95 offset:64
	s_waitcnt lgkmcnt(0)
	v_mul_f32_e32 v94, v94, v95
	buffer_store_dword v94, off, s[0:3], 0 offset:64
.LBB104_236:
	s_or_b64 exec, exec, s[8:9]
	buffer_load_dword v94, off, s[0:3], 0 offset:60
	v_cmp_lt_u32_e64 s[6:7], 15, v0
	s_waitcnt vmcnt(0)
	ds_write_b32 v84, v94
	s_waitcnt lgkmcnt(0)
	; wave barrier
	s_waitcnt lgkmcnt(0)
	s_and_saveexec_b64 s[8:9], s[6:7]
	s_cbranch_execz .LBB104_246
; %bb.237:
	s_andn2_b64 vcc, exec, s[10:11]
	s_cbranch_vccnz .LBB104_239
; %bb.238:
	buffer_load_dword v94, v85, s[0:3], 0 offen
	ds_read_b32 v95, v84
	s_waitcnt vmcnt(0) lgkmcnt(0)
	v_mul_f32_e32 v94, v94, v95
	s_cbranch_execz .LBB104_240
	s_branch .LBB104_241
.LBB104_239:
                                        ; implicit-def: $vgpr94
.LBB104_240:
	ds_read_b32 v94, v84
.LBB104_241:
	s_and_saveexec_b64 s[12:13], s[4:5]
	s_cbranch_execz .LBB104_245
; %bb.242:
	v_add_u32_e32 v95, -16, v0
	s_movk_i32 s14, 0xf0
	s_mov_b64 s[4:5], 0
.LBB104_243:                            ; =>This Inner Loop Header: Depth=1
	buffer_load_dword v96, v93, s[0:3], 0 offen
	v_mov_b32_e32 v97, s14
	ds_read_b32 v97, v97
	v_add_u32_e32 v95, -1, v95
	s_add_i32 s14, s14, 4
	v_cmp_eq_u32_e32 vcc, 0, v95
	v_add_u32_e32 v93, 4, v93
	s_or_b64 s[4:5], vcc, s[4:5]
	s_waitcnt vmcnt(0) lgkmcnt(0)
	v_fmac_f32_e32 v94, v96, v97
	s_andn2_b64 exec, exec, s[4:5]
	s_cbranch_execnz .LBB104_243
; %bb.244:
	s_or_b64 exec, exec, s[4:5]
.LBB104_245:
	s_or_b64 exec, exec, s[12:13]
	v_mov_b32_e32 v93, 0
	ds_read_b32 v93, v93 offset:60
	s_waitcnt lgkmcnt(0)
	v_mul_f32_e32 v93, v94, v93
	buffer_store_dword v93, off, s[0:3], 0 offset:60
.LBB104_246:
	s_or_b64 exec, exec, s[8:9]
	buffer_load_dword v93, off, s[0:3], 0 offset:56
	v_cmp_lt_u32_e64 s[4:5], 14, v0
	s_waitcnt vmcnt(0)
	ds_write_b32 v84, v93
	s_waitcnt lgkmcnt(0)
	; wave barrier
	s_waitcnt lgkmcnt(0)
	s_and_saveexec_b64 s[8:9], s[4:5]
	s_cbranch_execz .LBB104_256
; %bb.247:
	s_andn2_b64 vcc, exec, s[10:11]
	s_cbranch_vccnz .LBB104_249
; %bb.248:
	buffer_load_dword v93, v85, s[0:3], 0 offen
	ds_read_b32 v94, v84
	s_waitcnt vmcnt(0) lgkmcnt(0)
	v_mul_f32_e32 v93, v93, v94
	s_cbranch_execz .LBB104_250
	s_branch .LBB104_251
.LBB104_249:
                                        ; implicit-def: $vgpr93
.LBB104_250:
	ds_read_b32 v93, v84
.LBB104_251:
	s_and_saveexec_b64 s[12:13], s[6:7]
	s_cbranch_execz .LBB104_255
; %bb.252:
	v_mov_b32_e32 v94, 0
	v_add_u32_e32 v94, 60, v94
	v_add_u32_e32 v95, -15, v0
	s_movk_i32 s14, 0xec
	s_mov_b64 s[6:7], 0
.LBB104_253:                            ; =>This Inner Loop Header: Depth=1
	buffer_load_dword v96, v94, s[0:3], 0 offen
	v_mov_b32_e32 v97, s14
	ds_read_b32 v97, v97
	v_add_u32_e32 v95, -1, v95
	s_add_i32 s14, s14, 4
	v_cmp_eq_u32_e32 vcc, 0, v95
	v_add_u32_e32 v94, 4, v94
	s_or_b64 s[6:7], vcc, s[6:7]
	s_waitcnt vmcnt(0) lgkmcnt(0)
	v_fmac_f32_e32 v93, v96, v97
	s_andn2_b64 exec, exec, s[6:7]
	s_cbranch_execnz .LBB104_253
; %bb.254:
	s_or_b64 exec, exec, s[6:7]
.LBB104_255:
	s_or_b64 exec, exec, s[12:13]
	v_mov_b32_e32 v94, 0
	ds_read_b32 v94, v94 offset:56
	s_waitcnt lgkmcnt(0)
	v_mul_f32_e32 v93, v93, v94
	buffer_store_dword v93, off, s[0:3], 0 offset:56
.LBB104_256:
	s_or_b64 exec, exec, s[8:9]
	buffer_load_dword v93, off, s[0:3], 0 offset:52
	v_cmp_lt_u32_e64 s[6:7], 13, v0
	s_waitcnt vmcnt(0)
	ds_write_b32 v84, v93
	s_waitcnt lgkmcnt(0)
	; wave barrier
	s_waitcnt lgkmcnt(0)
	s_and_saveexec_b64 s[8:9], s[6:7]
	s_cbranch_execz .LBB104_266
; %bb.257:
	s_andn2_b64 vcc, exec, s[10:11]
	s_cbranch_vccnz .LBB104_259
; %bb.258:
	buffer_load_dword v93, v85, s[0:3], 0 offen
	ds_read_b32 v94, v84
	s_waitcnt vmcnt(0) lgkmcnt(0)
	v_mul_f32_e32 v93, v93, v94
	s_cbranch_execz .LBB104_260
	s_branch .LBB104_261
.LBB104_259:
                                        ; implicit-def: $vgpr93
.LBB104_260:
	ds_read_b32 v93, v84
.LBB104_261:
	s_and_saveexec_b64 s[12:13], s[4:5]
	s_cbranch_execz .LBB104_265
; %bb.262:
	v_add_u32_e32 v94, -14, v0
	s_movk_i32 s14, 0xe8
	s_mov_b64 s[4:5], 0
.LBB104_263:                            ; =>This Inner Loop Header: Depth=1
	buffer_load_dword v95, v92, s[0:3], 0 offen
	v_mov_b32_e32 v96, s14
	ds_read_b32 v96, v96
	v_add_u32_e32 v94, -1, v94
	s_add_i32 s14, s14, 4
	v_cmp_eq_u32_e32 vcc, 0, v94
	v_add_u32_e32 v92, 4, v92
	s_or_b64 s[4:5], vcc, s[4:5]
	s_waitcnt vmcnt(0) lgkmcnt(0)
	v_fmac_f32_e32 v93, v95, v96
	s_andn2_b64 exec, exec, s[4:5]
	s_cbranch_execnz .LBB104_263
; %bb.264:
	s_or_b64 exec, exec, s[4:5]
.LBB104_265:
	s_or_b64 exec, exec, s[12:13]
	v_mov_b32_e32 v92, 0
	ds_read_b32 v92, v92 offset:52
	s_waitcnt lgkmcnt(0)
	v_mul_f32_e32 v92, v93, v92
	buffer_store_dword v92, off, s[0:3], 0 offset:52
.LBB104_266:
	s_or_b64 exec, exec, s[8:9]
	buffer_load_dword v92, off, s[0:3], 0 offset:48
	v_cmp_lt_u32_e64 s[4:5], 12, v0
	s_waitcnt vmcnt(0)
	ds_write_b32 v84, v92
	s_waitcnt lgkmcnt(0)
	; wave barrier
	s_waitcnt lgkmcnt(0)
	s_and_saveexec_b64 s[8:9], s[4:5]
	s_cbranch_execz .LBB104_276
; %bb.267:
	s_andn2_b64 vcc, exec, s[10:11]
	s_cbranch_vccnz .LBB104_269
; %bb.268:
	buffer_load_dword v92, v85, s[0:3], 0 offen
	ds_read_b32 v93, v84
	s_waitcnt vmcnt(0) lgkmcnt(0)
	v_mul_f32_e32 v92, v92, v93
	s_cbranch_execz .LBB104_270
	s_branch .LBB104_271
.LBB104_269:
                                        ; implicit-def: $vgpr92
.LBB104_270:
	ds_read_b32 v92, v84
.LBB104_271:
	s_and_saveexec_b64 s[12:13], s[6:7]
	s_cbranch_execz .LBB104_275
; %bb.272:
	v_mov_b32_e32 v93, 0
	v_add_u32_e32 v93, 52, v93
	v_add_u32_e32 v94, -13, v0
	s_movk_i32 s14, 0xe4
	s_mov_b64 s[6:7], 0
.LBB104_273:                            ; =>This Inner Loop Header: Depth=1
	buffer_load_dword v95, v93, s[0:3], 0 offen
	v_mov_b32_e32 v96, s14
	ds_read_b32 v96, v96
	v_add_u32_e32 v94, -1, v94
	s_add_i32 s14, s14, 4
	v_cmp_eq_u32_e32 vcc, 0, v94
	v_add_u32_e32 v93, 4, v93
	s_or_b64 s[6:7], vcc, s[6:7]
	s_waitcnt vmcnt(0) lgkmcnt(0)
	v_fmac_f32_e32 v92, v95, v96
	s_andn2_b64 exec, exec, s[6:7]
	s_cbranch_execnz .LBB104_273
; %bb.274:
	s_or_b64 exec, exec, s[6:7]
.LBB104_275:
	s_or_b64 exec, exec, s[12:13]
	v_mov_b32_e32 v93, 0
	ds_read_b32 v93, v93 offset:48
	s_waitcnt lgkmcnt(0)
	v_mul_f32_e32 v92, v92, v93
	buffer_store_dword v92, off, s[0:3], 0 offset:48
.LBB104_276:
	s_or_b64 exec, exec, s[8:9]
	buffer_load_dword v92, off, s[0:3], 0 offset:44
	v_cmp_lt_u32_e64 s[6:7], 11, v0
	s_waitcnt vmcnt(0)
	ds_write_b32 v84, v92
	s_waitcnt lgkmcnt(0)
	; wave barrier
	s_waitcnt lgkmcnt(0)
	s_and_saveexec_b64 s[8:9], s[6:7]
	s_cbranch_execz .LBB104_286
; %bb.277:
	s_andn2_b64 vcc, exec, s[10:11]
	s_cbranch_vccnz .LBB104_279
; %bb.278:
	buffer_load_dword v92, v85, s[0:3], 0 offen
	ds_read_b32 v93, v84
	s_waitcnt vmcnt(0) lgkmcnt(0)
	v_mul_f32_e32 v92, v92, v93
	s_cbranch_execz .LBB104_280
	s_branch .LBB104_281
.LBB104_279:
                                        ; implicit-def: $vgpr92
.LBB104_280:
	ds_read_b32 v92, v84
.LBB104_281:
	s_and_saveexec_b64 s[12:13], s[4:5]
	s_cbranch_execz .LBB104_285
; %bb.282:
	v_add_u32_e32 v93, -12, v0
	s_movk_i32 s14, 0xe0
	s_mov_b64 s[4:5], 0
.LBB104_283:                            ; =>This Inner Loop Header: Depth=1
	buffer_load_dword v94, v91, s[0:3], 0 offen
	v_mov_b32_e32 v95, s14
	ds_read_b32 v95, v95
	v_add_u32_e32 v93, -1, v93
	s_add_i32 s14, s14, 4
	v_cmp_eq_u32_e32 vcc, 0, v93
	v_add_u32_e32 v91, 4, v91
	s_or_b64 s[4:5], vcc, s[4:5]
	s_waitcnt vmcnt(0) lgkmcnt(0)
	v_fmac_f32_e32 v92, v94, v95
	s_andn2_b64 exec, exec, s[4:5]
	s_cbranch_execnz .LBB104_283
; %bb.284:
	s_or_b64 exec, exec, s[4:5]
.LBB104_285:
	s_or_b64 exec, exec, s[12:13]
	v_mov_b32_e32 v91, 0
	ds_read_b32 v91, v91 offset:44
	s_waitcnt lgkmcnt(0)
	v_mul_f32_e32 v91, v92, v91
	buffer_store_dword v91, off, s[0:3], 0 offset:44
.LBB104_286:
	s_or_b64 exec, exec, s[8:9]
	buffer_load_dword v91, off, s[0:3], 0 offset:40
	v_cmp_lt_u32_e64 s[4:5], 10, v0
	s_waitcnt vmcnt(0)
	ds_write_b32 v84, v91
	s_waitcnt lgkmcnt(0)
	; wave barrier
	s_waitcnt lgkmcnt(0)
	s_and_saveexec_b64 s[8:9], s[4:5]
	s_cbranch_execz .LBB104_296
; %bb.287:
	s_andn2_b64 vcc, exec, s[10:11]
	s_cbranch_vccnz .LBB104_289
; %bb.288:
	buffer_load_dword v91, v85, s[0:3], 0 offen
	ds_read_b32 v92, v84
	s_waitcnt vmcnt(0) lgkmcnt(0)
	v_mul_f32_e32 v91, v91, v92
	s_cbranch_execz .LBB104_290
	s_branch .LBB104_291
.LBB104_289:
                                        ; implicit-def: $vgpr91
.LBB104_290:
	ds_read_b32 v91, v84
.LBB104_291:
	s_and_saveexec_b64 s[12:13], s[6:7]
	s_cbranch_execz .LBB104_295
; %bb.292:
	v_mov_b32_e32 v92, 0
	v_add_u32_e32 v92, 44, v92
	v_add_u32_e32 v93, -11, v0
	s_movk_i32 s14, 0xdc
	s_mov_b64 s[6:7], 0
.LBB104_293:                            ; =>This Inner Loop Header: Depth=1
	buffer_load_dword v94, v92, s[0:3], 0 offen
	v_mov_b32_e32 v95, s14
	ds_read_b32 v95, v95
	v_add_u32_e32 v93, -1, v93
	s_add_i32 s14, s14, 4
	v_cmp_eq_u32_e32 vcc, 0, v93
	v_add_u32_e32 v92, 4, v92
	s_or_b64 s[6:7], vcc, s[6:7]
	s_waitcnt vmcnt(0) lgkmcnt(0)
	v_fmac_f32_e32 v91, v94, v95
	s_andn2_b64 exec, exec, s[6:7]
	s_cbranch_execnz .LBB104_293
; %bb.294:
	s_or_b64 exec, exec, s[6:7]
.LBB104_295:
	s_or_b64 exec, exec, s[12:13]
	v_mov_b32_e32 v92, 0
	ds_read_b32 v92, v92 offset:40
	s_waitcnt lgkmcnt(0)
	v_mul_f32_e32 v91, v91, v92
	buffer_store_dword v91, off, s[0:3], 0 offset:40
.LBB104_296:
	s_or_b64 exec, exec, s[8:9]
	buffer_load_dword v91, off, s[0:3], 0 offset:36
	v_cmp_lt_u32_e64 s[6:7], 9, v0
	s_waitcnt vmcnt(0)
	ds_write_b32 v84, v91
	s_waitcnt lgkmcnt(0)
	; wave barrier
	s_waitcnt lgkmcnt(0)
	s_and_saveexec_b64 s[8:9], s[6:7]
	s_cbranch_execz .LBB104_306
; %bb.297:
	s_andn2_b64 vcc, exec, s[10:11]
	s_cbranch_vccnz .LBB104_299
; %bb.298:
	buffer_load_dword v91, v85, s[0:3], 0 offen
	ds_read_b32 v92, v84
	s_waitcnt vmcnt(0) lgkmcnt(0)
	v_mul_f32_e32 v91, v91, v92
	s_cbranch_execz .LBB104_300
	s_branch .LBB104_301
.LBB104_299:
                                        ; implicit-def: $vgpr91
.LBB104_300:
	ds_read_b32 v91, v84
.LBB104_301:
	s_and_saveexec_b64 s[12:13], s[4:5]
	s_cbranch_execz .LBB104_305
; %bb.302:
	v_add_u32_e32 v92, -10, v0
	s_movk_i32 s14, 0xd8
	s_mov_b64 s[4:5], 0
.LBB104_303:                            ; =>This Inner Loop Header: Depth=1
	buffer_load_dword v93, v90, s[0:3], 0 offen
	v_mov_b32_e32 v94, s14
	ds_read_b32 v94, v94
	v_add_u32_e32 v92, -1, v92
	s_add_i32 s14, s14, 4
	v_cmp_eq_u32_e32 vcc, 0, v92
	v_add_u32_e32 v90, 4, v90
	s_or_b64 s[4:5], vcc, s[4:5]
	s_waitcnt vmcnt(0) lgkmcnt(0)
	v_fmac_f32_e32 v91, v93, v94
	s_andn2_b64 exec, exec, s[4:5]
	s_cbranch_execnz .LBB104_303
; %bb.304:
	s_or_b64 exec, exec, s[4:5]
.LBB104_305:
	s_or_b64 exec, exec, s[12:13]
	v_mov_b32_e32 v90, 0
	ds_read_b32 v90, v90 offset:36
	s_waitcnt lgkmcnt(0)
	v_mul_f32_e32 v90, v91, v90
	buffer_store_dword v90, off, s[0:3], 0 offset:36
.LBB104_306:
	s_or_b64 exec, exec, s[8:9]
	buffer_load_dword v90, off, s[0:3], 0 offset:32
	v_cmp_lt_u32_e64 s[4:5], 8, v0
	s_waitcnt vmcnt(0)
	ds_write_b32 v84, v90
	s_waitcnt lgkmcnt(0)
	; wave barrier
	s_waitcnt lgkmcnt(0)
	s_and_saveexec_b64 s[8:9], s[4:5]
	s_cbranch_execz .LBB104_316
; %bb.307:
	s_andn2_b64 vcc, exec, s[10:11]
	s_cbranch_vccnz .LBB104_309
; %bb.308:
	buffer_load_dword v90, v85, s[0:3], 0 offen
	ds_read_b32 v91, v84
	s_waitcnt vmcnt(0) lgkmcnt(0)
	v_mul_f32_e32 v90, v90, v91
	s_cbranch_execz .LBB104_310
	s_branch .LBB104_311
.LBB104_309:
                                        ; implicit-def: $vgpr90
.LBB104_310:
	ds_read_b32 v90, v84
.LBB104_311:
	s_and_saveexec_b64 s[12:13], s[6:7]
	s_cbranch_execz .LBB104_315
; %bb.312:
	v_mov_b32_e32 v91, 0
	v_add_u32_e32 v91, 36, v91
	v_add_u32_e32 v92, -9, v0
	s_movk_i32 s14, 0xd4
	s_mov_b64 s[6:7], 0
.LBB104_313:                            ; =>This Inner Loop Header: Depth=1
	buffer_load_dword v93, v91, s[0:3], 0 offen
	v_mov_b32_e32 v94, s14
	ds_read_b32 v94, v94
	v_add_u32_e32 v92, -1, v92
	s_add_i32 s14, s14, 4
	v_cmp_eq_u32_e32 vcc, 0, v92
	v_add_u32_e32 v91, 4, v91
	s_or_b64 s[6:7], vcc, s[6:7]
	s_waitcnt vmcnt(0) lgkmcnt(0)
	v_fmac_f32_e32 v90, v93, v94
	s_andn2_b64 exec, exec, s[6:7]
	s_cbranch_execnz .LBB104_313
; %bb.314:
	s_or_b64 exec, exec, s[6:7]
.LBB104_315:
	s_or_b64 exec, exec, s[12:13]
	v_mov_b32_e32 v91, 0
	ds_read_b32 v91, v91 offset:32
	s_waitcnt lgkmcnt(0)
	v_mul_f32_e32 v90, v90, v91
	buffer_store_dword v90, off, s[0:3], 0 offset:32
.LBB104_316:
	s_or_b64 exec, exec, s[8:9]
	buffer_load_dword v90, off, s[0:3], 0 offset:28
	v_cmp_lt_u32_e64 s[6:7], 7, v0
	s_waitcnt vmcnt(0)
	ds_write_b32 v84, v90
	s_waitcnt lgkmcnt(0)
	; wave barrier
	s_waitcnt lgkmcnt(0)
	s_and_saveexec_b64 s[8:9], s[6:7]
	s_cbranch_execz .LBB104_326
; %bb.317:
	s_andn2_b64 vcc, exec, s[10:11]
	s_cbranch_vccnz .LBB104_319
; %bb.318:
	buffer_load_dword v90, v85, s[0:3], 0 offen
	ds_read_b32 v91, v84
	s_waitcnt vmcnt(0) lgkmcnt(0)
	v_mul_f32_e32 v90, v90, v91
	s_cbranch_execz .LBB104_320
	s_branch .LBB104_321
.LBB104_319:
                                        ; implicit-def: $vgpr90
.LBB104_320:
	ds_read_b32 v90, v84
.LBB104_321:
	s_and_saveexec_b64 s[12:13], s[4:5]
	s_cbranch_execz .LBB104_325
; %bb.322:
	v_add_u32_e32 v91, -8, v0
	s_movk_i32 s14, 0xd0
	s_mov_b64 s[4:5], 0
.LBB104_323:                            ; =>This Inner Loop Header: Depth=1
	buffer_load_dword v92, v89, s[0:3], 0 offen
	v_mov_b32_e32 v93, s14
	ds_read_b32 v93, v93
	v_add_u32_e32 v91, -1, v91
	s_add_i32 s14, s14, 4
	v_cmp_eq_u32_e32 vcc, 0, v91
	v_add_u32_e32 v89, 4, v89
	s_or_b64 s[4:5], vcc, s[4:5]
	s_waitcnt vmcnt(0) lgkmcnt(0)
	v_fmac_f32_e32 v90, v92, v93
	s_andn2_b64 exec, exec, s[4:5]
	s_cbranch_execnz .LBB104_323
; %bb.324:
	s_or_b64 exec, exec, s[4:5]
.LBB104_325:
	s_or_b64 exec, exec, s[12:13]
	v_mov_b32_e32 v89, 0
	ds_read_b32 v89, v89 offset:28
	s_waitcnt lgkmcnt(0)
	v_mul_f32_e32 v89, v90, v89
	buffer_store_dword v89, off, s[0:3], 0 offset:28
.LBB104_326:
	s_or_b64 exec, exec, s[8:9]
	buffer_load_dword v89, off, s[0:3], 0 offset:24
	v_cmp_lt_u32_e64 s[4:5], 6, v0
	s_waitcnt vmcnt(0)
	ds_write_b32 v84, v89
	s_waitcnt lgkmcnt(0)
	; wave barrier
	s_waitcnt lgkmcnt(0)
	s_and_saveexec_b64 s[8:9], s[4:5]
	s_cbranch_execz .LBB104_336
; %bb.327:
	s_andn2_b64 vcc, exec, s[10:11]
	s_cbranch_vccnz .LBB104_329
; %bb.328:
	buffer_load_dword v89, v85, s[0:3], 0 offen
	ds_read_b32 v90, v84
	s_waitcnt vmcnt(0) lgkmcnt(0)
	v_mul_f32_e32 v89, v89, v90
	s_cbranch_execz .LBB104_330
	s_branch .LBB104_331
.LBB104_329:
                                        ; implicit-def: $vgpr89
.LBB104_330:
	ds_read_b32 v89, v84
.LBB104_331:
	s_and_saveexec_b64 s[12:13], s[6:7]
	s_cbranch_execz .LBB104_335
; %bb.332:
	v_mov_b32_e32 v90, 0
	v_add_u32_e32 v90, 28, v90
	v_add_u32_e32 v91, -7, v0
	s_movk_i32 s14, 0xcc
	s_mov_b64 s[6:7], 0
.LBB104_333:                            ; =>This Inner Loop Header: Depth=1
	buffer_load_dword v92, v90, s[0:3], 0 offen
	v_mov_b32_e32 v93, s14
	ds_read_b32 v93, v93
	v_add_u32_e32 v91, -1, v91
	s_add_i32 s14, s14, 4
	v_cmp_eq_u32_e32 vcc, 0, v91
	v_add_u32_e32 v90, 4, v90
	s_or_b64 s[6:7], vcc, s[6:7]
	s_waitcnt vmcnt(0) lgkmcnt(0)
	v_fmac_f32_e32 v89, v92, v93
	s_andn2_b64 exec, exec, s[6:7]
	s_cbranch_execnz .LBB104_333
; %bb.334:
	s_or_b64 exec, exec, s[6:7]
.LBB104_335:
	s_or_b64 exec, exec, s[12:13]
	v_mov_b32_e32 v90, 0
	ds_read_b32 v90, v90 offset:24
	s_waitcnt lgkmcnt(0)
	v_mul_f32_e32 v89, v89, v90
	buffer_store_dword v89, off, s[0:3], 0 offset:24
.LBB104_336:
	s_or_b64 exec, exec, s[8:9]
	buffer_load_dword v89, off, s[0:3], 0 offset:20
	v_cmp_lt_u32_e64 s[6:7], 5, v0
	s_waitcnt vmcnt(0)
	ds_write_b32 v84, v89
	s_waitcnt lgkmcnt(0)
	; wave barrier
	s_waitcnt lgkmcnt(0)
	s_and_saveexec_b64 s[8:9], s[6:7]
	s_cbranch_execz .LBB104_346
; %bb.337:
	s_andn2_b64 vcc, exec, s[10:11]
	s_cbranch_vccnz .LBB104_339
; %bb.338:
	buffer_load_dword v89, v85, s[0:3], 0 offen
	ds_read_b32 v90, v84
	s_waitcnt vmcnt(0) lgkmcnt(0)
	v_mul_f32_e32 v89, v89, v90
	s_cbranch_execz .LBB104_340
	s_branch .LBB104_341
.LBB104_339:
                                        ; implicit-def: $vgpr89
.LBB104_340:
	ds_read_b32 v89, v84
.LBB104_341:
	s_and_saveexec_b64 s[12:13], s[4:5]
	s_cbranch_execz .LBB104_345
; %bb.342:
	v_add_u32_e32 v90, -6, v0
	s_movk_i32 s14, 0xc8
	s_mov_b64 s[4:5], 0
.LBB104_343:                            ; =>This Inner Loop Header: Depth=1
	buffer_load_dword v91, v88, s[0:3], 0 offen
	v_mov_b32_e32 v92, s14
	ds_read_b32 v92, v92
	v_add_u32_e32 v90, -1, v90
	s_add_i32 s14, s14, 4
	v_cmp_eq_u32_e32 vcc, 0, v90
	v_add_u32_e32 v88, 4, v88
	s_or_b64 s[4:5], vcc, s[4:5]
	s_waitcnt vmcnt(0) lgkmcnt(0)
	v_fmac_f32_e32 v89, v91, v92
	s_andn2_b64 exec, exec, s[4:5]
	s_cbranch_execnz .LBB104_343
; %bb.344:
	s_or_b64 exec, exec, s[4:5]
.LBB104_345:
	s_or_b64 exec, exec, s[12:13]
	v_mov_b32_e32 v88, 0
	ds_read_b32 v88, v88 offset:20
	s_waitcnt lgkmcnt(0)
	v_mul_f32_e32 v88, v89, v88
	buffer_store_dword v88, off, s[0:3], 0 offset:20
.LBB104_346:
	s_or_b64 exec, exec, s[8:9]
	buffer_load_dword v88, off, s[0:3], 0 offset:16
	v_cmp_lt_u32_e64 s[4:5], 4, v0
	s_waitcnt vmcnt(0)
	ds_write_b32 v84, v88
	s_waitcnt lgkmcnt(0)
	; wave barrier
	s_waitcnt lgkmcnt(0)
	s_and_saveexec_b64 s[8:9], s[4:5]
	s_cbranch_execz .LBB104_356
; %bb.347:
	s_andn2_b64 vcc, exec, s[10:11]
	s_cbranch_vccnz .LBB104_349
; %bb.348:
	buffer_load_dword v88, v85, s[0:3], 0 offen
	ds_read_b32 v89, v84
	s_waitcnt vmcnt(0) lgkmcnt(0)
	v_mul_f32_e32 v88, v88, v89
	s_cbranch_execz .LBB104_350
	s_branch .LBB104_351
.LBB104_349:
                                        ; implicit-def: $vgpr88
.LBB104_350:
	ds_read_b32 v88, v84
.LBB104_351:
	s_and_saveexec_b64 s[12:13], s[6:7]
	s_cbranch_execz .LBB104_355
; %bb.352:
	v_mov_b32_e32 v89, 0
	v_add_u32_e32 v89, 20, v89
	v_add_u32_e32 v90, -5, v0
	s_movk_i32 s14, 0xc4
	s_mov_b64 s[6:7], 0
.LBB104_353:                            ; =>This Inner Loop Header: Depth=1
	buffer_load_dword v91, v89, s[0:3], 0 offen
	v_mov_b32_e32 v92, s14
	ds_read_b32 v92, v92
	v_add_u32_e32 v90, -1, v90
	s_add_i32 s14, s14, 4
	v_cmp_eq_u32_e32 vcc, 0, v90
	v_add_u32_e32 v89, 4, v89
	s_or_b64 s[6:7], vcc, s[6:7]
	s_waitcnt vmcnt(0) lgkmcnt(0)
	v_fmac_f32_e32 v88, v91, v92
	s_andn2_b64 exec, exec, s[6:7]
	s_cbranch_execnz .LBB104_353
; %bb.354:
	s_or_b64 exec, exec, s[6:7]
.LBB104_355:
	s_or_b64 exec, exec, s[12:13]
	v_mov_b32_e32 v89, 0
	ds_read_b32 v89, v89 offset:16
	s_waitcnt lgkmcnt(0)
	v_mul_f32_e32 v88, v88, v89
	buffer_store_dword v88, off, s[0:3], 0 offset:16
.LBB104_356:
	s_or_b64 exec, exec, s[8:9]
	buffer_load_dword v88, off, s[0:3], 0 offset:12
	v_cmp_lt_u32_e64 s[6:7], 3, v0
	s_waitcnt vmcnt(0)
	ds_write_b32 v84, v88
	s_waitcnt lgkmcnt(0)
	; wave barrier
	s_waitcnt lgkmcnt(0)
	s_and_saveexec_b64 s[8:9], s[6:7]
	s_cbranch_execz .LBB104_366
; %bb.357:
	s_andn2_b64 vcc, exec, s[10:11]
	s_cbranch_vccnz .LBB104_359
; %bb.358:
	buffer_load_dword v88, v85, s[0:3], 0 offen
	ds_read_b32 v89, v84
	s_waitcnt vmcnt(0) lgkmcnt(0)
	v_mul_f32_e32 v88, v88, v89
	s_cbranch_execz .LBB104_360
	s_branch .LBB104_361
.LBB104_359:
                                        ; implicit-def: $vgpr88
.LBB104_360:
	ds_read_b32 v88, v84
.LBB104_361:
	s_and_saveexec_b64 s[12:13], s[4:5]
	s_cbranch_execz .LBB104_365
; %bb.362:
	v_add_u32_e32 v89, -4, v0
	s_movk_i32 s14, 0xc0
	s_mov_b64 s[4:5], 0
.LBB104_363:                            ; =>This Inner Loop Header: Depth=1
	buffer_load_dword v90, v87, s[0:3], 0 offen
	v_mov_b32_e32 v91, s14
	ds_read_b32 v91, v91
	v_add_u32_e32 v89, -1, v89
	s_add_i32 s14, s14, 4
	v_cmp_eq_u32_e32 vcc, 0, v89
	v_add_u32_e32 v87, 4, v87
	s_or_b64 s[4:5], vcc, s[4:5]
	s_waitcnt vmcnt(0) lgkmcnt(0)
	v_fmac_f32_e32 v88, v90, v91
	s_andn2_b64 exec, exec, s[4:5]
	s_cbranch_execnz .LBB104_363
; %bb.364:
	s_or_b64 exec, exec, s[4:5]
.LBB104_365:
	s_or_b64 exec, exec, s[12:13]
	v_mov_b32_e32 v87, 0
	ds_read_b32 v87, v87 offset:12
	s_waitcnt lgkmcnt(0)
	v_mul_f32_e32 v87, v88, v87
	buffer_store_dword v87, off, s[0:3], 0 offset:12
.LBB104_366:
	s_or_b64 exec, exec, s[8:9]
	buffer_load_dword v87, off, s[0:3], 0 offset:8
	v_cmp_lt_u32_e64 s[4:5], 2, v0
	s_waitcnt vmcnt(0)
	ds_write_b32 v84, v87
	s_waitcnt lgkmcnt(0)
	; wave barrier
	s_waitcnt lgkmcnt(0)
	s_and_saveexec_b64 s[8:9], s[4:5]
	s_cbranch_execz .LBB104_376
; %bb.367:
	s_andn2_b64 vcc, exec, s[10:11]
	s_cbranch_vccnz .LBB104_369
; %bb.368:
	buffer_load_dword v87, v85, s[0:3], 0 offen
	ds_read_b32 v88, v84
	s_waitcnt vmcnt(0) lgkmcnt(0)
	v_mul_f32_e32 v87, v87, v88
	s_cbranch_execz .LBB104_370
	s_branch .LBB104_371
.LBB104_369:
                                        ; implicit-def: $vgpr87
.LBB104_370:
	ds_read_b32 v87, v84
.LBB104_371:
	s_and_saveexec_b64 s[12:13], s[6:7]
	s_cbranch_execz .LBB104_375
; %bb.372:
	v_mov_b32_e32 v88, 0
	v_or_b32_e32 v88, 12, v88
	v_add_u32_e32 v89, -3, v0
	s_movk_i32 s14, 0xbc
	s_mov_b64 s[6:7], 0
.LBB104_373:                            ; =>This Inner Loop Header: Depth=1
	buffer_load_dword v90, v88, s[0:3], 0 offen
	v_mov_b32_e32 v91, s14
	ds_read_b32 v91, v91
	v_add_u32_e32 v89, -1, v89
	s_add_i32 s14, s14, 4
	v_cmp_eq_u32_e32 vcc, 0, v89
	v_add_u32_e32 v88, 4, v88
	s_or_b64 s[6:7], vcc, s[6:7]
	s_waitcnt vmcnt(0) lgkmcnt(0)
	v_fmac_f32_e32 v87, v90, v91
	s_andn2_b64 exec, exec, s[6:7]
	s_cbranch_execnz .LBB104_373
; %bb.374:
	s_or_b64 exec, exec, s[6:7]
.LBB104_375:
	s_or_b64 exec, exec, s[12:13]
	v_mov_b32_e32 v88, 0
	ds_read_b32 v88, v88 offset:8
	s_waitcnt lgkmcnt(0)
	v_mul_f32_e32 v87, v87, v88
	buffer_store_dword v87, off, s[0:3], 0 offset:8
.LBB104_376:
	s_or_b64 exec, exec, s[8:9]
	buffer_load_dword v87, off, s[0:3], 0 offset:4
	v_cmp_lt_u32_e64 s[6:7], 1, v0
	s_waitcnt vmcnt(0)
	ds_write_b32 v84, v87
	s_waitcnt lgkmcnt(0)
	; wave barrier
	s_waitcnt lgkmcnt(0)
	s_and_saveexec_b64 s[8:9], s[6:7]
	s_cbranch_execz .LBB104_386
; %bb.377:
	s_andn2_b64 vcc, exec, s[10:11]
	s_cbranch_vccnz .LBB104_379
; %bb.378:
	buffer_load_dword v87, v85, s[0:3], 0 offen
	ds_read_b32 v88, v84
	s_waitcnt vmcnt(0) lgkmcnt(0)
	v_mul_f32_e32 v87, v87, v88
	s_cbranch_execz .LBB104_380
	s_branch .LBB104_381
.LBB104_379:
                                        ; implicit-def: $vgpr87
.LBB104_380:
	ds_read_b32 v87, v84
.LBB104_381:
	s_and_saveexec_b64 s[12:13], s[4:5]
	s_cbranch_execz .LBB104_385
; %bb.382:
	v_add_u32_e32 v88, -2, v0
	s_movk_i32 s14, 0xb8
	s_mov_b64 s[4:5], 0
.LBB104_383:                            ; =>This Inner Loop Header: Depth=1
	buffer_load_dword v89, v86, s[0:3], 0 offen
	v_mov_b32_e32 v90, s14
	ds_read_b32 v90, v90
	v_add_u32_e32 v88, -1, v88
	s_add_i32 s14, s14, 4
	v_cmp_eq_u32_e32 vcc, 0, v88
	v_add_u32_e32 v86, 4, v86
	s_or_b64 s[4:5], vcc, s[4:5]
	s_waitcnt vmcnt(0) lgkmcnt(0)
	v_fmac_f32_e32 v87, v89, v90
	s_andn2_b64 exec, exec, s[4:5]
	s_cbranch_execnz .LBB104_383
; %bb.384:
	s_or_b64 exec, exec, s[4:5]
.LBB104_385:
	s_or_b64 exec, exec, s[12:13]
	v_mov_b32_e32 v86, 0
	ds_read_b32 v86, v86 offset:4
	s_waitcnt lgkmcnt(0)
	v_mul_f32_e32 v86, v87, v86
	buffer_store_dword v86, off, s[0:3], 0 offset:4
.LBB104_386:
	s_or_b64 exec, exec, s[8:9]
	buffer_load_dword v86, off, s[0:3], 0
	v_cmp_ne_u32_e32 vcc, 0, v0
	s_waitcnt vmcnt(0)
	ds_write_b32 v84, v86
	s_waitcnt lgkmcnt(0)
	; wave barrier
	s_waitcnt lgkmcnt(0)
	s_and_saveexec_b64 s[4:5], vcc
	s_cbranch_execz .LBB104_396
; %bb.387:
	s_andn2_b64 vcc, exec, s[10:11]
	s_cbranch_vccnz .LBB104_389
; %bb.388:
	buffer_load_dword v86, v85, s[0:3], 0 offen
	ds_read_b32 v87, v84
	s_waitcnt vmcnt(0) lgkmcnt(0)
	v_mul_f32_e32 v86, v86, v87
	s_cbranch_execz .LBB104_390
	s_branch .LBB104_391
.LBB104_389:
                                        ; implicit-def: $vgpr86
.LBB104_390:
	ds_read_b32 v86, v84
.LBB104_391:
	s_and_saveexec_b64 s[8:9], s[6:7]
	s_cbranch_execz .LBB104_395
; %bb.392:
	v_mov_b32_e32 v87, 0
	v_or_b32_e32 v87, 4, v87
	v_add_u32_e32 v88, -1, v0
	s_movk_i32 s12, 0xb4
	s_mov_b64 s[6:7], 0
.LBB104_393:                            ; =>This Inner Loop Header: Depth=1
	buffer_load_dword v89, v87, s[0:3], 0 offen
	v_mov_b32_e32 v90, s12
	ds_read_b32 v90, v90
	v_add_u32_e32 v88, -1, v88
	s_add_i32 s12, s12, 4
	v_cmp_eq_u32_e32 vcc, 0, v88
	v_add_u32_e32 v87, 4, v87
	s_or_b64 s[6:7], vcc, s[6:7]
	s_waitcnt vmcnt(0) lgkmcnt(0)
	v_fmac_f32_e32 v86, v89, v90
	s_andn2_b64 exec, exec, s[6:7]
	s_cbranch_execnz .LBB104_393
; %bb.394:
	s_or_b64 exec, exec, s[6:7]
.LBB104_395:
	s_or_b64 exec, exec, s[8:9]
	v_mov_b32_e32 v87, 0
	ds_read_b32 v87, v87
	s_waitcnt lgkmcnt(0)
	v_mul_f32_e32 v86, v86, v87
	buffer_store_dword v86, off, s[0:3], 0
.LBB104_396:
	s_or_b64 exec, exec, s[4:5]
	s_mov_b64 s[4:5], 0
.LBB104_397:
	s_and_b64 vcc, exec, s[4:5]
	s_cbranch_vccz .LBB104_791
; %bb.398:
	buffer_load_dword v86, off, s[0:3], 0 offset:4
	v_cmp_eq_u32_e64 s[6:7], 0, v0
	s_waitcnt vmcnt(0)
	ds_write_b32 v84, v86
	s_waitcnt lgkmcnt(0)
	; wave barrier
	s_waitcnt lgkmcnt(0)
	s_and_saveexec_b64 s[4:5], s[6:7]
	s_cbranch_execz .LBB104_404
; %bb.399:
	s_and_b64 vcc, exec, s[10:11]
	s_cbranch_vccz .LBB104_401
; %bb.400:
	buffer_load_dword v86, v85, s[0:3], 0 offen
	ds_read_b32 v87, v84
	s_waitcnt vmcnt(0) lgkmcnt(0)
	v_mul_f32_e32 v86, v86, v87
	s_cbranch_execz .LBB104_402
	s_branch .LBB104_403
.LBB104_401:
                                        ; implicit-def: $vgpr86
.LBB104_402:
	ds_read_b32 v86, v84
.LBB104_403:
	v_mov_b32_e32 v87, 0
	ds_read_b32 v87, v87 offset:4
	s_waitcnt lgkmcnt(0)
	v_mul_f32_e32 v86, v86, v87
	buffer_store_dword v86, off, s[0:3], 0 offset:4
.LBB104_404:
	s_or_b64 exec, exec, s[4:5]
	buffer_load_dword v86, off, s[0:3], 0 offset:8
	v_cndmask_b32_e64 v87, 0, 1, s[10:11]
	v_cmp_gt_u32_e32 vcc, 2, v0
	v_cmp_ne_u32_e64 s[4:5], 1, v87
	s_waitcnt vmcnt(0)
	ds_write_b32 v84, v86
	s_waitcnt lgkmcnt(0)
	; wave barrier
	s_waitcnt lgkmcnt(0)
	s_and_saveexec_b64 s[8:9], vcc
	s_cbranch_execz .LBB104_412
; %bb.405:
	s_and_b64 vcc, exec, s[4:5]
	s_cbranch_vccnz .LBB104_407
; %bb.406:
	buffer_load_dword v86, v85, s[0:3], 0 offen
	ds_read_b32 v87, v84
	s_waitcnt vmcnt(0) lgkmcnt(0)
	v_mul_f32_e32 v86, v86, v87
	s_cbranch_execz .LBB104_408
	s_branch .LBB104_409
.LBB104_407:
                                        ; implicit-def: $vgpr86
.LBB104_408:
	ds_read_b32 v86, v84
.LBB104_409:
	s_and_saveexec_b64 s[10:11], s[6:7]
	s_cbranch_execz .LBB104_411
; %bb.410:
	buffer_load_dword v87, v85, s[0:3], 0 offen offset:4
	ds_read_b32 v88, v84 offset:4
	s_waitcnt vmcnt(0) lgkmcnt(0)
	v_fmac_f32_e32 v86, v87, v88
.LBB104_411:
	s_or_b64 exec, exec, s[10:11]
	v_mov_b32_e32 v87, 0
	ds_read_b32 v87, v87 offset:8
	s_waitcnt lgkmcnt(0)
	v_mul_f32_e32 v86, v86, v87
	buffer_store_dword v86, off, s[0:3], 0 offset:8
.LBB104_412:
	s_or_b64 exec, exec, s[8:9]
	buffer_load_dword v86, off, s[0:3], 0 offset:12
	v_cmp_gt_u32_e32 vcc, 3, v0
	s_waitcnt vmcnt(0)
	ds_write_b32 v84, v86
	s_waitcnt lgkmcnt(0)
	; wave barrier
	s_waitcnt lgkmcnt(0)
	s_and_saveexec_b64 s[8:9], vcc
	s_cbranch_execz .LBB104_420
; %bb.413:
	s_and_b64 vcc, exec, s[4:5]
	s_cbranch_vccnz .LBB104_415
; %bb.414:
	buffer_load_dword v86, v85, s[0:3], 0 offen
	ds_read_b32 v87, v84
	s_waitcnt vmcnt(0) lgkmcnt(0)
	v_mul_f32_e32 v86, v86, v87
	s_cbranch_execz .LBB104_416
	s_branch .LBB104_417
.LBB104_415:
                                        ; implicit-def: $vgpr86
.LBB104_416:
	ds_read_b32 v86, v84
.LBB104_417:
	v_cmp_ne_u32_e32 vcc, 2, v0
	s_and_saveexec_b64 s[10:11], vcc
	s_cbranch_execz .LBB104_419
; %bb.418:
	buffer_load_dword v87, v85, s[0:3], 0 offen offset:4
	buffer_load_dword v88, off, s[0:3], 0 offset:8
	v_mov_b32_e32 v89, 0
	ds_read_b32 v90, v84 offset:4
	ds_read_b32 v89, v89 offset:184
	s_waitcnt vmcnt(1) lgkmcnt(1)
	v_fmac_f32_e32 v86, v87, v90
	s_waitcnt vmcnt(0) lgkmcnt(0)
	v_fma_f32 v87, v88, v89, v86
	v_cndmask_b32_e64 v86, v86, v87, s[6:7]
.LBB104_419:
	s_or_b64 exec, exec, s[10:11]
	v_mov_b32_e32 v87, 0
	ds_read_b32 v87, v87 offset:12
	s_waitcnt lgkmcnt(0)
	v_mul_f32_e32 v86, v86, v87
	buffer_store_dword v86, off, s[0:3], 0 offset:12
.LBB104_420:
	s_or_b64 exec, exec, s[8:9]
	buffer_load_dword v86, off, s[0:3], 0 offset:16
	v_cmp_gt_u32_e32 vcc, 4, v0
	s_waitcnt vmcnt(0)
	ds_write_b32 v84, v86
	s_waitcnt lgkmcnt(0)
	; wave barrier
	s_waitcnt lgkmcnt(0)
	s_and_saveexec_b64 s[6:7], vcc
	s_cbranch_execz .LBB104_430
; %bb.421:
	s_and_b64 vcc, exec, s[4:5]
	s_cbranch_vccnz .LBB104_423
; %bb.422:
	buffer_load_dword v86, v85, s[0:3], 0 offen
	ds_read_b32 v87, v84
	s_waitcnt vmcnt(0) lgkmcnt(0)
	v_mul_f32_e32 v86, v86, v87
	s_cbranch_execz .LBB104_424
	s_branch .LBB104_425
.LBB104_423:
                                        ; implicit-def: $vgpr86
.LBB104_424:
	ds_read_b32 v86, v84
.LBB104_425:
	v_cmp_ne_u32_e32 vcc, 3, v0
	s_and_saveexec_b64 s[8:9], vcc
	s_cbranch_execz .LBB104_429
; %bb.426:
	v_mov_b32_e32 v88, 0
	v_add_u32_e32 v87, 0xb4, v1
	v_add3_u32 v88, v1, v88, 4
	s_mov_b64 s[10:11], 0
	v_mov_b32_e32 v89, v0
.LBB104_427:                            ; =>This Inner Loop Header: Depth=1
	buffer_load_dword v90, v88, s[0:3], 0 offen
	ds_read_b32 v91, v87
	v_add_u32_e32 v89, 1, v89
	v_cmp_lt_u32_e32 vcc, 2, v89
	v_add_u32_e32 v87, 4, v87
	v_add_u32_e32 v88, 4, v88
	s_or_b64 s[10:11], vcc, s[10:11]
	s_waitcnt vmcnt(0) lgkmcnt(0)
	v_fmac_f32_e32 v86, v90, v91
	s_andn2_b64 exec, exec, s[10:11]
	s_cbranch_execnz .LBB104_427
; %bb.428:
	s_or_b64 exec, exec, s[10:11]
.LBB104_429:
	s_or_b64 exec, exec, s[8:9]
	v_mov_b32_e32 v87, 0
	ds_read_b32 v87, v87 offset:16
	s_waitcnt lgkmcnt(0)
	v_mul_f32_e32 v86, v86, v87
	buffer_store_dword v86, off, s[0:3], 0 offset:16
.LBB104_430:
	s_or_b64 exec, exec, s[6:7]
	buffer_load_dword v86, off, s[0:3], 0 offset:20
	v_cmp_gt_u32_e32 vcc, 5, v0
	s_waitcnt vmcnt(0)
	ds_write_b32 v84, v86
	s_waitcnt lgkmcnt(0)
	; wave barrier
	s_waitcnt lgkmcnt(0)
	s_and_saveexec_b64 s[6:7], vcc
	s_cbranch_execz .LBB104_440
; %bb.431:
	s_and_b64 vcc, exec, s[4:5]
	s_cbranch_vccnz .LBB104_433
; %bb.432:
	buffer_load_dword v86, v85, s[0:3], 0 offen
	ds_read_b32 v87, v84
	s_waitcnt vmcnt(0) lgkmcnt(0)
	v_mul_f32_e32 v86, v86, v87
	s_cbranch_execz .LBB104_434
	s_branch .LBB104_435
.LBB104_433:
                                        ; implicit-def: $vgpr86
.LBB104_434:
	ds_read_b32 v86, v84
.LBB104_435:
	v_cmp_ne_u32_e32 vcc, 4, v0
	s_and_saveexec_b64 s[8:9], vcc
	s_cbranch_execz .LBB104_439
; %bb.436:
	v_mov_b32_e32 v88, 0
	v_add_u32_e32 v87, 0xb4, v1
	v_add3_u32 v88, v1, v88, 4
	s_mov_b64 s[10:11], 0
	v_mov_b32_e32 v89, v0
.LBB104_437:                            ; =>This Inner Loop Header: Depth=1
	buffer_load_dword v90, v88, s[0:3], 0 offen
	ds_read_b32 v91, v87
	v_add_u32_e32 v89, 1, v89
	v_cmp_lt_u32_e32 vcc, 3, v89
	v_add_u32_e32 v87, 4, v87
	v_add_u32_e32 v88, 4, v88
	s_or_b64 s[10:11], vcc, s[10:11]
	s_waitcnt vmcnt(0) lgkmcnt(0)
	v_fmac_f32_e32 v86, v90, v91
	s_andn2_b64 exec, exec, s[10:11]
	s_cbranch_execnz .LBB104_437
; %bb.438:
	s_or_b64 exec, exec, s[10:11]
.LBB104_439:
	s_or_b64 exec, exec, s[8:9]
	v_mov_b32_e32 v87, 0
	ds_read_b32 v87, v87 offset:20
	s_waitcnt lgkmcnt(0)
	v_mul_f32_e32 v86, v86, v87
	buffer_store_dword v86, off, s[0:3], 0 offset:20
.LBB104_440:
	;; [unrolled: 56-line block ×35, first 2 shown]
	s_or_b64 exec, exec, s[6:7]
	buffer_load_dword v86, off, s[0:3], 0 offset:156
	v_cmp_gt_u32_e64 s[6:7], 39, v0
	s_waitcnt vmcnt(0)
	ds_write_b32 v84, v86
	s_waitcnt lgkmcnt(0)
	; wave barrier
	s_waitcnt lgkmcnt(0)
	s_and_saveexec_b64 s[8:9], s[6:7]
	s_cbranch_execz .LBB104_780
; %bb.771:
	s_and_b64 vcc, exec, s[4:5]
	s_cbranch_vccnz .LBB104_773
; %bb.772:
	buffer_load_dword v86, v85, s[0:3], 0 offen
	ds_read_b32 v87, v84
	s_waitcnt vmcnt(0) lgkmcnt(0)
	v_mul_f32_e32 v86, v86, v87
	s_cbranch_execz .LBB104_774
	s_branch .LBB104_775
.LBB104_773:
                                        ; implicit-def: $vgpr86
.LBB104_774:
	ds_read_b32 v86, v84
.LBB104_775:
	v_cmp_ne_u32_e32 vcc, 38, v0
	s_and_saveexec_b64 s[10:11], vcc
	s_cbranch_execz .LBB104_779
; %bb.776:
	v_mov_b32_e32 v88, 0
	v_add_u32_e32 v87, 0xb4, v1
	v_add3_u32 v88, v1, v88, 4
	s_mov_b64 s[12:13], 0
	v_mov_b32_e32 v89, v0
.LBB104_777:                            ; =>This Inner Loop Header: Depth=1
	buffer_load_dword v90, v88, s[0:3], 0 offen
	ds_read_b32 v91, v87
	v_add_u32_e32 v89, 1, v89
	v_cmp_lt_u32_e32 vcc, 37, v89
	v_add_u32_e32 v87, 4, v87
	v_add_u32_e32 v88, 4, v88
	s_or_b64 s[12:13], vcc, s[12:13]
	s_waitcnt vmcnt(0) lgkmcnt(0)
	v_fmac_f32_e32 v86, v90, v91
	s_andn2_b64 exec, exec, s[12:13]
	s_cbranch_execnz .LBB104_777
; %bb.778:
	s_or_b64 exec, exec, s[12:13]
.LBB104_779:
	s_or_b64 exec, exec, s[10:11]
	v_mov_b32_e32 v87, 0
	ds_read_b32 v87, v87 offset:156
	s_waitcnt lgkmcnt(0)
	v_mul_f32_e32 v86, v86, v87
	buffer_store_dword v86, off, s[0:3], 0 offset:156
.LBB104_780:
	s_or_b64 exec, exec, s[8:9]
	buffer_load_dword v86, off, s[0:3], 0 offset:160
	v_cmp_ne_u32_e32 vcc, 40, v0
	s_waitcnt vmcnt(0)
	ds_write_b32 v84, v86
	s_waitcnt lgkmcnt(0)
	; wave barrier
	s_waitcnt lgkmcnt(0)
	s_and_saveexec_b64 s[8:9], vcc
	s_cbranch_execz .LBB104_790
; %bb.781:
	s_and_b64 vcc, exec, s[4:5]
	s_cbranch_vccnz .LBB104_783
; %bb.782:
	buffer_load_dword v85, v85, s[0:3], 0 offen
	ds_read_b32 v86, v84
	s_waitcnt vmcnt(0) lgkmcnt(0)
	v_mul_f32_e32 v85, v85, v86
	s_cbranch_execz .LBB104_784
	s_branch .LBB104_785
.LBB104_783:
                                        ; implicit-def: $vgpr85
.LBB104_784:
	ds_read_b32 v85, v84
.LBB104_785:
	s_and_saveexec_b64 s[4:5], s[6:7]
	s_cbranch_execz .LBB104_789
; %bb.786:
	v_mov_b32_e32 v86, 0
	v_add_u32_e32 v84, 0xb4, v1
	v_add3_u32 v1, v1, v86, 4
	s_mov_b64 s[6:7], 0
.LBB104_787:                            ; =>This Inner Loop Header: Depth=1
	buffer_load_dword v86, v1, s[0:3], 0 offen
	ds_read_b32 v87, v84
	v_add_u32_e32 v0, 1, v0
	v_cmp_lt_u32_e32 vcc, 38, v0
	v_add_u32_e32 v84, 4, v84
	v_add_u32_e32 v1, 4, v1
	s_or_b64 s[6:7], vcc, s[6:7]
	s_waitcnt vmcnt(0) lgkmcnt(0)
	v_fmac_f32_e32 v85, v86, v87
	s_andn2_b64 exec, exec, s[6:7]
	s_cbranch_execnz .LBB104_787
; %bb.788:
	s_or_b64 exec, exec, s[6:7]
.LBB104_789:
	s_or_b64 exec, exec, s[4:5]
	v_mov_b32_e32 v0, 0
	ds_read_b32 v0, v0 offset:160
	s_waitcnt lgkmcnt(0)
	v_mul_f32_e32 v0, v85, v0
	buffer_store_dword v0, off, s[0:3], 0 offset:160
.LBB104_790:
	s_or_b64 exec, exec, s[8:9]
.LBB104_791:
	buffer_load_dword v0, off, s[0:3], 0
	buffer_load_dword v1, off, s[0:3], 0 offset:4
	buffer_load_dword v84, off, s[0:3], 0 offset:8
	;; [unrolled: 1-line block ×40, first 2 shown]
	s_waitcnt vmcnt(40)
	global_store_dword v[78:79], v0, off
	s_waitcnt vmcnt(40)
	global_store_dword v[80:81], v1, off
	;; [unrolled: 2-line block ×41, first 2 shown]
.LBB104_792:
	s_endpgm
	.section	.rodata,"a",@progbits
	.p2align	6, 0x0
	.amdhsa_kernel _ZN9rocsolver6v33100L18trti2_kernel_smallILi41EfPKPfEEv13rocblas_fill_17rocblas_diagonal_T1_iil
		.amdhsa_group_segment_fixed_size 340
		.amdhsa_private_segment_fixed_size 176
		.amdhsa_kernarg_size 32
		.amdhsa_user_sgpr_count 8
		.amdhsa_user_sgpr_private_segment_buffer 1
		.amdhsa_user_sgpr_dispatch_ptr 0
		.amdhsa_user_sgpr_queue_ptr 0
		.amdhsa_user_sgpr_kernarg_segment_ptr 1
		.amdhsa_user_sgpr_dispatch_id 0
		.amdhsa_user_sgpr_flat_scratch_init 1
		.amdhsa_user_sgpr_kernarg_preload_length 0
		.amdhsa_user_sgpr_kernarg_preload_offset 0
		.amdhsa_user_sgpr_private_segment_size 0
		.amdhsa_uses_dynamic_stack 0
		.amdhsa_system_sgpr_private_segment_wavefront_offset 1
		.amdhsa_system_sgpr_workgroup_id_x 1
		.amdhsa_system_sgpr_workgroup_id_y 0
		.amdhsa_system_sgpr_workgroup_id_z 0
		.amdhsa_system_sgpr_workgroup_info 0
		.amdhsa_system_vgpr_workitem_id 0
		.amdhsa_next_free_vgpr 124
		.amdhsa_next_free_sgpr 16
		.amdhsa_accum_offset 124
		.amdhsa_reserve_vcc 1
		.amdhsa_reserve_flat_scratch 0
		.amdhsa_float_round_mode_32 0
		.amdhsa_float_round_mode_16_64 0
		.amdhsa_float_denorm_mode_32 3
		.amdhsa_float_denorm_mode_16_64 3
		.amdhsa_dx10_clamp 1
		.amdhsa_ieee_mode 1
		.amdhsa_fp16_overflow 0
		.amdhsa_tg_split 0
		.amdhsa_exception_fp_ieee_invalid_op 0
		.amdhsa_exception_fp_denorm_src 0
		.amdhsa_exception_fp_ieee_div_zero 0
		.amdhsa_exception_fp_ieee_overflow 0
		.amdhsa_exception_fp_ieee_underflow 0
		.amdhsa_exception_fp_ieee_inexact 0
		.amdhsa_exception_int_div_zero 0
	.end_amdhsa_kernel
	.section	.text._ZN9rocsolver6v33100L18trti2_kernel_smallILi41EfPKPfEEv13rocblas_fill_17rocblas_diagonal_T1_iil,"axG",@progbits,_ZN9rocsolver6v33100L18trti2_kernel_smallILi41EfPKPfEEv13rocblas_fill_17rocblas_diagonal_T1_iil,comdat
.Lfunc_end104:
	.size	_ZN9rocsolver6v33100L18trti2_kernel_smallILi41EfPKPfEEv13rocblas_fill_17rocblas_diagonal_T1_iil, .Lfunc_end104-_ZN9rocsolver6v33100L18trti2_kernel_smallILi41EfPKPfEEv13rocblas_fill_17rocblas_diagonal_T1_iil
                                        ; -- End function
	.section	.AMDGPU.csdata,"",@progbits
; Kernel info:
; codeLenInByte = 19964
; NumSgprs: 20
; NumVgprs: 124
; NumAgprs: 0
; TotalNumVgprs: 124
; ScratchSize: 176
; MemoryBound: 0
; FloatMode: 240
; IeeeMode: 1
; LDSByteSize: 340 bytes/workgroup (compile time only)
; SGPRBlocks: 2
; VGPRBlocks: 15
; NumSGPRsForWavesPerEU: 20
; NumVGPRsForWavesPerEU: 124
; AccumOffset: 124
; Occupancy: 4
; WaveLimiterHint : 1
; COMPUTE_PGM_RSRC2:SCRATCH_EN: 1
; COMPUTE_PGM_RSRC2:USER_SGPR: 8
; COMPUTE_PGM_RSRC2:TRAP_HANDLER: 0
; COMPUTE_PGM_RSRC2:TGID_X_EN: 1
; COMPUTE_PGM_RSRC2:TGID_Y_EN: 0
; COMPUTE_PGM_RSRC2:TGID_Z_EN: 0
; COMPUTE_PGM_RSRC2:TIDIG_COMP_CNT: 0
; COMPUTE_PGM_RSRC3_GFX90A:ACCUM_OFFSET: 30
; COMPUTE_PGM_RSRC3_GFX90A:TG_SPLIT: 0
	.section	.text._ZN9rocsolver6v33100L18trti2_kernel_smallILi42EfPKPfEEv13rocblas_fill_17rocblas_diagonal_T1_iil,"axG",@progbits,_ZN9rocsolver6v33100L18trti2_kernel_smallILi42EfPKPfEEv13rocblas_fill_17rocblas_diagonal_T1_iil,comdat
	.globl	_ZN9rocsolver6v33100L18trti2_kernel_smallILi42EfPKPfEEv13rocblas_fill_17rocblas_diagonal_T1_iil ; -- Begin function _ZN9rocsolver6v33100L18trti2_kernel_smallILi42EfPKPfEEv13rocblas_fill_17rocblas_diagonal_T1_iil
	.p2align	8
	.type	_ZN9rocsolver6v33100L18trti2_kernel_smallILi42EfPKPfEEv13rocblas_fill_17rocblas_diagonal_T1_iil,@function
_ZN9rocsolver6v33100L18trti2_kernel_smallILi42EfPKPfEEv13rocblas_fill_17rocblas_diagonal_T1_iil: ; @_ZN9rocsolver6v33100L18trti2_kernel_smallILi42EfPKPfEEv13rocblas_fill_17rocblas_diagonal_T1_iil
; %bb.0:
	s_add_u32 s0, s0, s9
	s_addc_u32 s1, s1, 0
	v_cmp_gt_u32_e32 vcc, 42, v0
	s_and_saveexec_b64 s[6:7], vcc
	s_cbranch_execz .LBB105_812
; %bb.1:
	s_load_dwordx2 s[6:7], s[4:5], 0x10
	s_load_dwordx4 s[12:15], s[4:5], 0x0
	s_ashr_i32 s9, s8, 31
	s_lshl_b64 s[4:5], s[8:9], 3
	s_waitcnt lgkmcnt(0)
	s_ashr_i32 s9, s6, 31
	s_add_u32 s4, s14, s4
	s_addc_u32 s5, s15, s5
	s_load_dwordx2 s[4:5], s[4:5], 0x0
	s_mov_b32 s8, s6
	s_lshl_b64 s[8:9], s[8:9], 2
	s_waitcnt lgkmcnt(0)
	s_add_u32 s4, s4, s8
	s_addc_u32 s5, s5, s9
	s_add_i32 s6, s7, s7
	v_add_u32_e32 v4, s6, v0
	v_ashrrev_i32_e32 v5, 31, v4
	v_lshlrev_b64 v[2:3], 2, v[4:5]
	v_add_u32_e32 v6, s7, v4
	v_mov_b32_e32 v1, s5
	v_add_co_u32_e32 v2, vcc, s4, v2
	v_ashrrev_i32_e32 v7, 31, v6
	v_addc_co_u32_e32 v3, vcc, v1, v3, vcc
	v_lshlrev_b64 v[4:5], 2, v[6:7]
	v_add_u32_e32 v8, s7, v6
	v_add_co_u32_e32 v4, vcc, s4, v4
	v_ashrrev_i32_e32 v9, 31, v8
	v_addc_co_u32_e32 v5, vcc, v1, v5, vcc
	v_lshlrev_b64 v[6:7], 2, v[8:9]
	v_add_u32_e32 v10, s7, v8
	;; [unrolled: 5-line block ×31, first 2 shown]
	v_add_co_u32_e32 v64, vcc, s4, v64
	v_ashrrev_i32_e32 v69, 31, v68
	v_addc_co_u32_e32 v65, vcc, v1, v65, vcc
	v_lshlrev_b64 v[66:67], 2, v[68:69]
	v_mov_b32_e32 v70, s5
	v_add_co_u32_e32 v66, vcc, s4, v66
	v_addc_co_u32_e32 v67, vcc, v70, v67, vcc
	v_add_u32_e32 v70, s7, v68
	v_ashrrev_i32_e32 v71, 31, v70
	v_lshlrev_b64 v[68:69], 2, v[70:71]
	v_mov_b32_e32 v72, s5
	v_add_co_u32_e32 v68, vcc, s4, v68
	v_lshlrev_b32_e32 v1, 2, v0
	v_addc_co_u32_e32 v69, vcc, v72, v69, vcc
	v_add_u32_e32 v72, s7, v70
	v_mov_b32_e32 v70, s5
	v_add_co_u32_e32 v80, vcc, s4, v1
	s_ashr_i32 s9, s7, 31
	s_mov_b32 s8, s7
	v_addc_co_u32_e32 v81, vcc, 0, v70, vcc
	s_lshl_b64 s[8:9], s[8:9], 2
	v_mov_b32_e32 v70, s9
	v_add_co_u32_e32 v82, vcc, s8, v80
	global_load_dword v86, v1, s[4:5]
	v_addc_co_u32_e32 v83, vcc, v81, v70, vcc
	global_load_dword v87, v[82:83], off
	global_load_dword v88, v[2:3], off
	;; [unrolled: 1-line block ×3, first 2 shown]
	v_ashrrev_i32_e32 v73, 31, v72
	v_lshlrev_b64 v[70:71], 2, v[72:73]
	v_mov_b32_e32 v74, s5
	v_add_co_u32_e32 v70, vcc, s4, v70
	v_addc_co_u32_e32 v71, vcc, v74, v71, vcc
	v_add_u32_e32 v74, s7, v72
	v_ashrrev_i32_e32 v75, 31, v74
	v_lshlrev_b64 v[72:73], 2, v[74:75]
	v_mov_b32_e32 v76, s5
	v_add_co_u32_e32 v72, vcc, s4, v72
	v_addc_co_u32_e32 v73, vcc, v76, v73, vcc
	v_add_u32_e32 v76, s7, v74
	;; [unrolled: 6-line block ×4, first 2 shown]
	v_ashrrev_i32_e32 v85, 31, v84
	v_lshlrev_b64 v[78:79], 2, v[84:85]
	v_add_u32_e32 v84, s7, v84
	v_mov_b32_e32 v90, s5
	v_add_co_u32_e32 v78, vcc, s4, v78
	v_ashrrev_i32_e32 v85, 31, v84
	v_addc_co_u32_e32 v79, vcc, v90, v79, vcc
	v_lshlrev_b64 v[84:85], 2, v[84:85]
	v_add_co_u32_e32 v84, vcc, s4, v84
	v_addc_co_u32_e32 v85, vcc, v90, v85, vcc
	global_load_dword v90, v[84:85], off
	s_cmpk_lg_i32 s13, 0x84
	s_cselect_b64 s[8:9], -1, 0
	s_cmpk_eq_i32 s13, 0x84
	s_waitcnt vmcnt(4)
	buffer_store_dword v86, off, s[0:3], 0
	global_load_dword v86, v[6:7], off
	s_nop 0
	global_load_dword v91, v[8:9], off
	global_load_dword v92, v[10:11], off
	;; [unrolled: 1-line block ×28, first 2 shown]
	s_waitcnt vmcnt(33)
	buffer_store_dword v87, off, s[0:3], 0 offset:4
	s_waitcnt vmcnt(33)
	buffer_store_dword v88, off, s[0:3], 0 offset:8
	global_load_dword v87, v[64:65], off
	s_nop 0
	global_load_dword v88, v[78:79], off
	global_load_dword v119, v[74:75], off
	;; [unrolled: 1-line block ×6, first 2 shown]
	s_waitcnt vmcnt(40)
	buffer_store_dword v89, off, s[0:3], 0 offset:12
	global_load_dword v89, v[76:77], off
	s_waitcnt vmcnt(39)
	buffer_store_dword v86, off, s[0:3], 0 offset:16
	s_waitcnt vmcnt(39)
	buffer_store_dword v91, off, s[0:3], 0 offset:20
	;; [unrolled: 2-line block ×8, first 2 shown]
	buffer_store_dword v96, off, s[0:3], 0 offset:48
	buffer_store_dword v97, off, s[0:3], 0 offset:52
	;; [unrolled: 1-line block ×5, first 2 shown]
	s_waitcnt vmcnt(39)
	buffer_store_dword v103, off, s[0:3], 0 offset:68
	s_waitcnt vmcnt(39)
	buffer_store_dword v104, off, s[0:3], 0 offset:72
	;; [unrolled: 2-line block ×5, first 2 shown]
	buffer_store_dword v107, off, s[0:3], 0 offset:92
	buffer_store_dword v108, off, s[0:3], 0 offset:88
	s_waitcnt vmcnt(38)
	buffer_store_dword v111, off, s[0:3], 0 offset:100
	buffer_store_dword v106, off, s[0:3], 0 offset:96
	s_waitcnt vmcnt(34)
	buffer_store_dword v117, off, s[0:3], 0 offset:108
	s_waitcnt vmcnt(34)
	buffer_store_dword v118, off, s[0:3], 0 offset:104
	buffer_store_dword v115, off, s[0:3], 0 offset:116
	;; [unrolled: 1-line block ×5, first 2 shown]
	s_waitcnt vmcnt(36)
	buffer_store_dword v87, off, s[0:3], 0 offset:132
	buffer_store_dword v112, off, s[0:3], 0 offset:128
	s_waitcnt vmcnt(34)
	buffer_store_dword v121, off, s[0:3], 0 offset:140
	s_waitcnt vmcnt(34)
	;; [unrolled: 2-line block ×3, first 2 shown]
	buffer_store_dword v123, off, s[0:3], 0 offset:148
	buffer_store_dword v120, off, s[0:3], 0 offset:144
	s_waitcnt vmcnt(34)
	buffer_store_dword v89, off, s[0:3], 0 offset:156
	buffer_store_dword v119, off, s[0:3], 0 offset:152
	;; [unrolled: 1-line block ×4, first 2 shown]
	v_mov_b32_e32 v106, 0
	v_mov_b32_e32 v86, -1.0
	s_cbranch_scc1 .LBB105_3
; %bb.2:
	v_lshl_add_u32 v86, v0, 2, v106
	buffer_load_dword v87, v86, s[0:3], 0 offen
	s_waitcnt vmcnt(0)
	v_div_scale_f32 v88, s[4:5], v87, v87, 1.0
	v_rcp_f32_e32 v89, v88
	v_div_scale_f32 v90, vcc, 1.0, v87, 1.0
	v_fma_f32 v91, -v88, v89, 1.0
	v_fmac_f32_e32 v89, v91, v89
	v_mul_f32_e32 v91, v90, v89
	v_fma_f32 v92, -v88, v91, v90
	v_fmac_f32_e32 v91, v92, v89
	v_fma_f32 v88, -v88, v91, v90
	v_div_fmas_f32 v88, v88, v89, v91
	v_div_fixup_f32 v87, v88, v87, 1.0
	buffer_store_dword v87, v86, s[0:3], 0 offen
	v_xor_b32_e32 v86, 0x80000000, v87
.LBB105_3:
	ds_write_b32 v1, v86
	s_cmpk_eq_i32 s12, 0x79
	v_add_u32_e32 v86, 0xb0, v1
	v_add_u32_e32 v87, 0, v1
	s_mov_b64 s[4:5], -1
	s_cbranch_scc1 .LBB105_407
; %bb.4:
	buffer_load_dword v88, off, s[0:3], 0 offset:160
	v_cmp_eq_u32_e64 s[4:5], 41, v0
	s_waitcnt vmcnt(0)
	ds_write_b32 v86, v88
	s_waitcnt lgkmcnt(0)
	; wave barrier
	s_waitcnt lgkmcnt(0)
	s_and_saveexec_b64 s[6:7], s[4:5]
	s_cbranch_execz .LBB105_10
; %bb.5:
	s_and_b64 vcc, exec, s[8:9]
	s_cbranch_vccz .LBB105_7
; %bb.6:
	buffer_load_dword v88, v87, s[0:3], 0 offen
	ds_read_b32 v89, v86
	s_waitcnt vmcnt(0) lgkmcnt(0)
	v_mul_f32_e32 v88, v88, v89
	s_cbranch_execz .LBB105_8
	s_branch .LBB105_9
.LBB105_7:
                                        ; implicit-def: $vgpr88
.LBB105_8:
	ds_read_b32 v88, v86
.LBB105_9:
	v_mov_b32_e32 v89, 0
	ds_read_b32 v89, v89 offset:160
	s_waitcnt lgkmcnt(0)
	v_mul_f32_e32 v88, v88, v89
	buffer_store_dword v88, off, s[0:3], 0 offset:160
.LBB105_10:
	s_or_b64 exec, exec, s[6:7]
	buffer_load_dword v107, off, s[0:3], 0 offset:156
	v_or_b32_e32 v88, 8, v106
	v_add_u32_e32 v89, 16, v106
	v_add_u32_e32 v90, 24, v106
	;; [unrolled: 1-line block ×18, first 2 shown]
	v_cmp_lt_u32_e64 s[6:7], 39, v0
	s_waitcnt vmcnt(0)
	ds_write_b32 v86, v107
	s_waitcnt lgkmcnt(0)
	; wave barrier
	s_waitcnt lgkmcnt(0)
	s_and_saveexec_b64 s[10:11], s[6:7]
	s_cbranch_execz .LBB105_16
; %bb.11:
	s_andn2_b64 vcc, exec, s[8:9]
	s_cbranch_vccnz .LBB105_13
; %bb.12:
	buffer_load_dword v107, v87, s[0:3], 0 offen
	ds_read_b32 v108, v86
	s_waitcnt vmcnt(0) lgkmcnt(0)
	v_mul_f32_e32 v107, v107, v108
	s_cbranch_execz .LBB105_14
	s_branch .LBB105_15
.LBB105_13:
                                        ; implicit-def: $vgpr107
.LBB105_14:
	ds_read_b32 v107, v86
.LBB105_15:
	buffer_load_dword v110, off, s[0:3], 0 offset:160
	v_mov_b32_e32 v108, 0
	ds_read2_b32 v[108:109], v108 offset0:39 offset1:84
	s_waitcnt vmcnt(0) lgkmcnt(0)
	v_fma_f32 v109, v110, v109, v107
	v_cndmask_b32_e64 v107, v107, v109, s[4:5]
	v_mul_f32_e32 v107, v107, v108
	buffer_store_dword v107, off, s[0:3], 0 offset:156
.LBB105_16:
	s_or_b64 exec, exec, s[10:11]
	buffer_load_dword v107, off, s[0:3], 0 offset:152
	v_cmp_lt_u32_e64 s[4:5], 38, v0
	s_waitcnt vmcnt(0)
	ds_write_b32 v86, v107
	s_waitcnt lgkmcnt(0)
	; wave barrier
	s_waitcnt lgkmcnt(0)
	s_and_saveexec_b64 s[10:11], s[4:5]
	s_cbranch_execz .LBB105_26
; %bb.17:
	s_andn2_b64 vcc, exec, s[8:9]
	s_cbranch_vccnz .LBB105_19
; %bb.18:
	buffer_load_dword v107, v87, s[0:3], 0 offen
	ds_read_b32 v108, v86
	s_waitcnt vmcnt(0) lgkmcnt(0)
	v_mul_f32_e32 v107, v107, v108
	s_cbranch_execz .LBB105_20
	s_branch .LBB105_21
.LBB105_19:
                                        ; implicit-def: $vgpr107
.LBB105_20:
	ds_read_b32 v107, v86
.LBB105_21:
	s_and_saveexec_b64 s[12:13], s[6:7]
	s_cbranch_execz .LBB105_25
; %bb.22:
	v_mov_b32_e32 v108, 0
	v_add_u32_e32 v108, 0x9c, v108
	v_subrev_u32_e32 v109, 39, v0
	s_movk_i32 s14, 0x14c
	s_mov_b64 s[6:7], 0
.LBB105_23:                             ; =>This Inner Loop Header: Depth=1
	buffer_load_dword v110, v108, s[0:3], 0 offen
	v_mov_b32_e32 v111, s14
	ds_read_b32 v111, v111
	v_add_u32_e32 v109, -1, v109
	s_add_i32 s14, s14, 4
	v_cmp_eq_u32_e32 vcc, 0, v109
	v_add_u32_e32 v108, 4, v108
	s_or_b64 s[6:7], vcc, s[6:7]
	s_waitcnt vmcnt(0) lgkmcnt(0)
	v_fmac_f32_e32 v107, v110, v111
	s_andn2_b64 exec, exec, s[6:7]
	s_cbranch_execnz .LBB105_23
; %bb.24:
	s_or_b64 exec, exec, s[6:7]
.LBB105_25:
	s_or_b64 exec, exec, s[12:13]
	v_mov_b32_e32 v108, 0
	ds_read_b32 v108, v108 offset:152
	s_waitcnt lgkmcnt(0)
	v_mul_f32_e32 v107, v107, v108
	buffer_store_dword v107, off, s[0:3], 0 offset:152
.LBB105_26:
	s_or_b64 exec, exec, s[10:11]
	buffer_load_dword v107, off, s[0:3], 0 offset:148
	v_cmp_lt_u32_e64 s[6:7], 37, v0
	s_waitcnt vmcnt(0)
	ds_write_b32 v86, v107
	s_waitcnt lgkmcnt(0)
	; wave barrier
	s_waitcnt lgkmcnt(0)
	s_and_saveexec_b64 s[10:11], s[6:7]
	s_cbranch_execz .LBB105_36
; %bb.27:
	s_andn2_b64 vcc, exec, s[8:9]
	s_cbranch_vccnz .LBB105_29
; %bb.28:
	buffer_load_dword v107, v87, s[0:3], 0 offen
	ds_read_b32 v108, v86
	s_waitcnt vmcnt(0) lgkmcnt(0)
	v_mul_f32_e32 v107, v107, v108
	s_cbranch_execz .LBB105_30
	s_branch .LBB105_31
.LBB105_29:
                                        ; implicit-def: $vgpr107
.LBB105_30:
	ds_read_b32 v107, v86
.LBB105_31:
	s_and_saveexec_b64 s[12:13], s[4:5]
	s_cbranch_execz .LBB105_35
; %bb.32:
	v_subrev_u32_e32 v108, 38, v0
	s_movk_i32 s14, 0x148
	s_mov_b64 s[4:5], 0
.LBB105_33:                             ; =>This Inner Loop Header: Depth=1
	buffer_load_dword v109, v106, s[0:3], 0 offen
	v_mov_b32_e32 v110, s14
	ds_read_b32 v110, v110
	v_add_u32_e32 v108, -1, v108
	s_add_i32 s14, s14, 4
	v_cmp_eq_u32_e32 vcc, 0, v108
	v_add_u32_e32 v106, 4, v106
	s_or_b64 s[4:5], vcc, s[4:5]
	s_waitcnt vmcnt(0) lgkmcnt(0)
	v_fmac_f32_e32 v107, v109, v110
	s_andn2_b64 exec, exec, s[4:5]
	s_cbranch_execnz .LBB105_33
; %bb.34:
	s_or_b64 exec, exec, s[4:5]
.LBB105_35:
	s_or_b64 exec, exec, s[12:13]
	v_mov_b32_e32 v106, 0
	ds_read_b32 v106, v106 offset:148
	s_waitcnt lgkmcnt(0)
	v_mul_f32_e32 v106, v107, v106
	buffer_store_dword v106, off, s[0:3], 0 offset:148
.LBB105_36:
	s_or_b64 exec, exec, s[10:11]
	buffer_load_dword v106, off, s[0:3], 0 offset:144
	v_cmp_lt_u32_e64 s[4:5], 36, v0
	s_waitcnt vmcnt(0)
	ds_write_b32 v86, v106
	s_waitcnt lgkmcnt(0)
	; wave barrier
	s_waitcnt lgkmcnt(0)
	s_and_saveexec_b64 s[10:11], s[4:5]
	s_cbranch_execz .LBB105_46
; %bb.37:
	s_andn2_b64 vcc, exec, s[8:9]
	s_cbranch_vccnz .LBB105_39
; %bb.38:
	buffer_load_dword v106, v87, s[0:3], 0 offen
	ds_read_b32 v107, v86
	s_waitcnt vmcnt(0) lgkmcnt(0)
	v_mul_f32_e32 v106, v106, v107
	s_cbranch_execz .LBB105_40
	s_branch .LBB105_41
.LBB105_39:
                                        ; implicit-def: $vgpr106
.LBB105_40:
	ds_read_b32 v106, v86
.LBB105_41:
	s_and_saveexec_b64 s[12:13], s[6:7]
	s_cbranch_execz .LBB105_45
; %bb.42:
	v_mov_b32_e32 v107, 0
	v_add_u32_e32 v107, 0x94, v107
	v_subrev_u32_e32 v108, 37, v0
	s_movk_i32 s14, 0x144
	s_mov_b64 s[6:7], 0
.LBB105_43:                             ; =>This Inner Loop Header: Depth=1
	buffer_load_dword v109, v107, s[0:3], 0 offen
	v_mov_b32_e32 v110, s14
	ds_read_b32 v110, v110
	v_add_u32_e32 v108, -1, v108
	s_add_i32 s14, s14, 4
	v_cmp_eq_u32_e32 vcc, 0, v108
	v_add_u32_e32 v107, 4, v107
	s_or_b64 s[6:7], vcc, s[6:7]
	s_waitcnt vmcnt(0) lgkmcnt(0)
	v_fmac_f32_e32 v106, v109, v110
	s_andn2_b64 exec, exec, s[6:7]
	s_cbranch_execnz .LBB105_43
; %bb.44:
	s_or_b64 exec, exec, s[6:7]
.LBB105_45:
	s_or_b64 exec, exec, s[12:13]
	v_mov_b32_e32 v107, 0
	ds_read_b32 v107, v107 offset:144
	s_waitcnt lgkmcnt(0)
	v_mul_f32_e32 v106, v106, v107
	buffer_store_dword v106, off, s[0:3], 0 offset:144
.LBB105_46:
	s_or_b64 exec, exec, s[10:11]
	buffer_load_dword v106, off, s[0:3], 0 offset:140
	v_cmp_lt_u32_e64 s[6:7], 35, v0
	s_waitcnt vmcnt(0)
	ds_write_b32 v86, v106
	s_waitcnt lgkmcnt(0)
	; wave barrier
	s_waitcnt lgkmcnt(0)
	s_and_saveexec_b64 s[10:11], s[6:7]
	s_cbranch_execz .LBB105_56
; %bb.47:
	s_andn2_b64 vcc, exec, s[8:9]
	s_cbranch_vccnz .LBB105_49
; %bb.48:
	buffer_load_dword v106, v87, s[0:3], 0 offen
	ds_read_b32 v107, v86
	s_waitcnt vmcnt(0) lgkmcnt(0)
	v_mul_f32_e32 v106, v106, v107
	s_cbranch_execz .LBB105_50
	s_branch .LBB105_51
.LBB105_49:
                                        ; implicit-def: $vgpr106
.LBB105_50:
	ds_read_b32 v106, v86
.LBB105_51:
	s_and_saveexec_b64 s[12:13], s[4:5]
	s_cbranch_execz .LBB105_55
; %bb.52:
	v_subrev_u32_e32 v107, 36, v0
	s_movk_i32 s14, 0x140
	s_mov_b64 s[4:5], 0
.LBB105_53:                             ; =>This Inner Loop Header: Depth=1
	buffer_load_dword v108, v105, s[0:3], 0 offen
	v_mov_b32_e32 v109, s14
	ds_read_b32 v109, v109
	v_add_u32_e32 v107, -1, v107
	s_add_i32 s14, s14, 4
	v_cmp_eq_u32_e32 vcc, 0, v107
	v_add_u32_e32 v105, 4, v105
	s_or_b64 s[4:5], vcc, s[4:5]
	s_waitcnt vmcnt(0) lgkmcnt(0)
	v_fmac_f32_e32 v106, v108, v109
	s_andn2_b64 exec, exec, s[4:5]
	s_cbranch_execnz .LBB105_53
; %bb.54:
	s_or_b64 exec, exec, s[4:5]
.LBB105_55:
	s_or_b64 exec, exec, s[12:13]
	v_mov_b32_e32 v105, 0
	ds_read_b32 v105, v105 offset:140
	s_waitcnt lgkmcnt(0)
	v_mul_f32_e32 v105, v106, v105
	buffer_store_dword v105, off, s[0:3], 0 offset:140
.LBB105_56:
	s_or_b64 exec, exec, s[10:11]
	buffer_load_dword v105, off, s[0:3], 0 offset:136
	v_cmp_lt_u32_e64 s[4:5], 34, v0
	s_waitcnt vmcnt(0)
	ds_write_b32 v86, v105
	s_waitcnt lgkmcnt(0)
	; wave barrier
	s_waitcnt lgkmcnt(0)
	s_and_saveexec_b64 s[10:11], s[4:5]
	s_cbranch_execz .LBB105_66
; %bb.57:
	s_andn2_b64 vcc, exec, s[8:9]
	s_cbranch_vccnz .LBB105_59
; %bb.58:
	buffer_load_dword v105, v87, s[0:3], 0 offen
	ds_read_b32 v106, v86
	s_waitcnt vmcnt(0) lgkmcnt(0)
	v_mul_f32_e32 v105, v105, v106
	s_cbranch_execz .LBB105_60
	s_branch .LBB105_61
.LBB105_59:
                                        ; implicit-def: $vgpr105
.LBB105_60:
	ds_read_b32 v105, v86
.LBB105_61:
	s_and_saveexec_b64 s[12:13], s[6:7]
	s_cbranch_execz .LBB105_65
; %bb.62:
	v_mov_b32_e32 v106, 0
	v_add_u32_e32 v106, 0x8c, v106
	v_subrev_u32_e32 v107, 35, v0
	s_movk_i32 s14, 0x13c
	s_mov_b64 s[6:7], 0
.LBB105_63:                             ; =>This Inner Loop Header: Depth=1
	buffer_load_dword v108, v106, s[0:3], 0 offen
	v_mov_b32_e32 v109, s14
	ds_read_b32 v109, v109
	v_add_u32_e32 v107, -1, v107
	s_add_i32 s14, s14, 4
	v_cmp_eq_u32_e32 vcc, 0, v107
	v_add_u32_e32 v106, 4, v106
	s_or_b64 s[6:7], vcc, s[6:7]
	s_waitcnt vmcnt(0) lgkmcnt(0)
	v_fmac_f32_e32 v105, v108, v109
	s_andn2_b64 exec, exec, s[6:7]
	s_cbranch_execnz .LBB105_63
; %bb.64:
	s_or_b64 exec, exec, s[6:7]
.LBB105_65:
	s_or_b64 exec, exec, s[12:13]
	v_mov_b32_e32 v106, 0
	ds_read_b32 v106, v106 offset:136
	s_waitcnt lgkmcnt(0)
	v_mul_f32_e32 v105, v105, v106
	buffer_store_dword v105, off, s[0:3], 0 offset:136
.LBB105_66:
	s_or_b64 exec, exec, s[10:11]
	buffer_load_dword v105, off, s[0:3], 0 offset:132
	v_cmp_lt_u32_e64 s[6:7], 33, v0
	s_waitcnt vmcnt(0)
	ds_write_b32 v86, v105
	s_waitcnt lgkmcnt(0)
	; wave barrier
	s_waitcnt lgkmcnt(0)
	s_and_saveexec_b64 s[10:11], s[6:7]
	s_cbranch_execz .LBB105_76
; %bb.67:
	s_andn2_b64 vcc, exec, s[8:9]
	s_cbranch_vccnz .LBB105_69
; %bb.68:
	buffer_load_dword v105, v87, s[0:3], 0 offen
	ds_read_b32 v106, v86
	s_waitcnt vmcnt(0) lgkmcnt(0)
	v_mul_f32_e32 v105, v105, v106
	s_cbranch_execz .LBB105_70
	s_branch .LBB105_71
.LBB105_69:
                                        ; implicit-def: $vgpr105
.LBB105_70:
	ds_read_b32 v105, v86
.LBB105_71:
	s_and_saveexec_b64 s[12:13], s[4:5]
	s_cbranch_execz .LBB105_75
; %bb.72:
	v_subrev_u32_e32 v106, 34, v0
	s_movk_i32 s14, 0x138
	s_mov_b64 s[4:5], 0
.LBB105_73:                             ; =>This Inner Loop Header: Depth=1
	buffer_load_dword v107, v104, s[0:3], 0 offen
	v_mov_b32_e32 v108, s14
	ds_read_b32 v108, v108
	v_add_u32_e32 v106, -1, v106
	s_add_i32 s14, s14, 4
	v_cmp_eq_u32_e32 vcc, 0, v106
	v_add_u32_e32 v104, 4, v104
	s_or_b64 s[4:5], vcc, s[4:5]
	s_waitcnt vmcnt(0) lgkmcnt(0)
	v_fmac_f32_e32 v105, v107, v108
	s_andn2_b64 exec, exec, s[4:5]
	s_cbranch_execnz .LBB105_73
; %bb.74:
	s_or_b64 exec, exec, s[4:5]
.LBB105_75:
	s_or_b64 exec, exec, s[12:13]
	v_mov_b32_e32 v104, 0
	ds_read_b32 v104, v104 offset:132
	s_waitcnt lgkmcnt(0)
	v_mul_f32_e32 v104, v105, v104
	buffer_store_dword v104, off, s[0:3], 0 offset:132
.LBB105_76:
	s_or_b64 exec, exec, s[10:11]
	buffer_load_dword v104, off, s[0:3], 0 offset:128
	v_cmp_lt_u32_e64 s[4:5], 32, v0
	s_waitcnt vmcnt(0)
	ds_write_b32 v86, v104
	s_waitcnt lgkmcnt(0)
	; wave barrier
	s_waitcnt lgkmcnt(0)
	s_and_saveexec_b64 s[10:11], s[4:5]
	s_cbranch_execz .LBB105_86
; %bb.77:
	s_andn2_b64 vcc, exec, s[8:9]
	s_cbranch_vccnz .LBB105_79
; %bb.78:
	buffer_load_dword v104, v87, s[0:3], 0 offen
	ds_read_b32 v105, v86
	s_waitcnt vmcnt(0) lgkmcnt(0)
	v_mul_f32_e32 v104, v104, v105
	s_cbranch_execz .LBB105_80
	s_branch .LBB105_81
.LBB105_79:
                                        ; implicit-def: $vgpr104
.LBB105_80:
	ds_read_b32 v104, v86
.LBB105_81:
	s_and_saveexec_b64 s[12:13], s[6:7]
	s_cbranch_execz .LBB105_85
; %bb.82:
	v_mov_b32_e32 v105, 0
	v_add_u32_e32 v105, 0x84, v105
	v_subrev_u32_e32 v106, 33, v0
	s_movk_i32 s14, 0x134
	s_mov_b64 s[6:7], 0
.LBB105_83:                             ; =>This Inner Loop Header: Depth=1
	buffer_load_dword v107, v105, s[0:3], 0 offen
	v_mov_b32_e32 v108, s14
	ds_read_b32 v108, v108
	v_add_u32_e32 v106, -1, v106
	s_add_i32 s14, s14, 4
	v_cmp_eq_u32_e32 vcc, 0, v106
	v_add_u32_e32 v105, 4, v105
	s_or_b64 s[6:7], vcc, s[6:7]
	s_waitcnt vmcnt(0) lgkmcnt(0)
	v_fmac_f32_e32 v104, v107, v108
	s_andn2_b64 exec, exec, s[6:7]
	s_cbranch_execnz .LBB105_83
; %bb.84:
	s_or_b64 exec, exec, s[6:7]
.LBB105_85:
	s_or_b64 exec, exec, s[12:13]
	v_mov_b32_e32 v105, 0
	ds_read_b32 v105, v105 offset:128
	s_waitcnt lgkmcnt(0)
	v_mul_f32_e32 v104, v104, v105
	buffer_store_dword v104, off, s[0:3], 0 offset:128
.LBB105_86:
	s_or_b64 exec, exec, s[10:11]
	buffer_load_dword v104, off, s[0:3], 0 offset:124
	v_cmp_lt_u32_e64 s[6:7], 31, v0
	s_waitcnt vmcnt(0)
	ds_write_b32 v86, v104
	s_waitcnt lgkmcnt(0)
	; wave barrier
	s_waitcnt lgkmcnt(0)
	s_and_saveexec_b64 s[10:11], s[6:7]
	s_cbranch_execz .LBB105_96
; %bb.87:
	s_andn2_b64 vcc, exec, s[8:9]
	s_cbranch_vccnz .LBB105_89
; %bb.88:
	buffer_load_dword v104, v87, s[0:3], 0 offen
	ds_read_b32 v105, v86
	s_waitcnt vmcnt(0) lgkmcnt(0)
	v_mul_f32_e32 v104, v104, v105
	s_cbranch_execz .LBB105_90
	s_branch .LBB105_91
.LBB105_89:
                                        ; implicit-def: $vgpr104
.LBB105_90:
	ds_read_b32 v104, v86
.LBB105_91:
	s_and_saveexec_b64 s[12:13], s[4:5]
	s_cbranch_execz .LBB105_95
; %bb.92:
	v_subrev_u32_e32 v105, 32, v0
	s_movk_i32 s14, 0x130
	s_mov_b64 s[4:5], 0
.LBB105_93:                             ; =>This Inner Loop Header: Depth=1
	buffer_load_dword v106, v103, s[0:3], 0 offen
	v_mov_b32_e32 v107, s14
	ds_read_b32 v107, v107
	v_add_u32_e32 v105, -1, v105
	s_add_i32 s14, s14, 4
	v_cmp_eq_u32_e32 vcc, 0, v105
	v_add_u32_e32 v103, 4, v103
	s_or_b64 s[4:5], vcc, s[4:5]
	s_waitcnt vmcnt(0) lgkmcnt(0)
	v_fmac_f32_e32 v104, v106, v107
	s_andn2_b64 exec, exec, s[4:5]
	s_cbranch_execnz .LBB105_93
; %bb.94:
	s_or_b64 exec, exec, s[4:5]
.LBB105_95:
	s_or_b64 exec, exec, s[12:13]
	v_mov_b32_e32 v103, 0
	ds_read_b32 v103, v103 offset:124
	s_waitcnt lgkmcnt(0)
	v_mul_f32_e32 v103, v104, v103
	buffer_store_dword v103, off, s[0:3], 0 offset:124
.LBB105_96:
	s_or_b64 exec, exec, s[10:11]
	buffer_load_dword v103, off, s[0:3], 0 offset:120
	v_cmp_lt_u32_e64 s[4:5], 30, v0
	s_waitcnt vmcnt(0)
	ds_write_b32 v86, v103
	s_waitcnt lgkmcnt(0)
	; wave barrier
	s_waitcnt lgkmcnt(0)
	s_and_saveexec_b64 s[10:11], s[4:5]
	s_cbranch_execz .LBB105_106
; %bb.97:
	s_andn2_b64 vcc, exec, s[8:9]
	s_cbranch_vccnz .LBB105_99
; %bb.98:
	buffer_load_dword v103, v87, s[0:3], 0 offen
	ds_read_b32 v104, v86
	s_waitcnt vmcnt(0) lgkmcnt(0)
	v_mul_f32_e32 v103, v103, v104
	s_cbranch_execz .LBB105_100
	s_branch .LBB105_101
.LBB105_99:
                                        ; implicit-def: $vgpr103
.LBB105_100:
	ds_read_b32 v103, v86
.LBB105_101:
	s_and_saveexec_b64 s[12:13], s[6:7]
	s_cbranch_execz .LBB105_105
; %bb.102:
	v_mov_b32_e32 v104, 0
	v_add_u32_e32 v104, 0x7c, v104
	v_subrev_u32_e32 v105, 31, v0
	s_movk_i32 s14, 0x12c
	s_mov_b64 s[6:7], 0
.LBB105_103:                            ; =>This Inner Loop Header: Depth=1
	buffer_load_dword v106, v104, s[0:3], 0 offen
	v_mov_b32_e32 v107, s14
	ds_read_b32 v107, v107
	v_add_u32_e32 v105, -1, v105
	s_add_i32 s14, s14, 4
	v_cmp_eq_u32_e32 vcc, 0, v105
	v_add_u32_e32 v104, 4, v104
	s_or_b64 s[6:7], vcc, s[6:7]
	s_waitcnt vmcnt(0) lgkmcnt(0)
	v_fmac_f32_e32 v103, v106, v107
	s_andn2_b64 exec, exec, s[6:7]
	s_cbranch_execnz .LBB105_103
; %bb.104:
	s_or_b64 exec, exec, s[6:7]
.LBB105_105:
	s_or_b64 exec, exec, s[12:13]
	v_mov_b32_e32 v104, 0
	ds_read_b32 v104, v104 offset:120
	s_waitcnt lgkmcnt(0)
	v_mul_f32_e32 v103, v103, v104
	buffer_store_dword v103, off, s[0:3], 0 offset:120
.LBB105_106:
	s_or_b64 exec, exec, s[10:11]
	buffer_load_dword v103, off, s[0:3], 0 offset:116
	v_cmp_lt_u32_e64 s[6:7], 29, v0
	s_waitcnt vmcnt(0)
	ds_write_b32 v86, v103
	s_waitcnt lgkmcnt(0)
	; wave barrier
	s_waitcnt lgkmcnt(0)
	s_and_saveexec_b64 s[10:11], s[6:7]
	s_cbranch_execz .LBB105_116
; %bb.107:
	s_andn2_b64 vcc, exec, s[8:9]
	s_cbranch_vccnz .LBB105_109
; %bb.108:
	buffer_load_dword v103, v87, s[0:3], 0 offen
	ds_read_b32 v104, v86
	s_waitcnt vmcnt(0) lgkmcnt(0)
	v_mul_f32_e32 v103, v103, v104
	s_cbranch_execz .LBB105_110
	s_branch .LBB105_111
.LBB105_109:
                                        ; implicit-def: $vgpr103
.LBB105_110:
	ds_read_b32 v103, v86
.LBB105_111:
	s_and_saveexec_b64 s[12:13], s[4:5]
	s_cbranch_execz .LBB105_115
; %bb.112:
	v_subrev_u32_e32 v104, 30, v0
	s_movk_i32 s14, 0x128
	s_mov_b64 s[4:5], 0
.LBB105_113:                            ; =>This Inner Loop Header: Depth=1
	buffer_load_dword v105, v102, s[0:3], 0 offen
	v_mov_b32_e32 v106, s14
	ds_read_b32 v106, v106
	v_add_u32_e32 v104, -1, v104
	s_add_i32 s14, s14, 4
	v_cmp_eq_u32_e32 vcc, 0, v104
	v_add_u32_e32 v102, 4, v102
	s_or_b64 s[4:5], vcc, s[4:5]
	s_waitcnt vmcnt(0) lgkmcnt(0)
	v_fmac_f32_e32 v103, v105, v106
	s_andn2_b64 exec, exec, s[4:5]
	s_cbranch_execnz .LBB105_113
; %bb.114:
	s_or_b64 exec, exec, s[4:5]
.LBB105_115:
	s_or_b64 exec, exec, s[12:13]
	v_mov_b32_e32 v102, 0
	ds_read_b32 v102, v102 offset:116
	s_waitcnt lgkmcnt(0)
	v_mul_f32_e32 v102, v103, v102
	buffer_store_dword v102, off, s[0:3], 0 offset:116
.LBB105_116:
	s_or_b64 exec, exec, s[10:11]
	buffer_load_dword v102, off, s[0:3], 0 offset:112
	v_cmp_lt_u32_e64 s[4:5], 28, v0
	s_waitcnt vmcnt(0)
	ds_write_b32 v86, v102
	s_waitcnt lgkmcnt(0)
	; wave barrier
	s_waitcnt lgkmcnt(0)
	s_and_saveexec_b64 s[10:11], s[4:5]
	s_cbranch_execz .LBB105_126
; %bb.117:
	s_andn2_b64 vcc, exec, s[8:9]
	s_cbranch_vccnz .LBB105_119
; %bb.118:
	buffer_load_dword v102, v87, s[0:3], 0 offen
	ds_read_b32 v103, v86
	s_waitcnt vmcnt(0) lgkmcnt(0)
	v_mul_f32_e32 v102, v102, v103
	s_cbranch_execz .LBB105_120
	s_branch .LBB105_121
.LBB105_119:
                                        ; implicit-def: $vgpr102
.LBB105_120:
	ds_read_b32 v102, v86
.LBB105_121:
	s_and_saveexec_b64 s[12:13], s[6:7]
	s_cbranch_execz .LBB105_125
; %bb.122:
	v_mov_b32_e32 v103, 0
	v_add_u32_e32 v103, 0x74, v103
	v_subrev_u32_e32 v104, 29, v0
	s_movk_i32 s14, 0x124
	s_mov_b64 s[6:7], 0
.LBB105_123:                            ; =>This Inner Loop Header: Depth=1
	buffer_load_dword v105, v103, s[0:3], 0 offen
	v_mov_b32_e32 v106, s14
	ds_read_b32 v106, v106
	v_add_u32_e32 v104, -1, v104
	s_add_i32 s14, s14, 4
	v_cmp_eq_u32_e32 vcc, 0, v104
	v_add_u32_e32 v103, 4, v103
	s_or_b64 s[6:7], vcc, s[6:7]
	s_waitcnt vmcnt(0) lgkmcnt(0)
	v_fmac_f32_e32 v102, v105, v106
	s_andn2_b64 exec, exec, s[6:7]
	s_cbranch_execnz .LBB105_123
; %bb.124:
	s_or_b64 exec, exec, s[6:7]
.LBB105_125:
	s_or_b64 exec, exec, s[12:13]
	v_mov_b32_e32 v103, 0
	ds_read_b32 v103, v103 offset:112
	s_waitcnt lgkmcnt(0)
	v_mul_f32_e32 v102, v102, v103
	buffer_store_dword v102, off, s[0:3], 0 offset:112
.LBB105_126:
	s_or_b64 exec, exec, s[10:11]
	buffer_load_dword v102, off, s[0:3], 0 offset:108
	v_cmp_lt_u32_e64 s[6:7], 27, v0
	s_waitcnt vmcnt(0)
	ds_write_b32 v86, v102
	s_waitcnt lgkmcnt(0)
	; wave barrier
	s_waitcnt lgkmcnt(0)
	s_and_saveexec_b64 s[10:11], s[6:7]
	s_cbranch_execz .LBB105_136
; %bb.127:
	s_andn2_b64 vcc, exec, s[8:9]
	s_cbranch_vccnz .LBB105_129
; %bb.128:
	buffer_load_dword v102, v87, s[0:3], 0 offen
	ds_read_b32 v103, v86
	s_waitcnt vmcnt(0) lgkmcnt(0)
	v_mul_f32_e32 v102, v102, v103
	s_cbranch_execz .LBB105_130
	s_branch .LBB105_131
.LBB105_129:
                                        ; implicit-def: $vgpr102
.LBB105_130:
	ds_read_b32 v102, v86
.LBB105_131:
	s_and_saveexec_b64 s[12:13], s[4:5]
	s_cbranch_execz .LBB105_135
; %bb.132:
	v_subrev_u32_e32 v103, 28, v0
	s_movk_i32 s14, 0x120
	s_mov_b64 s[4:5], 0
.LBB105_133:                            ; =>This Inner Loop Header: Depth=1
	buffer_load_dword v104, v101, s[0:3], 0 offen
	v_mov_b32_e32 v105, s14
	ds_read_b32 v105, v105
	v_add_u32_e32 v103, -1, v103
	s_add_i32 s14, s14, 4
	v_cmp_eq_u32_e32 vcc, 0, v103
	v_add_u32_e32 v101, 4, v101
	s_or_b64 s[4:5], vcc, s[4:5]
	s_waitcnt vmcnt(0) lgkmcnt(0)
	v_fmac_f32_e32 v102, v104, v105
	s_andn2_b64 exec, exec, s[4:5]
	s_cbranch_execnz .LBB105_133
; %bb.134:
	s_or_b64 exec, exec, s[4:5]
.LBB105_135:
	s_or_b64 exec, exec, s[12:13]
	v_mov_b32_e32 v101, 0
	ds_read_b32 v101, v101 offset:108
	s_waitcnt lgkmcnt(0)
	v_mul_f32_e32 v101, v102, v101
	buffer_store_dword v101, off, s[0:3], 0 offset:108
.LBB105_136:
	s_or_b64 exec, exec, s[10:11]
	buffer_load_dword v101, off, s[0:3], 0 offset:104
	v_cmp_lt_u32_e64 s[4:5], 26, v0
	s_waitcnt vmcnt(0)
	ds_write_b32 v86, v101
	s_waitcnt lgkmcnt(0)
	; wave barrier
	s_waitcnt lgkmcnt(0)
	s_and_saveexec_b64 s[10:11], s[4:5]
	s_cbranch_execz .LBB105_146
; %bb.137:
	s_andn2_b64 vcc, exec, s[8:9]
	s_cbranch_vccnz .LBB105_139
; %bb.138:
	buffer_load_dword v101, v87, s[0:3], 0 offen
	ds_read_b32 v102, v86
	s_waitcnt vmcnt(0) lgkmcnt(0)
	v_mul_f32_e32 v101, v101, v102
	s_cbranch_execz .LBB105_140
	s_branch .LBB105_141
.LBB105_139:
                                        ; implicit-def: $vgpr101
.LBB105_140:
	ds_read_b32 v101, v86
.LBB105_141:
	s_and_saveexec_b64 s[12:13], s[6:7]
	s_cbranch_execz .LBB105_145
; %bb.142:
	v_mov_b32_e32 v102, 0
	v_add_u32_e32 v102, 0x6c, v102
	v_subrev_u32_e32 v103, 27, v0
	s_movk_i32 s14, 0x11c
	s_mov_b64 s[6:7], 0
.LBB105_143:                            ; =>This Inner Loop Header: Depth=1
	buffer_load_dword v104, v102, s[0:3], 0 offen
	v_mov_b32_e32 v105, s14
	ds_read_b32 v105, v105
	v_add_u32_e32 v103, -1, v103
	s_add_i32 s14, s14, 4
	v_cmp_eq_u32_e32 vcc, 0, v103
	v_add_u32_e32 v102, 4, v102
	s_or_b64 s[6:7], vcc, s[6:7]
	s_waitcnt vmcnt(0) lgkmcnt(0)
	v_fmac_f32_e32 v101, v104, v105
	s_andn2_b64 exec, exec, s[6:7]
	s_cbranch_execnz .LBB105_143
; %bb.144:
	s_or_b64 exec, exec, s[6:7]
.LBB105_145:
	s_or_b64 exec, exec, s[12:13]
	v_mov_b32_e32 v102, 0
	ds_read_b32 v102, v102 offset:104
	s_waitcnt lgkmcnt(0)
	v_mul_f32_e32 v101, v101, v102
	buffer_store_dword v101, off, s[0:3], 0 offset:104
.LBB105_146:
	s_or_b64 exec, exec, s[10:11]
	buffer_load_dword v101, off, s[0:3], 0 offset:100
	v_cmp_lt_u32_e64 s[6:7], 25, v0
	s_waitcnt vmcnt(0)
	ds_write_b32 v86, v101
	s_waitcnt lgkmcnt(0)
	; wave barrier
	s_waitcnt lgkmcnt(0)
	s_and_saveexec_b64 s[10:11], s[6:7]
	s_cbranch_execz .LBB105_156
; %bb.147:
	s_andn2_b64 vcc, exec, s[8:9]
	s_cbranch_vccnz .LBB105_149
; %bb.148:
	buffer_load_dword v101, v87, s[0:3], 0 offen
	ds_read_b32 v102, v86
	s_waitcnt vmcnt(0) lgkmcnt(0)
	v_mul_f32_e32 v101, v101, v102
	s_cbranch_execz .LBB105_150
	s_branch .LBB105_151
.LBB105_149:
                                        ; implicit-def: $vgpr101
.LBB105_150:
	ds_read_b32 v101, v86
.LBB105_151:
	s_and_saveexec_b64 s[12:13], s[4:5]
	s_cbranch_execz .LBB105_155
; %bb.152:
	v_subrev_u32_e32 v102, 26, v0
	s_movk_i32 s14, 0x118
	s_mov_b64 s[4:5], 0
.LBB105_153:                            ; =>This Inner Loop Header: Depth=1
	buffer_load_dword v103, v100, s[0:3], 0 offen
	v_mov_b32_e32 v104, s14
	ds_read_b32 v104, v104
	v_add_u32_e32 v102, -1, v102
	s_add_i32 s14, s14, 4
	v_cmp_eq_u32_e32 vcc, 0, v102
	v_add_u32_e32 v100, 4, v100
	s_or_b64 s[4:5], vcc, s[4:5]
	s_waitcnt vmcnt(0) lgkmcnt(0)
	v_fmac_f32_e32 v101, v103, v104
	s_andn2_b64 exec, exec, s[4:5]
	s_cbranch_execnz .LBB105_153
; %bb.154:
	s_or_b64 exec, exec, s[4:5]
.LBB105_155:
	s_or_b64 exec, exec, s[12:13]
	v_mov_b32_e32 v100, 0
	ds_read_b32 v100, v100 offset:100
	s_waitcnt lgkmcnt(0)
	v_mul_f32_e32 v100, v101, v100
	buffer_store_dword v100, off, s[0:3], 0 offset:100
.LBB105_156:
	s_or_b64 exec, exec, s[10:11]
	buffer_load_dword v100, off, s[0:3], 0 offset:96
	v_cmp_lt_u32_e64 s[4:5], 24, v0
	s_waitcnt vmcnt(0)
	ds_write_b32 v86, v100
	s_waitcnt lgkmcnt(0)
	; wave barrier
	s_waitcnt lgkmcnt(0)
	s_and_saveexec_b64 s[10:11], s[4:5]
	s_cbranch_execz .LBB105_166
; %bb.157:
	s_andn2_b64 vcc, exec, s[8:9]
	s_cbranch_vccnz .LBB105_159
; %bb.158:
	buffer_load_dword v100, v87, s[0:3], 0 offen
	ds_read_b32 v101, v86
	s_waitcnt vmcnt(0) lgkmcnt(0)
	v_mul_f32_e32 v100, v100, v101
	s_cbranch_execz .LBB105_160
	s_branch .LBB105_161
.LBB105_159:
                                        ; implicit-def: $vgpr100
.LBB105_160:
	ds_read_b32 v100, v86
.LBB105_161:
	s_and_saveexec_b64 s[12:13], s[6:7]
	s_cbranch_execz .LBB105_165
; %bb.162:
	v_mov_b32_e32 v101, 0
	v_add_u32_e32 v101, 0x64, v101
	v_subrev_u32_e32 v102, 25, v0
	s_movk_i32 s14, 0x114
	s_mov_b64 s[6:7], 0
.LBB105_163:                            ; =>This Inner Loop Header: Depth=1
	buffer_load_dword v103, v101, s[0:3], 0 offen
	v_mov_b32_e32 v104, s14
	ds_read_b32 v104, v104
	v_add_u32_e32 v102, -1, v102
	s_add_i32 s14, s14, 4
	v_cmp_eq_u32_e32 vcc, 0, v102
	v_add_u32_e32 v101, 4, v101
	s_or_b64 s[6:7], vcc, s[6:7]
	s_waitcnt vmcnt(0) lgkmcnt(0)
	v_fmac_f32_e32 v100, v103, v104
	s_andn2_b64 exec, exec, s[6:7]
	s_cbranch_execnz .LBB105_163
; %bb.164:
	s_or_b64 exec, exec, s[6:7]
.LBB105_165:
	s_or_b64 exec, exec, s[12:13]
	v_mov_b32_e32 v101, 0
	ds_read_b32 v101, v101 offset:96
	s_waitcnt lgkmcnt(0)
	v_mul_f32_e32 v100, v100, v101
	buffer_store_dword v100, off, s[0:3], 0 offset:96
.LBB105_166:
	s_or_b64 exec, exec, s[10:11]
	buffer_load_dword v100, off, s[0:3], 0 offset:92
	v_cmp_lt_u32_e64 s[6:7], 23, v0
	s_waitcnt vmcnt(0)
	ds_write_b32 v86, v100
	s_waitcnt lgkmcnt(0)
	; wave barrier
	s_waitcnt lgkmcnt(0)
	s_and_saveexec_b64 s[10:11], s[6:7]
	s_cbranch_execz .LBB105_176
; %bb.167:
	s_andn2_b64 vcc, exec, s[8:9]
	s_cbranch_vccnz .LBB105_169
; %bb.168:
	buffer_load_dword v100, v87, s[0:3], 0 offen
	ds_read_b32 v101, v86
	s_waitcnt vmcnt(0) lgkmcnt(0)
	v_mul_f32_e32 v100, v100, v101
	s_cbranch_execz .LBB105_170
	s_branch .LBB105_171
.LBB105_169:
                                        ; implicit-def: $vgpr100
.LBB105_170:
	ds_read_b32 v100, v86
.LBB105_171:
	s_and_saveexec_b64 s[12:13], s[4:5]
	s_cbranch_execz .LBB105_175
; %bb.172:
	v_subrev_u32_e32 v101, 24, v0
	s_movk_i32 s14, 0x110
	s_mov_b64 s[4:5], 0
.LBB105_173:                            ; =>This Inner Loop Header: Depth=1
	buffer_load_dword v102, v99, s[0:3], 0 offen
	v_mov_b32_e32 v103, s14
	ds_read_b32 v103, v103
	v_add_u32_e32 v101, -1, v101
	s_add_i32 s14, s14, 4
	v_cmp_eq_u32_e32 vcc, 0, v101
	v_add_u32_e32 v99, 4, v99
	s_or_b64 s[4:5], vcc, s[4:5]
	s_waitcnt vmcnt(0) lgkmcnt(0)
	v_fmac_f32_e32 v100, v102, v103
	s_andn2_b64 exec, exec, s[4:5]
	s_cbranch_execnz .LBB105_173
; %bb.174:
	s_or_b64 exec, exec, s[4:5]
.LBB105_175:
	s_or_b64 exec, exec, s[12:13]
	v_mov_b32_e32 v99, 0
	ds_read_b32 v99, v99 offset:92
	s_waitcnt lgkmcnt(0)
	v_mul_f32_e32 v99, v100, v99
	buffer_store_dword v99, off, s[0:3], 0 offset:92
.LBB105_176:
	s_or_b64 exec, exec, s[10:11]
	buffer_load_dword v99, off, s[0:3], 0 offset:88
	v_cmp_lt_u32_e64 s[4:5], 22, v0
	s_waitcnt vmcnt(0)
	ds_write_b32 v86, v99
	s_waitcnt lgkmcnt(0)
	; wave barrier
	s_waitcnt lgkmcnt(0)
	s_and_saveexec_b64 s[10:11], s[4:5]
	s_cbranch_execz .LBB105_186
; %bb.177:
	s_andn2_b64 vcc, exec, s[8:9]
	s_cbranch_vccnz .LBB105_179
; %bb.178:
	buffer_load_dword v99, v87, s[0:3], 0 offen
	ds_read_b32 v100, v86
	s_waitcnt vmcnt(0) lgkmcnt(0)
	v_mul_f32_e32 v99, v99, v100
	s_cbranch_execz .LBB105_180
	s_branch .LBB105_181
.LBB105_179:
                                        ; implicit-def: $vgpr99
.LBB105_180:
	ds_read_b32 v99, v86
.LBB105_181:
	s_and_saveexec_b64 s[12:13], s[6:7]
	s_cbranch_execz .LBB105_185
; %bb.182:
	v_mov_b32_e32 v100, 0
	v_add_u32_e32 v100, 0x5c, v100
	v_subrev_u32_e32 v101, 23, v0
	s_movk_i32 s14, 0x10c
	s_mov_b64 s[6:7], 0
.LBB105_183:                            ; =>This Inner Loop Header: Depth=1
	buffer_load_dword v102, v100, s[0:3], 0 offen
	v_mov_b32_e32 v103, s14
	ds_read_b32 v103, v103
	v_add_u32_e32 v101, -1, v101
	s_add_i32 s14, s14, 4
	v_cmp_eq_u32_e32 vcc, 0, v101
	v_add_u32_e32 v100, 4, v100
	s_or_b64 s[6:7], vcc, s[6:7]
	s_waitcnt vmcnt(0) lgkmcnt(0)
	v_fmac_f32_e32 v99, v102, v103
	s_andn2_b64 exec, exec, s[6:7]
	s_cbranch_execnz .LBB105_183
; %bb.184:
	s_or_b64 exec, exec, s[6:7]
.LBB105_185:
	s_or_b64 exec, exec, s[12:13]
	v_mov_b32_e32 v100, 0
	ds_read_b32 v100, v100 offset:88
	s_waitcnt lgkmcnt(0)
	v_mul_f32_e32 v99, v99, v100
	buffer_store_dword v99, off, s[0:3], 0 offset:88
.LBB105_186:
	s_or_b64 exec, exec, s[10:11]
	buffer_load_dword v99, off, s[0:3], 0 offset:84
	v_cmp_lt_u32_e64 s[6:7], 21, v0
	s_waitcnt vmcnt(0)
	ds_write_b32 v86, v99
	s_waitcnt lgkmcnt(0)
	; wave barrier
	s_waitcnt lgkmcnt(0)
	s_and_saveexec_b64 s[10:11], s[6:7]
	s_cbranch_execz .LBB105_196
; %bb.187:
	s_andn2_b64 vcc, exec, s[8:9]
	s_cbranch_vccnz .LBB105_189
; %bb.188:
	buffer_load_dword v99, v87, s[0:3], 0 offen
	ds_read_b32 v100, v86
	s_waitcnt vmcnt(0) lgkmcnt(0)
	v_mul_f32_e32 v99, v99, v100
	s_cbranch_execz .LBB105_190
	s_branch .LBB105_191
.LBB105_189:
                                        ; implicit-def: $vgpr99
.LBB105_190:
	ds_read_b32 v99, v86
.LBB105_191:
	s_and_saveexec_b64 s[12:13], s[4:5]
	s_cbranch_execz .LBB105_195
; %bb.192:
	v_subrev_u32_e32 v100, 22, v0
	s_movk_i32 s14, 0x108
	s_mov_b64 s[4:5], 0
.LBB105_193:                            ; =>This Inner Loop Header: Depth=1
	buffer_load_dword v101, v98, s[0:3], 0 offen
	v_mov_b32_e32 v102, s14
	ds_read_b32 v102, v102
	v_add_u32_e32 v100, -1, v100
	s_add_i32 s14, s14, 4
	v_cmp_eq_u32_e32 vcc, 0, v100
	v_add_u32_e32 v98, 4, v98
	s_or_b64 s[4:5], vcc, s[4:5]
	s_waitcnt vmcnt(0) lgkmcnt(0)
	v_fmac_f32_e32 v99, v101, v102
	s_andn2_b64 exec, exec, s[4:5]
	s_cbranch_execnz .LBB105_193
; %bb.194:
	s_or_b64 exec, exec, s[4:5]
.LBB105_195:
	s_or_b64 exec, exec, s[12:13]
	v_mov_b32_e32 v98, 0
	ds_read_b32 v98, v98 offset:84
	s_waitcnt lgkmcnt(0)
	v_mul_f32_e32 v98, v99, v98
	buffer_store_dword v98, off, s[0:3], 0 offset:84
.LBB105_196:
	s_or_b64 exec, exec, s[10:11]
	buffer_load_dword v98, off, s[0:3], 0 offset:80
	v_cmp_lt_u32_e64 s[4:5], 20, v0
	s_waitcnt vmcnt(0)
	ds_write_b32 v86, v98
	s_waitcnt lgkmcnt(0)
	; wave barrier
	s_waitcnt lgkmcnt(0)
	s_and_saveexec_b64 s[10:11], s[4:5]
	s_cbranch_execz .LBB105_206
; %bb.197:
	s_andn2_b64 vcc, exec, s[8:9]
	s_cbranch_vccnz .LBB105_199
; %bb.198:
	buffer_load_dword v98, v87, s[0:3], 0 offen
	ds_read_b32 v99, v86
	s_waitcnt vmcnt(0) lgkmcnt(0)
	v_mul_f32_e32 v98, v98, v99
	s_cbranch_execz .LBB105_200
	s_branch .LBB105_201
.LBB105_199:
                                        ; implicit-def: $vgpr98
.LBB105_200:
	ds_read_b32 v98, v86
.LBB105_201:
	s_and_saveexec_b64 s[12:13], s[6:7]
	s_cbranch_execz .LBB105_205
; %bb.202:
	v_mov_b32_e32 v99, 0
	v_add_u32_e32 v99, 0x54, v99
	v_subrev_u32_e32 v100, 21, v0
	s_movk_i32 s14, 0x104
	s_mov_b64 s[6:7], 0
.LBB105_203:                            ; =>This Inner Loop Header: Depth=1
	buffer_load_dword v101, v99, s[0:3], 0 offen
	v_mov_b32_e32 v102, s14
	ds_read_b32 v102, v102
	v_add_u32_e32 v100, -1, v100
	s_add_i32 s14, s14, 4
	v_cmp_eq_u32_e32 vcc, 0, v100
	v_add_u32_e32 v99, 4, v99
	s_or_b64 s[6:7], vcc, s[6:7]
	s_waitcnt vmcnt(0) lgkmcnt(0)
	v_fmac_f32_e32 v98, v101, v102
	s_andn2_b64 exec, exec, s[6:7]
	s_cbranch_execnz .LBB105_203
; %bb.204:
	s_or_b64 exec, exec, s[6:7]
.LBB105_205:
	s_or_b64 exec, exec, s[12:13]
	v_mov_b32_e32 v99, 0
	ds_read_b32 v99, v99 offset:80
	s_waitcnt lgkmcnt(0)
	v_mul_f32_e32 v98, v98, v99
	buffer_store_dword v98, off, s[0:3], 0 offset:80
.LBB105_206:
	s_or_b64 exec, exec, s[10:11]
	buffer_load_dword v98, off, s[0:3], 0 offset:76
	v_cmp_lt_u32_e64 s[6:7], 19, v0
	s_waitcnt vmcnt(0)
	ds_write_b32 v86, v98
	s_waitcnt lgkmcnt(0)
	; wave barrier
	s_waitcnt lgkmcnt(0)
	s_and_saveexec_b64 s[10:11], s[6:7]
	s_cbranch_execz .LBB105_216
; %bb.207:
	s_andn2_b64 vcc, exec, s[8:9]
	s_cbranch_vccnz .LBB105_209
; %bb.208:
	buffer_load_dword v98, v87, s[0:3], 0 offen
	ds_read_b32 v99, v86
	s_waitcnt vmcnt(0) lgkmcnt(0)
	v_mul_f32_e32 v98, v98, v99
	s_cbranch_execz .LBB105_210
	s_branch .LBB105_211
.LBB105_209:
                                        ; implicit-def: $vgpr98
.LBB105_210:
	ds_read_b32 v98, v86
.LBB105_211:
	s_and_saveexec_b64 s[12:13], s[4:5]
	s_cbranch_execz .LBB105_215
; %bb.212:
	v_subrev_u32_e32 v99, 20, v0
	s_movk_i32 s14, 0x100
	s_mov_b64 s[4:5], 0
.LBB105_213:                            ; =>This Inner Loop Header: Depth=1
	buffer_load_dword v100, v97, s[0:3], 0 offen
	v_mov_b32_e32 v101, s14
	ds_read_b32 v101, v101
	v_add_u32_e32 v99, -1, v99
	s_add_i32 s14, s14, 4
	v_cmp_eq_u32_e32 vcc, 0, v99
	v_add_u32_e32 v97, 4, v97
	s_or_b64 s[4:5], vcc, s[4:5]
	s_waitcnt vmcnt(0) lgkmcnt(0)
	v_fmac_f32_e32 v98, v100, v101
	s_andn2_b64 exec, exec, s[4:5]
	s_cbranch_execnz .LBB105_213
; %bb.214:
	s_or_b64 exec, exec, s[4:5]
.LBB105_215:
	s_or_b64 exec, exec, s[12:13]
	v_mov_b32_e32 v97, 0
	ds_read_b32 v97, v97 offset:76
	s_waitcnt lgkmcnt(0)
	v_mul_f32_e32 v97, v98, v97
	buffer_store_dword v97, off, s[0:3], 0 offset:76
.LBB105_216:
	s_or_b64 exec, exec, s[10:11]
	buffer_load_dword v97, off, s[0:3], 0 offset:72
	v_cmp_lt_u32_e64 s[4:5], 18, v0
	s_waitcnt vmcnt(0)
	ds_write_b32 v86, v97
	s_waitcnt lgkmcnt(0)
	; wave barrier
	s_waitcnt lgkmcnt(0)
	s_and_saveexec_b64 s[10:11], s[4:5]
	s_cbranch_execz .LBB105_226
; %bb.217:
	s_andn2_b64 vcc, exec, s[8:9]
	s_cbranch_vccnz .LBB105_219
; %bb.218:
	buffer_load_dword v97, v87, s[0:3], 0 offen
	ds_read_b32 v98, v86
	s_waitcnt vmcnt(0) lgkmcnt(0)
	v_mul_f32_e32 v97, v97, v98
	s_cbranch_execz .LBB105_220
	s_branch .LBB105_221
.LBB105_219:
                                        ; implicit-def: $vgpr97
.LBB105_220:
	ds_read_b32 v97, v86
.LBB105_221:
	s_and_saveexec_b64 s[12:13], s[6:7]
	s_cbranch_execz .LBB105_225
; %bb.222:
	v_mov_b32_e32 v98, 0
	v_add_u32_e32 v98, 0x4c, v98
	v_subrev_u32_e32 v99, 19, v0
	s_movk_i32 s14, 0xfc
	s_mov_b64 s[6:7], 0
.LBB105_223:                            ; =>This Inner Loop Header: Depth=1
	buffer_load_dword v100, v98, s[0:3], 0 offen
	v_mov_b32_e32 v101, s14
	ds_read_b32 v101, v101
	v_add_u32_e32 v99, -1, v99
	s_add_i32 s14, s14, 4
	v_cmp_eq_u32_e32 vcc, 0, v99
	v_add_u32_e32 v98, 4, v98
	s_or_b64 s[6:7], vcc, s[6:7]
	s_waitcnt vmcnt(0) lgkmcnt(0)
	v_fmac_f32_e32 v97, v100, v101
	s_andn2_b64 exec, exec, s[6:7]
	s_cbranch_execnz .LBB105_223
; %bb.224:
	s_or_b64 exec, exec, s[6:7]
.LBB105_225:
	s_or_b64 exec, exec, s[12:13]
	v_mov_b32_e32 v98, 0
	ds_read_b32 v98, v98 offset:72
	s_waitcnt lgkmcnt(0)
	v_mul_f32_e32 v97, v97, v98
	buffer_store_dword v97, off, s[0:3], 0 offset:72
.LBB105_226:
	s_or_b64 exec, exec, s[10:11]
	buffer_load_dword v97, off, s[0:3], 0 offset:68
	v_cmp_lt_u32_e64 s[6:7], 17, v0
	s_waitcnt vmcnt(0)
	ds_write_b32 v86, v97
	s_waitcnt lgkmcnt(0)
	; wave barrier
	s_waitcnt lgkmcnt(0)
	s_and_saveexec_b64 s[10:11], s[6:7]
	s_cbranch_execz .LBB105_236
; %bb.227:
	s_andn2_b64 vcc, exec, s[8:9]
	s_cbranch_vccnz .LBB105_229
; %bb.228:
	buffer_load_dword v97, v87, s[0:3], 0 offen
	ds_read_b32 v98, v86
	s_waitcnt vmcnt(0) lgkmcnt(0)
	v_mul_f32_e32 v97, v97, v98
	s_cbranch_execz .LBB105_230
	s_branch .LBB105_231
.LBB105_229:
                                        ; implicit-def: $vgpr97
.LBB105_230:
	ds_read_b32 v97, v86
.LBB105_231:
	s_and_saveexec_b64 s[12:13], s[4:5]
	s_cbranch_execz .LBB105_235
; %bb.232:
	v_subrev_u32_e32 v98, 18, v0
	s_movk_i32 s14, 0xf8
	s_mov_b64 s[4:5], 0
.LBB105_233:                            ; =>This Inner Loop Header: Depth=1
	buffer_load_dword v99, v96, s[0:3], 0 offen
	v_mov_b32_e32 v100, s14
	ds_read_b32 v100, v100
	v_add_u32_e32 v98, -1, v98
	s_add_i32 s14, s14, 4
	v_cmp_eq_u32_e32 vcc, 0, v98
	v_add_u32_e32 v96, 4, v96
	s_or_b64 s[4:5], vcc, s[4:5]
	s_waitcnt vmcnt(0) lgkmcnt(0)
	v_fmac_f32_e32 v97, v99, v100
	s_andn2_b64 exec, exec, s[4:5]
	s_cbranch_execnz .LBB105_233
; %bb.234:
	s_or_b64 exec, exec, s[4:5]
.LBB105_235:
	s_or_b64 exec, exec, s[12:13]
	v_mov_b32_e32 v96, 0
	ds_read_b32 v96, v96 offset:68
	s_waitcnt lgkmcnt(0)
	v_mul_f32_e32 v96, v97, v96
	buffer_store_dword v96, off, s[0:3], 0 offset:68
.LBB105_236:
	s_or_b64 exec, exec, s[10:11]
	buffer_load_dword v96, off, s[0:3], 0 offset:64
	v_cmp_lt_u32_e64 s[4:5], 16, v0
	s_waitcnt vmcnt(0)
	ds_write_b32 v86, v96
	s_waitcnt lgkmcnt(0)
	; wave barrier
	s_waitcnt lgkmcnt(0)
	s_and_saveexec_b64 s[10:11], s[4:5]
	s_cbranch_execz .LBB105_246
; %bb.237:
	s_andn2_b64 vcc, exec, s[8:9]
	s_cbranch_vccnz .LBB105_239
; %bb.238:
	buffer_load_dword v96, v87, s[0:3], 0 offen
	ds_read_b32 v97, v86
	s_waitcnt vmcnt(0) lgkmcnt(0)
	v_mul_f32_e32 v96, v96, v97
	s_cbranch_execz .LBB105_240
	s_branch .LBB105_241
.LBB105_239:
                                        ; implicit-def: $vgpr96
.LBB105_240:
	ds_read_b32 v96, v86
.LBB105_241:
	s_and_saveexec_b64 s[12:13], s[6:7]
	s_cbranch_execz .LBB105_245
; %bb.242:
	v_mov_b32_e32 v97, 0
	v_add_u32_e32 v97, 0x44, v97
	v_subrev_u32_e32 v98, 17, v0
	s_movk_i32 s14, 0xf4
	s_mov_b64 s[6:7], 0
.LBB105_243:                            ; =>This Inner Loop Header: Depth=1
	buffer_load_dword v99, v97, s[0:3], 0 offen
	v_mov_b32_e32 v100, s14
	ds_read_b32 v100, v100
	v_add_u32_e32 v98, -1, v98
	s_add_i32 s14, s14, 4
	v_cmp_eq_u32_e32 vcc, 0, v98
	v_add_u32_e32 v97, 4, v97
	s_or_b64 s[6:7], vcc, s[6:7]
	s_waitcnt vmcnt(0) lgkmcnt(0)
	v_fmac_f32_e32 v96, v99, v100
	s_andn2_b64 exec, exec, s[6:7]
	s_cbranch_execnz .LBB105_243
; %bb.244:
	s_or_b64 exec, exec, s[6:7]
.LBB105_245:
	s_or_b64 exec, exec, s[12:13]
	v_mov_b32_e32 v97, 0
	ds_read_b32 v97, v97 offset:64
	s_waitcnt lgkmcnt(0)
	v_mul_f32_e32 v96, v96, v97
	buffer_store_dword v96, off, s[0:3], 0 offset:64
.LBB105_246:
	s_or_b64 exec, exec, s[10:11]
	buffer_load_dword v96, off, s[0:3], 0 offset:60
	v_cmp_lt_u32_e64 s[6:7], 15, v0
	s_waitcnt vmcnt(0)
	ds_write_b32 v86, v96
	s_waitcnt lgkmcnt(0)
	; wave barrier
	s_waitcnt lgkmcnt(0)
	s_and_saveexec_b64 s[10:11], s[6:7]
	s_cbranch_execz .LBB105_256
; %bb.247:
	s_andn2_b64 vcc, exec, s[8:9]
	s_cbranch_vccnz .LBB105_249
; %bb.248:
	buffer_load_dword v96, v87, s[0:3], 0 offen
	ds_read_b32 v97, v86
	s_waitcnt vmcnt(0) lgkmcnt(0)
	v_mul_f32_e32 v96, v96, v97
	s_cbranch_execz .LBB105_250
	s_branch .LBB105_251
.LBB105_249:
                                        ; implicit-def: $vgpr96
.LBB105_250:
	ds_read_b32 v96, v86
.LBB105_251:
	s_and_saveexec_b64 s[12:13], s[4:5]
	s_cbranch_execz .LBB105_255
; %bb.252:
	v_add_u32_e32 v97, -16, v0
	s_movk_i32 s14, 0xf0
	s_mov_b64 s[4:5], 0
.LBB105_253:                            ; =>This Inner Loop Header: Depth=1
	buffer_load_dword v98, v95, s[0:3], 0 offen
	v_mov_b32_e32 v99, s14
	ds_read_b32 v99, v99
	v_add_u32_e32 v97, -1, v97
	s_add_i32 s14, s14, 4
	v_cmp_eq_u32_e32 vcc, 0, v97
	v_add_u32_e32 v95, 4, v95
	s_or_b64 s[4:5], vcc, s[4:5]
	s_waitcnt vmcnt(0) lgkmcnt(0)
	v_fmac_f32_e32 v96, v98, v99
	s_andn2_b64 exec, exec, s[4:5]
	s_cbranch_execnz .LBB105_253
; %bb.254:
	s_or_b64 exec, exec, s[4:5]
.LBB105_255:
	s_or_b64 exec, exec, s[12:13]
	v_mov_b32_e32 v95, 0
	ds_read_b32 v95, v95 offset:60
	s_waitcnt lgkmcnt(0)
	v_mul_f32_e32 v95, v96, v95
	buffer_store_dword v95, off, s[0:3], 0 offset:60
.LBB105_256:
	s_or_b64 exec, exec, s[10:11]
	buffer_load_dword v95, off, s[0:3], 0 offset:56
	v_cmp_lt_u32_e64 s[4:5], 14, v0
	s_waitcnt vmcnt(0)
	ds_write_b32 v86, v95
	s_waitcnt lgkmcnt(0)
	; wave barrier
	s_waitcnt lgkmcnt(0)
	s_and_saveexec_b64 s[10:11], s[4:5]
	s_cbranch_execz .LBB105_266
; %bb.257:
	s_andn2_b64 vcc, exec, s[8:9]
	s_cbranch_vccnz .LBB105_259
; %bb.258:
	buffer_load_dword v95, v87, s[0:3], 0 offen
	ds_read_b32 v96, v86
	s_waitcnt vmcnt(0) lgkmcnt(0)
	v_mul_f32_e32 v95, v95, v96
	s_cbranch_execz .LBB105_260
	s_branch .LBB105_261
.LBB105_259:
                                        ; implicit-def: $vgpr95
.LBB105_260:
	ds_read_b32 v95, v86
.LBB105_261:
	s_and_saveexec_b64 s[12:13], s[6:7]
	s_cbranch_execz .LBB105_265
; %bb.262:
	v_mov_b32_e32 v96, 0
	v_add_u32_e32 v96, 60, v96
	v_add_u32_e32 v97, -15, v0
	s_movk_i32 s14, 0xec
	s_mov_b64 s[6:7], 0
.LBB105_263:                            ; =>This Inner Loop Header: Depth=1
	buffer_load_dword v98, v96, s[0:3], 0 offen
	v_mov_b32_e32 v99, s14
	ds_read_b32 v99, v99
	v_add_u32_e32 v97, -1, v97
	s_add_i32 s14, s14, 4
	v_cmp_eq_u32_e32 vcc, 0, v97
	v_add_u32_e32 v96, 4, v96
	s_or_b64 s[6:7], vcc, s[6:7]
	s_waitcnt vmcnt(0) lgkmcnt(0)
	v_fmac_f32_e32 v95, v98, v99
	s_andn2_b64 exec, exec, s[6:7]
	s_cbranch_execnz .LBB105_263
; %bb.264:
	s_or_b64 exec, exec, s[6:7]
.LBB105_265:
	s_or_b64 exec, exec, s[12:13]
	v_mov_b32_e32 v96, 0
	ds_read_b32 v96, v96 offset:56
	s_waitcnt lgkmcnt(0)
	v_mul_f32_e32 v95, v95, v96
	buffer_store_dword v95, off, s[0:3], 0 offset:56
.LBB105_266:
	s_or_b64 exec, exec, s[10:11]
	buffer_load_dword v95, off, s[0:3], 0 offset:52
	v_cmp_lt_u32_e64 s[6:7], 13, v0
	s_waitcnt vmcnt(0)
	ds_write_b32 v86, v95
	s_waitcnt lgkmcnt(0)
	; wave barrier
	s_waitcnt lgkmcnt(0)
	s_and_saveexec_b64 s[10:11], s[6:7]
	s_cbranch_execz .LBB105_276
; %bb.267:
	s_andn2_b64 vcc, exec, s[8:9]
	s_cbranch_vccnz .LBB105_269
; %bb.268:
	buffer_load_dword v95, v87, s[0:3], 0 offen
	ds_read_b32 v96, v86
	s_waitcnt vmcnt(0) lgkmcnt(0)
	v_mul_f32_e32 v95, v95, v96
	s_cbranch_execz .LBB105_270
	s_branch .LBB105_271
.LBB105_269:
                                        ; implicit-def: $vgpr95
.LBB105_270:
	ds_read_b32 v95, v86
.LBB105_271:
	s_and_saveexec_b64 s[12:13], s[4:5]
	s_cbranch_execz .LBB105_275
; %bb.272:
	v_add_u32_e32 v96, -14, v0
	s_movk_i32 s14, 0xe8
	s_mov_b64 s[4:5], 0
.LBB105_273:                            ; =>This Inner Loop Header: Depth=1
	buffer_load_dword v97, v94, s[0:3], 0 offen
	v_mov_b32_e32 v98, s14
	ds_read_b32 v98, v98
	v_add_u32_e32 v96, -1, v96
	s_add_i32 s14, s14, 4
	v_cmp_eq_u32_e32 vcc, 0, v96
	v_add_u32_e32 v94, 4, v94
	s_or_b64 s[4:5], vcc, s[4:5]
	s_waitcnt vmcnt(0) lgkmcnt(0)
	v_fmac_f32_e32 v95, v97, v98
	s_andn2_b64 exec, exec, s[4:5]
	s_cbranch_execnz .LBB105_273
; %bb.274:
	s_or_b64 exec, exec, s[4:5]
.LBB105_275:
	s_or_b64 exec, exec, s[12:13]
	v_mov_b32_e32 v94, 0
	ds_read_b32 v94, v94 offset:52
	s_waitcnt lgkmcnt(0)
	v_mul_f32_e32 v94, v95, v94
	buffer_store_dword v94, off, s[0:3], 0 offset:52
.LBB105_276:
	s_or_b64 exec, exec, s[10:11]
	buffer_load_dword v94, off, s[0:3], 0 offset:48
	v_cmp_lt_u32_e64 s[4:5], 12, v0
	s_waitcnt vmcnt(0)
	ds_write_b32 v86, v94
	s_waitcnt lgkmcnt(0)
	; wave barrier
	s_waitcnt lgkmcnt(0)
	s_and_saveexec_b64 s[10:11], s[4:5]
	s_cbranch_execz .LBB105_286
; %bb.277:
	s_andn2_b64 vcc, exec, s[8:9]
	s_cbranch_vccnz .LBB105_279
; %bb.278:
	buffer_load_dword v94, v87, s[0:3], 0 offen
	ds_read_b32 v95, v86
	s_waitcnt vmcnt(0) lgkmcnt(0)
	v_mul_f32_e32 v94, v94, v95
	s_cbranch_execz .LBB105_280
	s_branch .LBB105_281
.LBB105_279:
                                        ; implicit-def: $vgpr94
.LBB105_280:
	ds_read_b32 v94, v86
.LBB105_281:
	s_and_saveexec_b64 s[12:13], s[6:7]
	s_cbranch_execz .LBB105_285
; %bb.282:
	v_mov_b32_e32 v95, 0
	v_add_u32_e32 v95, 52, v95
	v_add_u32_e32 v96, -13, v0
	s_movk_i32 s14, 0xe4
	s_mov_b64 s[6:7], 0
.LBB105_283:                            ; =>This Inner Loop Header: Depth=1
	buffer_load_dword v97, v95, s[0:3], 0 offen
	v_mov_b32_e32 v98, s14
	ds_read_b32 v98, v98
	v_add_u32_e32 v96, -1, v96
	s_add_i32 s14, s14, 4
	v_cmp_eq_u32_e32 vcc, 0, v96
	v_add_u32_e32 v95, 4, v95
	s_or_b64 s[6:7], vcc, s[6:7]
	s_waitcnt vmcnt(0) lgkmcnt(0)
	v_fmac_f32_e32 v94, v97, v98
	s_andn2_b64 exec, exec, s[6:7]
	s_cbranch_execnz .LBB105_283
; %bb.284:
	s_or_b64 exec, exec, s[6:7]
.LBB105_285:
	s_or_b64 exec, exec, s[12:13]
	v_mov_b32_e32 v95, 0
	ds_read_b32 v95, v95 offset:48
	s_waitcnt lgkmcnt(0)
	v_mul_f32_e32 v94, v94, v95
	buffer_store_dword v94, off, s[0:3], 0 offset:48
.LBB105_286:
	s_or_b64 exec, exec, s[10:11]
	buffer_load_dword v94, off, s[0:3], 0 offset:44
	v_cmp_lt_u32_e64 s[6:7], 11, v0
	s_waitcnt vmcnt(0)
	ds_write_b32 v86, v94
	s_waitcnt lgkmcnt(0)
	; wave barrier
	s_waitcnt lgkmcnt(0)
	s_and_saveexec_b64 s[10:11], s[6:7]
	s_cbranch_execz .LBB105_296
; %bb.287:
	s_andn2_b64 vcc, exec, s[8:9]
	s_cbranch_vccnz .LBB105_289
; %bb.288:
	buffer_load_dword v94, v87, s[0:3], 0 offen
	ds_read_b32 v95, v86
	s_waitcnt vmcnt(0) lgkmcnt(0)
	v_mul_f32_e32 v94, v94, v95
	s_cbranch_execz .LBB105_290
	s_branch .LBB105_291
.LBB105_289:
                                        ; implicit-def: $vgpr94
.LBB105_290:
	ds_read_b32 v94, v86
.LBB105_291:
	s_and_saveexec_b64 s[12:13], s[4:5]
	s_cbranch_execz .LBB105_295
; %bb.292:
	v_add_u32_e32 v95, -12, v0
	s_movk_i32 s14, 0xe0
	s_mov_b64 s[4:5], 0
.LBB105_293:                            ; =>This Inner Loop Header: Depth=1
	buffer_load_dword v96, v93, s[0:3], 0 offen
	v_mov_b32_e32 v97, s14
	ds_read_b32 v97, v97
	v_add_u32_e32 v95, -1, v95
	s_add_i32 s14, s14, 4
	v_cmp_eq_u32_e32 vcc, 0, v95
	v_add_u32_e32 v93, 4, v93
	s_or_b64 s[4:5], vcc, s[4:5]
	s_waitcnt vmcnt(0) lgkmcnt(0)
	v_fmac_f32_e32 v94, v96, v97
	s_andn2_b64 exec, exec, s[4:5]
	s_cbranch_execnz .LBB105_293
; %bb.294:
	s_or_b64 exec, exec, s[4:5]
.LBB105_295:
	s_or_b64 exec, exec, s[12:13]
	v_mov_b32_e32 v93, 0
	ds_read_b32 v93, v93 offset:44
	s_waitcnt lgkmcnt(0)
	v_mul_f32_e32 v93, v94, v93
	buffer_store_dword v93, off, s[0:3], 0 offset:44
.LBB105_296:
	s_or_b64 exec, exec, s[10:11]
	buffer_load_dword v93, off, s[0:3], 0 offset:40
	v_cmp_lt_u32_e64 s[4:5], 10, v0
	s_waitcnt vmcnt(0)
	ds_write_b32 v86, v93
	s_waitcnt lgkmcnt(0)
	; wave barrier
	s_waitcnt lgkmcnt(0)
	s_and_saveexec_b64 s[10:11], s[4:5]
	s_cbranch_execz .LBB105_306
; %bb.297:
	s_andn2_b64 vcc, exec, s[8:9]
	s_cbranch_vccnz .LBB105_299
; %bb.298:
	buffer_load_dword v93, v87, s[0:3], 0 offen
	ds_read_b32 v94, v86
	s_waitcnt vmcnt(0) lgkmcnt(0)
	v_mul_f32_e32 v93, v93, v94
	s_cbranch_execz .LBB105_300
	s_branch .LBB105_301
.LBB105_299:
                                        ; implicit-def: $vgpr93
.LBB105_300:
	ds_read_b32 v93, v86
.LBB105_301:
	s_and_saveexec_b64 s[12:13], s[6:7]
	s_cbranch_execz .LBB105_305
; %bb.302:
	v_mov_b32_e32 v94, 0
	v_add_u32_e32 v94, 44, v94
	v_add_u32_e32 v95, -11, v0
	s_movk_i32 s14, 0xdc
	s_mov_b64 s[6:7], 0
.LBB105_303:                            ; =>This Inner Loop Header: Depth=1
	buffer_load_dword v96, v94, s[0:3], 0 offen
	v_mov_b32_e32 v97, s14
	ds_read_b32 v97, v97
	v_add_u32_e32 v95, -1, v95
	s_add_i32 s14, s14, 4
	v_cmp_eq_u32_e32 vcc, 0, v95
	v_add_u32_e32 v94, 4, v94
	s_or_b64 s[6:7], vcc, s[6:7]
	s_waitcnt vmcnt(0) lgkmcnt(0)
	v_fmac_f32_e32 v93, v96, v97
	s_andn2_b64 exec, exec, s[6:7]
	s_cbranch_execnz .LBB105_303
; %bb.304:
	s_or_b64 exec, exec, s[6:7]
.LBB105_305:
	s_or_b64 exec, exec, s[12:13]
	v_mov_b32_e32 v94, 0
	ds_read_b32 v94, v94 offset:40
	s_waitcnt lgkmcnt(0)
	v_mul_f32_e32 v93, v93, v94
	buffer_store_dword v93, off, s[0:3], 0 offset:40
.LBB105_306:
	s_or_b64 exec, exec, s[10:11]
	buffer_load_dword v93, off, s[0:3], 0 offset:36
	v_cmp_lt_u32_e64 s[6:7], 9, v0
	s_waitcnt vmcnt(0)
	ds_write_b32 v86, v93
	s_waitcnt lgkmcnt(0)
	; wave barrier
	s_waitcnt lgkmcnt(0)
	s_and_saveexec_b64 s[10:11], s[6:7]
	s_cbranch_execz .LBB105_316
; %bb.307:
	s_andn2_b64 vcc, exec, s[8:9]
	s_cbranch_vccnz .LBB105_309
; %bb.308:
	buffer_load_dword v93, v87, s[0:3], 0 offen
	ds_read_b32 v94, v86
	s_waitcnt vmcnt(0) lgkmcnt(0)
	v_mul_f32_e32 v93, v93, v94
	s_cbranch_execz .LBB105_310
	s_branch .LBB105_311
.LBB105_309:
                                        ; implicit-def: $vgpr93
.LBB105_310:
	ds_read_b32 v93, v86
.LBB105_311:
	s_and_saveexec_b64 s[12:13], s[4:5]
	s_cbranch_execz .LBB105_315
; %bb.312:
	v_add_u32_e32 v94, -10, v0
	s_movk_i32 s14, 0xd8
	s_mov_b64 s[4:5], 0
.LBB105_313:                            ; =>This Inner Loop Header: Depth=1
	buffer_load_dword v95, v92, s[0:3], 0 offen
	v_mov_b32_e32 v96, s14
	ds_read_b32 v96, v96
	v_add_u32_e32 v94, -1, v94
	s_add_i32 s14, s14, 4
	v_cmp_eq_u32_e32 vcc, 0, v94
	v_add_u32_e32 v92, 4, v92
	s_or_b64 s[4:5], vcc, s[4:5]
	s_waitcnt vmcnt(0) lgkmcnt(0)
	v_fmac_f32_e32 v93, v95, v96
	s_andn2_b64 exec, exec, s[4:5]
	s_cbranch_execnz .LBB105_313
; %bb.314:
	s_or_b64 exec, exec, s[4:5]
.LBB105_315:
	s_or_b64 exec, exec, s[12:13]
	v_mov_b32_e32 v92, 0
	ds_read_b32 v92, v92 offset:36
	s_waitcnt lgkmcnt(0)
	v_mul_f32_e32 v92, v93, v92
	buffer_store_dword v92, off, s[0:3], 0 offset:36
.LBB105_316:
	s_or_b64 exec, exec, s[10:11]
	buffer_load_dword v92, off, s[0:3], 0 offset:32
	v_cmp_lt_u32_e64 s[4:5], 8, v0
	s_waitcnt vmcnt(0)
	ds_write_b32 v86, v92
	s_waitcnt lgkmcnt(0)
	; wave barrier
	s_waitcnt lgkmcnt(0)
	s_and_saveexec_b64 s[10:11], s[4:5]
	s_cbranch_execz .LBB105_326
; %bb.317:
	s_andn2_b64 vcc, exec, s[8:9]
	s_cbranch_vccnz .LBB105_319
; %bb.318:
	buffer_load_dword v92, v87, s[0:3], 0 offen
	ds_read_b32 v93, v86
	s_waitcnt vmcnt(0) lgkmcnt(0)
	v_mul_f32_e32 v92, v92, v93
	s_cbranch_execz .LBB105_320
	s_branch .LBB105_321
.LBB105_319:
                                        ; implicit-def: $vgpr92
.LBB105_320:
	ds_read_b32 v92, v86
.LBB105_321:
	s_and_saveexec_b64 s[12:13], s[6:7]
	s_cbranch_execz .LBB105_325
; %bb.322:
	v_mov_b32_e32 v93, 0
	v_add_u32_e32 v93, 36, v93
	v_add_u32_e32 v94, -9, v0
	s_movk_i32 s14, 0xd4
	s_mov_b64 s[6:7], 0
.LBB105_323:                            ; =>This Inner Loop Header: Depth=1
	buffer_load_dword v95, v93, s[0:3], 0 offen
	v_mov_b32_e32 v96, s14
	ds_read_b32 v96, v96
	v_add_u32_e32 v94, -1, v94
	s_add_i32 s14, s14, 4
	v_cmp_eq_u32_e32 vcc, 0, v94
	v_add_u32_e32 v93, 4, v93
	s_or_b64 s[6:7], vcc, s[6:7]
	s_waitcnt vmcnt(0) lgkmcnt(0)
	v_fmac_f32_e32 v92, v95, v96
	s_andn2_b64 exec, exec, s[6:7]
	s_cbranch_execnz .LBB105_323
; %bb.324:
	s_or_b64 exec, exec, s[6:7]
.LBB105_325:
	s_or_b64 exec, exec, s[12:13]
	v_mov_b32_e32 v93, 0
	ds_read_b32 v93, v93 offset:32
	s_waitcnt lgkmcnt(0)
	v_mul_f32_e32 v92, v92, v93
	buffer_store_dword v92, off, s[0:3], 0 offset:32
.LBB105_326:
	s_or_b64 exec, exec, s[10:11]
	buffer_load_dword v92, off, s[0:3], 0 offset:28
	v_cmp_lt_u32_e64 s[6:7], 7, v0
	s_waitcnt vmcnt(0)
	ds_write_b32 v86, v92
	s_waitcnt lgkmcnt(0)
	; wave barrier
	s_waitcnt lgkmcnt(0)
	s_and_saveexec_b64 s[10:11], s[6:7]
	s_cbranch_execz .LBB105_336
; %bb.327:
	s_andn2_b64 vcc, exec, s[8:9]
	s_cbranch_vccnz .LBB105_329
; %bb.328:
	buffer_load_dword v92, v87, s[0:3], 0 offen
	ds_read_b32 v93, v86
	s_waitcnt vmcnt(0) lgkmcnt(0)
	v_mul_f32_e32 v92, v92, v93
	s_cbranch_execz .LBB105_330
	s_branch .LBB105_331
.LBB105_329:
                                        ; implicit-def: $vgpr92
.LBB105_330:
	ds_read_b32 v92, v86
.LBB105_331:
	s_and_saveexec_b64 s[12:13], s[4:5]
	s_cbranch_execz .LBB105_335
; %bb.332:
	v_add_u32_e32 v93, -8, v0
	s_movk_i32 s14, 0xd0
	s_mov_b64 s[4:5], 0
.LBB105_333:                            ; =>This Inner Loop Header: Depth=1
	buffer_load_dword v94, v91, s[0:3], 0 offen
	v_mov_b32_e32 v95, s14
	ds_read_b32 v95, v95
	v_add_u32_e32 v93, -1, v93
	s_add_i32 s14, s14, 4
	v_cmp_eq_u32_e32 vcc, 0, v93
	v_add_u32_e32 v91, 4, v91
	s_or_b64 s[4:5], vcc, s[4:5]
	s_waitcnt vmcnt(0) lgkmcnt(0)
	v_fmac_f32_e32 v92, v94, v95
	s_andn2_b64 exec, exec, s[4:5]
	s_cbranch_execnz .LBB105_333
; %bb.334:
	s_or_b64 exec, exec, s[4:5]
.LBB105_335:
	s_or_b64 exec, exec, s[12:13]
	v_mov_b32_e32 v91, 0
	ds_read_b32 v91, v91 offset:28
	s_waitcnt lgkmcnt(0)
	v_mul_f32_e32 v91, v92, v91
	buffer_store_dword v91, off, s[0:3], 0 offset:28
.LBB105_336:
	s_or_b64 exec, exec, s[10:11]
	buffer_load_dword v91, off, s[0:3], 0 offset:24
	v_cmp_lt_u32_e64 s[4:5], 6, v0
	s_waitcnt vmcnt(0)
	ds_write_b32 v86, v91
	s_waitcnt lgkmcnt(0)
	; wave barrier
	s_waitcnt lgkmcnt(0)
	s_and_saveexec_b64 s[10:11], s[4:5]
	s_cbranch_execz .LBB105_346
; %bb.337:
	s_andn2_b64 vcc, exec, s[8:9]
	s_cbranch_vccnz .LBB105_339
; %bb.338:
	buffer_load_dword v91, v87, s[0:3], 0 offen
	ds_read_b32 v92, v86
	s_waitcnt vmcnt(0) lgkmcnt(0)
	v_mul_f32_e32 v91, v91, v92
	s_cbranch_execz .LBB105_340
	s_branch .LBB105_341
.LBB105_339:
                                        ; implicit-def: $vgpr91
.LBB105_340:
	ds_read_b32 v91, v86
.LBB105_341:
	s_and_saveexec_b64 s[12:13], s[6:7]
	s_cbranch_execz .LBB105_345
; %bb.342:
	v_mov_b32_e32 v92, 0
	v_add_u32_e32 v92, 28, v92
	v_add_u32_e32 v93, -7, v0
	s_movk_i32 s14, 0xcc
	s_mov_b64 s[6:7], 0
.LBB105_343:                            ; =>This Inner Loop Header: Depth=1
	buffer_load_dword v94, v92, s[0:3], 0 offen
	v_mov_b32_e32 v95, s14
	ds_read_b32 v95, v95
	v_add_u32_e32 v93, -1, v93
	s_add_i32 s14, s14, 4
	v_cmp_eq_u32_e32 vcc, 0, v93
	v_add_u32_e32 v92, 4, v92
	s_or_b64 s[6:7], vcc, s[6:7]
	s_waitcnt vmcnt(0) lgkmcnt(0)
	v_fmac_f32_e32 v91, v94, v95
	s_andn2_b64 exec, exec, s[6:7]
	s_cbranch_execnz .LBB105_343
; %bb.344:
	s_or_b64 exec, exec, s[6:7]
.LBB105_345:
	s_or_b64 exec, exec, s[12:13]
	v_mov_b32_e32 v92, 0
	ds_read_b32 v92, v92 offset:24
	s_waitcnt lgkmcnt(0)
	v_mul_f32_e32 v91, v91, v92
	buffer_store_dword v91, off, s[0:3], 0 offset:24
.LBB105_346:
	s_or_b64 exec, exec, s[10:11]
	buffer_load_dword v91, off, s[0:3], 0 offset:20
	v_cmp_lt_u32_e64 s[6:7], 5, v0
	s_waitcnt vmcnt(0)
	ds_write_b32 v86, v91
	s_waitcnt lgkmcnt(0)
	; wave barrier
	s_waitcnt lgkmcnt(0)
	s_and_saveexec_b64 s[10:11], s[6:7]
	s_cbranch_execz .LBB105_356
; %bb.347:
	s_andn2_b64 vcc, exec, s[8:9]
	s_cbranch_vccnz .LBB105_349
; %bb.348:
	buffer_load_dword v91, v87, s[0:3], 0 offen
	ds_read_b32 v92, v86
	s_waitcnt vmcnt(0) lgkmcnt(0)
	v_mul_f32_e32 v91, v91, v92
	s_cbranch_execz .LBB105_350
	s_branch .LBB105_351
.LBB105_349:
                                        ; implicit-def: $vgpr91
.LBB105_350:
	ds_read_b32 v91, v86
.LBB105_351:
	s_and_saveexec_b64 s[12:13], s[4:5]
	s_cbranch_execz .LBB105_355
; %bb.352:
	v_add_u32_e32 v92, -6, v0
	s_movk_i32 s14, 0xc8
	s_mov_b64 s[4:5], 0
.LBB105_353:                            ; =>This Inner Loop Header: Depth=1
	buffer_load_dword v93, v90, s[0:3], 0 offen
	v_mov_b32_e32 v94, s14
	ds_read_b32 v94, v94
	v_add_u32_e32 v92, -1, v92
	s_add_i32 s14, s14, 4
	v_cmp_eq_u32_e32 vcc, 0, v92
	v_add_u32_e32 v90, 4, v90
	s_or_b64 s[4:5], vcc, s[4:5]
	s_waitcnt vmcnt(0) lgkmcnt(0)
	v_fmac_f32_e32 v91, v93, v94
	s_andn2_b64 exec, exec, s[4:5]
	s_cbranch_execnz .LBB105_353
; %bb.354:
	s_or_b64 exec, exec, s[4:5]
.LBB105_355:
	s_or_b64 exec, exec, s[12:13]
	v_mov_b32_e32 v90, 0
	ds_read_b32 v90, v90 offset:20
	s_waitcnt lgkmcnt(0)
	v_mul_f32_e32 v90, v91, v90
	buffer_store_dword v90, off, s[0:3], 0 offset:20
.LBB105_356:
	s_or_b64 exec, exec, s[10:11]
	buffer_load_dword v90, off, s[0:3], 0 offset:16
	v_cmp_lt_u32_e64 s[4:5], 4, v0
	s_waitcnt vmcnt(0)
	ds_write_b32 v86, v90
	s_waitcnt lgkmcnt(0)
	; wave barrier
	s_waitcnt lgkmcnt(0)
	s_and_saveexec_b64 s[10:11], s[4:5]
	s_cbranch_execz .LBB105_366
; %bb.357:
	s_andn2_b64 vcc, exec, s[8:9]
	s_cbranch_vccnz .LBB105_359
; %bb.358:
	buffer_load_dword v90, v87, s[0:3], 0 offen
	ds_read_b32 v91, v86
	s_waitcnt vmcnt(0) lgkmcnt(0)
	v_mul_f32_e32 v90, v90, v91
	s_cbranch_execz .LBB105_360
	s_branch .LBB105_361
.LBB105_359:
                                        ; implicit-def: $vgpr90
.LBB105_360:
	ds_read_b32 v90, v86
.LBB105_361:
	s_and_saveexec_b64 s[12:13], s[6:7]
	s_cbranch_execz .LBB105_365
; %bb.362:
	v_mov_b32_e32 v91, 0
	v_add_u32_e32 v91, 20, v91
	v_add_u32_e32 v92, -5, v0
	s_movk_i32 s14, 0xc4
	s_mov_b64 s[6:7], 0
.LBB105_363:                            ; =>This Inner Loop Header: Depth=1
	buffer_load_dword v93, v91, s[0:3], 0 offen
	v_mov_b32_e32 v94, s14
	ds_read_b32 v94, v94
	v_add_u32_e32 v92, -1, v92
	s_add_i32 s14, s14, 4
	v_cmp_eq_u32_e32 vcc, 0, v92
	v_add_u32_e32 v91, 4, v91
	s_or_b64 s[6:7], vcc, s[6:7]
	s_waitcnt vmcnt(0) lgkmcnt(0)
	v_fmac_f32_e32 v90, v93, v94
	s_andn2_b64 exec, exec, s[6:7]
	s_cbranch_execnz .LBB105_363
; %bb.364:
	s_or_b64 exec, exec, s[6:7]
.LBB105_365:
	s_or_b64 exec, exec, s[12:13]
	v_mov_b32_e32 v91, 0
	ds_read_b32 v91, v91 offset:16
	s_waitcnt lgkmcnt(0)
	v_mul_f32_e32 v90, v90, v91
	buffer_store_dword v90, off, s[0:3], 0 offset:16
.LBB105_366:
	s_or_b64 exec, exec, s[10:11]
	buffer_load_dword v90, off, s[0:3], 0 offset:12
	v_cmp_lt_u32_e64 s[6:7], 3, v0
	s_waitcnt vmcnt(0)
	ds_write_b32 v86, v90
	s_waitcnt lgkmcnt(0)
	; wave barrier
	s_waitcnt lgkmcnt(0)
	s_and_saveexec_b64 s[10:11], s[6:7]
	s_cbranch_execz .LBB105_376
; %bb.367:
	s_andn2_b64 vcc, exec, s[8:9]
	s_cbranch_vccnz .LBB105_369
; %bb.368:
	buffer_load_dword v90, v87, s[0:3], 0 offen
	ds_read_b32 v91, v86
	s_waitcnt vmcnt(0) lgkmcnt(0)
	v_mul_f32_e32 v90, v90, v91
	s_cbranch_execz .LBB105_370
	s_branch .LBB105_371
.LBB105_369:
                                        ; implicit-def: $vgpr90
.LBB105_370:
	ds_read_b32 v90, v86
.LBB105_371:
	s_and_saveexec_b64 s[12:13], s[4:5]
	s_cbranch_execz .LBB105_375
; %bb.372:
	v_add_u32_e32 v91, -4, v0
	s_movk_i32 s14, 0xc0
	s_mov_b64 s[4:5], 0
.LBB105_373:                            ; =>This Inner Loop Header: Depth=1
	buffer_load_dword v92, v89, s[0:3], 0 offen
	v_mov_b32_e32 v93, s14
	ds_read_b32 v93, v93
	v_add_u32_e32 v91, -1, v91
	s_add_i32 s14, s14, 4
	v_cmp_eq_u32_e32 vcc, 0, v91
	v_add_u32_e32 v89, 4, v89
	s_or_b64 s[4:5], vcc, s[4:5]
	s_waitcnt vmcnt(0) lgkmcnt(0)
	v_fmac_f32_e32 v90, v92, v93
	s_andn2_b64 exec, exec, s[4:5]
	s_cbranch_execnz .LBB105_373
; %bb.374:
	s_or_b64 exec, exec, s[4:5]
.LBB105_375:
	s_or_b64 exec, exec, s[12:13]
	v_mov_b32_e32 v89, 0
	ds_read_b32 v89, v89 offset:12
	s_waitcnt lgkmcnt(0)
	v_mul_f32_e32 v89, v90, v89
	buffer_store_dword v89, off, s[0:3], 0 offset:12
.LBB105_376:
	s_or_b64 exec, exec, s[10:11]
	buffer_load_dword v89, off, s[0:3], 0 offset:8
	v_cmp_lt_u32_e64 s[4:5], 2, v0
	s_waitcnt vmcnt(0)
	ds_write_b32 v86, v89
	s_waitcnt lgkmcnt(0)
	; wave barrier
	s_waitcnt lgkmcnt(0)
	s_and_saveexec_b64 s[10:11], s[4:5]
	s_cbranch_execz .LBB105_386
; %bb.377:
	s_andn2_b64 vcc, exec, s[8:9]
	s_cbranch_vccnz .LBB105_379
; %bb.378:
	buffer_load_dword v89, v87, s[0:3], 0 offen
	ds_read_b32 v90, v86
	s_waitcnt vmcnt(0) lgkmcnt(0)
	v_mul_f32_e32 v89, v89, v90
	s_cbranch_execz .LBB105_380
	s_branch .LBB105_381
.LBB105_379:
                                        ; implicit-def: $vgpr89
.LBB105_380:
	ds_read_b32 v89, v86
.LBB105_381:
	s_and_saveexec_b64 s[12:13], s[6:7]
	s_cbranch_execz .LBB105_385
; %bb.382:
	v_mov_b32_e32 v90, 0
	v_or_b32_e32 v90, 12, v90
	v_add_u32_e32 v91, -3, v0
	s_movk_i32 s14, 0xbc
	s_mov_b64 s[6:7], 0
.LBB105_383:                            ; =>This Inner Loop Header: Depth=1
	buffer_load_dword v92, v90, s[0:3], 0 offen
	v_mov_b32_e32 v93, s14
	ds_read_b32 v93, v93
	v_add_u32_e32 v91, -1, v91
	s_add_i32 s14, s14, 4
	v_cmp_eq_u32_e32 vcc, 0, v91
	v_add_u32_e32 v90, 4, v90
	s_or_b64 s[6:7], vcc, s[6:7]
	s_waitcnt vmcnt(0) lgkmcnt(0)
	v_fmac_f32_e32 v89, v92, v93
	s_andn2_b64 exec, exec, s[6:7]
	s_cbranch_execnz .LBB105_383
; %bb.384:
	s_or_b64 exec, exec, s[6:7]
.LBB105_385:
	s_or_b64 exec, exec, s[12:13]
	v_mov_b32_e32 v90, 0
	ds_read_b32 v90, v90 offset:8
	s_waitcnt lgkmcnt(0)
	v_mul_f32_e32 v89, v89, v90
	buffer_store_dword v89, off, s[0:3], 0 offset:8
.LBB105_386:
	s_or_b64 exec, exec, s[10:11]
	buffer_load_dword v89, off, s[0:3], 0 offset:4
	v_cmp_lt_u32_e64 s[6:7], 1, v0
	s_waitcnt vmcnt(0)
	ds_write_b32 v86, v89
	s_waitcnt lgkmcnt(0)
	; wave barrier
	s_waitcnt lgkmcnt(0)
	s_and_saveexec_b64 s[10:11], s[6:7]
	s_cbranch_execz .LBB105_396
; %bb.387:
	s_andn2_b64 vcc, exec, s[8:9]
	s_cbranch_vccnz .LBB105_389
; %bb.388:
	buffer_load_dword v89, v87, s[0:3], 0 offen
	ds_read_b32 v90, v86
	s_waitcnt vmcnt(0) lgkmcnt(0)
	v_mul_f32_e32 v89, v89, v90
	s_cbranch_execz .LBB105_390
	s_branch .LBB105_391
.LBB105_389:
                                        ; implicit-def: $vgpr89
.LBB105_390:
	ds_read_b32 v89, v86
.LBB105_391:
	s_and_saveexec_b64 s[12:13], s[4:5]
	s_cbranch_execz .LBB105_395
; %bb.392:
	v_add_u32_e32 v90, -2, v0
	s_movk_i32 s14, 0xb8
	s_mov_b64 s[4:5], 0
.LBB105_393:                            ; =>This Inner Loop Header: Depth=1
	buffer_load_dword v91, v88, s[0:3], 0 offen
	v_mov_b32_e32 v92, s14
	ds_read_b32 v92, v92
	v_add_u32_e32 v90, -1, v90
	s_add_i32 s14, s14, 4
	v_cmp_eq_u32_e32 vcc, 0, v90
	v_add_u32_e32 v88, 4, v88
	s_or_b64 s[4:5], vcc, s[4:5]
	s_waitcnt vmcnt(0) lgkmcnt(0)
	v_fmac_f32_e32 v89, v91, v92
	s_andn2_b64 exec, exec, s[4:5]
	s_cbranch_execnz .LBB105_393
; %bb.394:
	s_or_b64 exec, exec, s[4:5]
.LBB105_395:
	s_or_b64 exec, exec, s[12:13]
	v_mov_b32_e32 v88, 0
	ds_read_b32 v88, v88 offset:4
	s_waitcnt lgkmcnt(0)
	v_mul_f32_e32 v88, v89, v88
	buffer_store_dword v88, off, s[0:3], 0 offset:4
.LBB105_396:
	s_or_b64 exec, exec, s[10:11]
	buffer_load_dword v88, off, s[0:3], 0
	v_cmp_ne_u32_e32 vcc, 0, v0
	s_waitcnt vmcnt(0)
	ds_write_b32 v86, v88
	s_waitcnt lgkmcnt(0)
	; wave barrier
	s_waitcnt lgkmcnt(0)
	s_and_saveexec_b64 s[4:5], vcc
	s_cbranch_execz .LBB105_406
; %bb.397:
	s_andn2_b64 vcc, exec, s[8:9]
	s_cbranch_vccnz .LBB105_399
; %bb.398:
	buffer_load_dword v88, v87, s[0:3], 0 offen
	ds_read_b32 v89, v86
	s_waitcnt vmcnt(0) lgkmcnt(0)
	v_mul_f32_e32 v88, v88, v89
	s_cbranch_execz .LBB105_400
	s_branch .LBB105_401
.LBB105_399:
                                        ; implicit-def: $vgpr88
.LBB105_400:
	ds_read_b32 v88, v86
.LBB105_401:
	s_and_saveexec_b64 s[10:11], s[6:7]
	s_cbranch_execz .LBB105_405
; %bb.402:
	v_mov_b32_e32 v89, 0
	v_or_b32_e32 v89, 4, v89
	v_add_u32_e32 v90, -1, v0
	s_movk_i32 s12, 0xb4
	s_mov_b64 s[6:7], 0
.LBB105_403:                            ; =>This Inner Loop Header: Depth=1
	buffer_load_dword v91, v89, s[0:3], 0 offen
	v_mov_b32_e32 v92, s12
	ds_read_b32 v92, v92
	v_add_u32_e32 v90, -1, v90
	s_add_i32 s12, s12, 4
	v_cmp_eq_u32_e32 vcc, 0, v90
	v_add_u32_e32 v89, 4, v89
	s_or_b64 s[6:7], vcc, s[6:7]
	s_waitcnt vmcnt(0) lgkmcnt(0)
	v_fmac_f32_e32 v88, v91, v92
	s_andn2_b64 exec, exec, s[6:7]
	s_cbranch_execnz .LBB105_403
; %bb.404:
	s_or_b64 exec, exec, s[6:7]
.LBB105_405:
	s_or_b64 exec, exec, s[10:11]
	v_mov_b32_e32 v89, 0
	ds_read_b32 v89, v89
	s_waitcnt lgkmcnt(0)
	v_mul_f32_e32 v88, v88, v89
	buffer_store_dword v88, off, s[0:3], 0
.LBB105_406:
	s_or_b64 exec, exec, s[4:5]
	s_mov_b64 s[4:5], 0
.LBB105_407:
	s_and_b64 vcc, exec, s[4:5]
	s_cbranch_vccz .LBB105_811
; %bb.408:
	buffer_load_dword v88, off, s[0:3], 0 offset:4
	v_cmp_eq_u32_e64 s[6:7], 0, v0
	s_waitcnt vmcnt(0)
	ds_write_b32 v86, v88
	s_waitcnt lgkmcnt(0)
	; wave barrier
	s_waitcnt lgkmcnt(0)
	s_and_saveexec_b64 s[4:5], s[6:7]
	s_cbranch_execz .LBB105_414
; %bb.409:
	s_and_b64 vcc, exec, s[8:9]
	s_cbranch_vccz .LBB105_411
; %bb.410:
	buffer_load_dword v88, v87, s[0:3], 0 offen
	ds_read_b32 v89, v86
	s_waitcnt vmcnt(0) lgkmcnt(0)
	v_mul_f32_e32 v88, v88, v89
	s_cbranch_execz .LBB105_412
	s_branch .LBB105_413
.LBB105_411:
                                        ; implicit-def: $vgpr88
.LBB105_412:
	ds_read_b32 v88, v86
.LBB105_413:
	v_mov_b32_e32 v89, 0
	ds_read_b32 v89, v89 offset:4
	s_waitcnt lgkmcnt(0)
	v_mul_f32_e32 v88, v88, v89
	buffer_store_dword v88, off, s[0:3], 0 offset:4
.LBB105_414:
	s_or_b64 exec, exec, s[4:5]
	buffer_load_dword v88, off, s[0:3], 0 offset:8
	v_cndmask_b32_e64 v89, 0, 1, s[8:9]
	v_cmp_gt_u32_e32 vcc, 2, v0
	v_cmp_ne_u32_e64 s[4:5], 1, v89
	s_waitcnt vmcnt(0)
	ds_write_b32 v86, v88
	s_waitcnt lgkmcnt(0)
	; wave barrier
	s_waitcnt lgkmcnt(0)
	s_and_saveexec_b64 s[8:9], vcc
	s_cbranch_execz .LBB105_422
; %bb.415:
	s_and_b64 vcc, exec, s[4:5]
	s_cbranch_vccnz .LBB105_417
; %bb.416:
	buffer_load_dword v88, v87, s[0:3], 0 offen
	ds_read_b32 v89, v86
	s_waitcnt vmcnt(0) lgkmcnt(0)
	v_mul_f32_e32 v88, v88, v89
	s_cbranch_execz .LBB105_418
	s_branch .LBB105_419
.LBB105_417:
                                        ; implicit-def: $vgpr88
.LBB105_418:
	ds_read_b32 v88, v86
.LBB105_419:
	s_and_saveexec_b64 s[10:11], s[6:7]
	s_cbranch_execz .LBB105_421
; %bb.420:
	buffer_load_dword v89, v87, s[0:3], 0 offen offset:4
	ds_read_b32 v90, v86 offset:4
	s_waitcnt vmcnt(0) lgkmcnt(0)
	v_fmac_f32_e32 v88, v89, v90
.LBB105_421:
	s_or_b64 exec, exec, s[10:11]
	v_mov_b32_e32 v89, 0
	ds_read_b32 v89, v89 offset:8
	s_waitcnt lgkmcnt(0)
	v_mul_f32_e32 v88, v88, v89
	buffer_store_dword v88, off, s[0:3], 0 offset:8
.LBB105_422:
	s_or_b64 exec, exec, s[8:9]
	buffer_load_dword v88, off, s[0:3], 0 offset:12
	v_cmp_gt_u32_e32 vcc, 3, v0
	s_waitcnt vmcnt(0)
	ds_write_b32 v86, v88
	s_waitcnt lgkmcnt(0)
	; wave barrier
	s_waitcnt lgkmcnt(0)
	s_and_saveexec_b64 s[8:9], vcc
	s_cbranch_execz .LBB105_430
; %bb.423:
	s_and_b64 vcc, exec, s[4:5]
	s_cbranch_vccnz .LBB105_425
; %bb.424:
	buffer_load_dword v88, v87, s[0:3], 0 offen
	ds_read_b32 v89, v86
	s_waitcnt vmcnt(0) lgkmcnt(0)
	v_mul_f32_e32 v88, v88, v89
	s_cbranch_execz .LBB105_426
	s_branch .LBB105_427
.LBB105_425:
                                        ; implicit-def: $vgpr88
.LBB105_426:
	ds_read_b32 v88, v86
.LBB105_427:
	v_cmp_ne_u32_e32 vcc, 2, v0
	s_and_saveexec_b64 s[10:11], vcc
	s_cbranch_execz .LBB105_429
; %bb.428:
	buffer_load_dword v89, v87, s[0:3], 0 offen offset:4
	buffer_load_dword v90, off, s[0:3], 0 offset:8
	v_mov_b32_e32 v91, 0
	ds_read_b32 v92, v86 offset:4
	ds_read_b32 v91, v91 offset:184
	s_waitcnt vmcnt(1) lgkmcnt(1)
	v_fmac_f32_e32 v88, v89, v92
	s_waitcnt vmcnt(0) lgkmcnt(0)
	v_fma_f32 v89, v90, v91, v88
	v_cndmask_b32_e64 v88, v88, v89, s[6:7]
.LBB105_429:
	s_or_b64 exec, exec, s[10:11]
	v_mov_b32_e32 v89, 0
	ds_read_b32 v89, v89 offset:12
	s_waitcnt lgkmcnt(0)
	v_mul_f32_e32 v88, v88, v89
	buffer_store_dword v88, off, s[0:3], 0 offset:12
.LBB105_430:
	s_or_b64 exec, exec, s[8:9]
	buffer_load_dword v88, off, s[0:3], 0 offset:16
	v_cmp_gt_u32_e32 vcc, 4, v0
	s_waitcnt vmcnt(0)
	ds_write_b32 v86, v88
	s_waitcnt lgkmcnt(0)
	; wave barrier
	s_waitcnt lgkmcnt(0)
	s_and_saveexec_b64 s[6:7], vcc
	s_cbranch_execz .LBB105_440
; %bb.431:
	s_and_b64 vcc, exec, s[4:5]
	s_cbranch_vccnz .LBB105_433
; %bb.432:
	buffer_load_dword v88, v87, s[0:3], 0 offen
	ds_read_b32 v89, v86
	s_waitcnt vmcnt(0) lgkmcnt(0)
	v_mul_f32_e32 v88, v88, v89
	s_cbranch_execz .LBB105_434
	s_branch .LBB105_435
.LBB105_433:
                                        ; implicit-def: $vgpr88
.LBB105_434:
	ds_read_b32 v88, v86
.LBB105_435:
	v_cmp_ne_u32_e32 vcc, 3, v0
	s_and_saveexec_b64 s[8:9], vcc
	s_cbranch_execz .LBB105_439
; %bb.436:
	v_mov_b32_e32 v90, 0
	v_add_u32_e32 v89, 0xb4, v1
	v_add3_u32 v90, v1, v90, 4
	s_mov_b64 s[10:11], 0
	v_mov_b32_e32 v91, v0
.LBB105_437:                            ; =>This Inner Loop Header: Depth=1
	buffer_load_dword v92, v90, s[0:3], 0 offen
	ds_read_b32 v93, v89
	v_add_u32_e32 v91, 1, v91
	v_cmp_lt_u32_e32 vcc, 2, v91
	v_add_u32_e32 v89, 4, v89
	v_add_u32_e32 v90, 4, v90
	s_or_b64 s[10:11], vcc, s[10:11]
	s_waitcnt vmcnt(0) lgkmcnt(0)
	v_fmac_f32_e32 v88, v92, v93
	s_andn2_b64 exec, exec, s[10:11]
	s_cbranch_execnz .LBB105_437
; %bb.438:
	s_or_b64 exec, exec, s[10:11]
.LBB105_439:
	s_or_b64 exec, exec, s[8:9]
	v_mov_b32_e32 v89, 0
	ds_read_b32 v89, v89 offset:16
	s_waitcnt lgkmcnt(0)
	v_mul_f32_e32 v88, v88, v89
	buffer_store_dword v88, off, s[0:3], 0 offset:16
.LBB105_440:
	s_or_b64 exec, exec, s[6:7]
	buffer_load_dword v88, off, s[0:3], 0 offset:20
	v_cmp_gt_u32_e32 vcc, 5, v0
	s_waitcnt vmcnt(0)
	ds_write_b32 v86, v88
	s_waitcnt lgkmcnt(0)
	; wave barrier
	s_waitcnt lgkmcnt(0)
	s_and_saveexec_b64 s[6:7], vcc
	s_cbranch_execz .LBB105_450
; %bb.441:
	s_and_b64 vcc, exec, s[4:5]
	s_cbranch_vccnz .LBB105_443
; %bb.442:
	buffer_load_dword v88, v87, s[0:3], 0 offen
	ds_read_b32 v89, v86
	s_waitcnt vmcnt(0) lgkmcnt(0)
	v_mul_f32_e32 v88, v88, v89
	s_cbranch_execz .LBB105_444
	s_branch .LBB105_445
.LBB105_443:
                                        ; implicit-def: $vgpr88
.LBB105_444:
	ds_read_b32 v88, v86
.LBB105_445:
	v_cmp_ne_u32_e32 vcc, 4, v0
	s_and_saveexec_b64 s[8:9], vcc
	s_cbranch_execz .LBB105_449
; %bb.446:
	v_mov_b32_e32 v90, 0
	v_add_u32_e32 v89, 0xb4, v1
	v_add3_u32 v90, v1, v90, 4
	s_mov_b64 s[10:11], 0
	v_mov_b32_e32 v91, v0
.LBB105_447:                            ; =>This Inner Loop Header: Depth=1
	buffer_load_dword v92, v90, s[0:3], 0 offen
	ds_read_b32 v93, v89
	v_add_u32_e32 v91, 1, v91
	v_cmp_lt_u32_e32 vcc, 3, v91
	v_add_u32_e32 v89, 4, v89
	v_add_u32_e32 v90, 4, v90
	s_or_b64 s[10:11], vcc, s[10:11]
	s_waitcnt vmcnt(0) lgkmcnt(0)
	v_fmac_f32_e32 v88, v92, v93
	s_andn2_b64 exec, exec, s[10:11]
	s_cbranch_execnz .LBB105_447
; %bb.448:
	s_or_b64 exec, exec, s[10:11]
.LBB105_449:
	s_or_b64 exec, exec, s[8:9]
	v_mov_b32_e32 v89, 0
	ds_read_b32 v89, v89 offset:20
	s_waitcnt lgkmcnt(0)
	v_mul_f32_e32 v88, v88, v89
	buffer_store_dword v88, off, s[0:3], 0 offset:20
.LBB105_450:
	s_or_b64 exec, exec, s[6:7]
	buffer_load_dword v88, off, s[0:3], 0 offset:24
	v_cmp_gt_u32_e32 vcc, 6, v0
	s_waitcnt vmcnt(0)
	ds_write_b32 v86, v88
	s_waitcnt lgkmcnt(0)
	; wave barrier
	s_waitcnt lgkmcnt(0)
	s_and_saveexec_b64 s[6:7], vcc
	s_cbranch_execz .LBB105_460
; %bb.451:
	s_and_b64 vcc, exec, s[4:5]
	s_cbranch_vccnz .LBB105_453
; %bb.452:
	buffer_load_dword v88, v87, s[0:3], 0 offen
	ds_read_b32 v89, v86
	s_waitcnt vmcnt(0) lgkmcnt(0)
	v_mul_f32_e32 v88, v88, v89
	s_cbranch_execz .LBB105_454
	s_branch .LBB105_455
.LBB105_453:
                                        ; implicit-def: $vgpr88
.LBB105_454:
	ds_read_b32 v88, v86
.LBB105_455:
	v_cmp_ne_u32_e32 vcc, 5, v0
	s_and_saveexec_b64 s[8:9], vcc
	s_cbranch_execz .LBB105_459
; %bb.456:
	v_mov_b32_e32 v90, 0
	v_add_u32_e32 v89, 0xb4, v1
	v_add3_u32 v90, v1, v90, 4
	s_mov_b64 s[10:11], 0
	v_mov_b32_e32 v91, v0
.LBB105_457:                            ; =>This Inner Loop Header: Depth=1
	buffer_load_dword v92, v90, s[0:3], 0 offen
	ds_read_b32 v93, v89
	v_add_u32_e32 v91, 1, v91
	v_cmp_lt_u32_e32 vcc, 4, v91
	v_add_u32_e32 v89, 4, v89
	v_add_u32_e32 v90, 4, v90
	s_or_b64 s[10:11], vcc, s[10:11]
	s_waitcnt vmcnt(0) lgkmcnt(0)
	v_fmac_f32_e32 v88, v92, v93
	s_andn2_b64 exec, exec, s[10:11]
	s_cbranch_execnz .LBB105_457
; %bb.458:
	s_or_b64 exec, exec, s[10:11]
.LBB105_459:
	s_or_b64 exec, exec, s[8:9]
	v_mov_b32_e32 v89, 0
	ds_read_b32 v89, v89 offset:24
	s_waitcnt lgkmcnt(0)
	v_mul_f32_e32 v88, v88, v89
	buffer_store_dword v88, off, s[0:3], 0 offset:24
.LBB105_460:
	s_or_b64 exec, exec, s[6:7]
	buffer_load_dword v88, off, s[0:3], 0 offset:28
	v_cmp_gt_u32_e32 vcc, 7, v0
	s_waitcnt vmcnt(0)
	ds_write_b32 v86, v88
	s_waitcnt lgkmcnt(0)
	; wave barrier
	s_waitcnt lgkmcnt(0)
	s_and_saveexec_b64 s[6:7], vcc
	s_cbranch_execz .LBB105_470
; %bb.461:
	s_and_b64 vcc, exec, s[4:5]
	s_cbranch_vccnz .LBB105_463
; %bb.462:
	buffer_load_dword v88, v87, s[0:3], 0 offen
	ds_read_b32 v89, v86
	s_waitcnt vmcnt(0) lgkmcnt(0)
	v_mul_f32_e32 v88, v88, v89
	s_cbranch_execz .LBB105_464
	s_branch .LBB105_465
.LBB105_463:
                                        ; implicit-def: $vgpr88
.LBB105_464:
	ds_read_b32 v88, v86
.LBB105_465:
	v_cmp_ne_u32_e32 vcc, 6, v0
	s_and_saveexec_b64 s[8:9], vcc
	s_cbranch_execz .LBB105_469
; %bb.466:
	v_mov_b32_e32 v90, 0
	v_add_u32_e32 v89, 0xb4, v1
	v_add3_u32 v90, v1, v90, 4
	s_mov_b64 s[10:11], 0
	v_mov_b32_e32 v91, v0
.LBB105_467:                            ; =>This Inner Loop Header: Depth=1
	buffer_load_dword v92, v90, s[0:3], 0 offen
	ds_read_b32 v93, v89
	v_add_u32_e32 v91, 1, v91
	v_cmp_lt_u32_e32 vcc, 5, v91
	v_add_u32_e32 v89, 4, v89
	v_add_u32_e32 v90, 4, v90
	s_or_b64 s[10:11], vcc, s[10:11]
	s_waitcnt vmcnt(0) lgkmcnt(0)
	v_fmac_f32_e32 v88, v92, v93
	s_andn2_b64 exec, exec, s[10:11]
	s_cbranch_execnz .LBB105_467
; %bb.468:
	s_or_b64 exec, exec, s[10:11]
.LBB105_469:
	s_or_b64 exec, exec, s[8:9]
	v_mov_b32_e32 v89, 0
	ds_read_b32 v89, v89 offset:28
	s_waitcnt lgkmcnt(0)
	v_mul_f32_e32 v88, v88, v89
	buffer_store_dword v88, off, s[0:3], 0 offset:28
.LBB105_470:
	s_or_b64 exec, exec, s[6:7]
	buffer_load_dword v88, off, s[0:3], 0 offset:32
	v_cmp_gt_u32_e32 vcc, 8, v0
	s_waitcnt vmcnt(0)
	ds_write_b32 v86, v88
	s_waitcnt lgkmcnt(0)
	; wave barrier
	s_waitcnt lgkmcnt(0)
	s_and_saveexec_b64 s[6:7], vcc
	s_cbranch_execz .LBB105_480
; %bb.471:
	s_and_b64 vcc, exec, s[4:5]
	s_cbranch_vccnz .LBB105_473
; %bb.472:
	buffer_load_dword v88, v87, s[0:3], 0 offen
	ds_read_b32 v89, v86
	s_waitcnt vmcnt(0) lgkmcnt(0)
	v_mul_f32_e32 v88, v88, v89
	s_cbranch_execz .LBB105_474
	s_branch .LBB105_475
.LBB105_473:
                                        ; implicit-def: $vgpr88
.LBB105_474:
	ds_read_b32 v88, v86
.LBB105_475:
	v_cmp_ne_u32_e32 vcc, 7, v0
	s_and_saveexec_b64 s[8:9], vcc
	s_cbranch_execz .LBB105_479
; %bb.476:
	v_mov_b32_e32 v90, 0
	v_add_u32_e32 v89, 0xb4, v1
	v_add3_u32 v90, v1, v90, 4
	s_mov_b64 s[10:11], 0
	v_mov_b32_e32 v91, v0
.LBB105_477:                            ; =>This Inner Loop Header: Depth=1
	buffer_load_dword v92, v90, s[0:3], 0 offen
	ds_read_b32 v93, v89
	v_add_u32_e32 v91, 1, v91
	v_cmp_lt_u32_e32 vcc, 6, v91
	v_add_u32_e32 v89, 4, v89
	v_add_u32_e32 v90, 4, v90
	s_or_b64 s[10:11], vcc, s[10:11]
	s_waitcnt vmcnt(0) lgkmcnt(0)
	v_fmac_f32_e32 v88, v92, v93
	s_andn2_b64 exec, exec, s[10:11]
	s_cbranch_execnz .LBB105_477
; %bb.478:
	s_or_b64 exec, exec, s[10:11]
.LBB105_479:
	s_or_b64 exec, exec, s[8:9]
	v_mov_b32_e32 v89, 0
	ds_read_b32 v89, v89 offset:32
	s_waitcnt lgkmcnt(0)
	v_mul_f32_e32 v88, v88, v89
	buffer_store_dword v88, off, s[0:3], 0 offset:32
.LBB105_480:
	s_or_b64 exec, exec, s[6:7]
	buffer_load_dword v88, off, s[0:3], 0 offset:36
	v_cmp_gt_u32_e32 vcc, 9, v0
	s_waitcnt vmcnt(0)
	ds_write_b32 v86, v88
	s_waitcnt lgkmcnt(0)
	; wave barrier
	s_waitcnt lgkmcnt(0)
	s_and_saveexec_b64 s[6:7], vcc
	s_cbranch_execz .LBB105_490
; %bb.481:
	s_and_b64 vcc, exec, s[4:5]
	s_cbranch_vccnz .LBB105_483
; %bb.482:
	buffer_load_dword v88, v87, s[0:3], 0 offen
	ds_read_b32 v89, v86
	s_waitcnt vmcnt(0) lgkmcnt(0)
	v_mul_f32_e32 v88, v88, v89
	s_cbranch_execz .LBB105_484
	s_branch .LBB105_485
.LBB105_483:
                                        ; implicit-def: $vgpr88
.LBB105_484:
	ds_read_b32 v88, v86
.LBB105_485:
	v_cmp_ne_u32_e32 vcc, 8, v0
	s_and_saveexec_b64 s[8:9], vcc
	s_cbranch_execz .LBB105_489
; %bb.486:
	v_mov_b32_e32 v90, 0
	v_add_u32_e32 v89, 0xb4, v1
	v_add3_u32 v90, v1, v90, 4
	s_mov_b64 s[10:11], 0
	v_mov_b32_e32 v91, v0
.LBB105_487:                            ; =>This Inner Loop Header: Depth=1
	buffer_load_dword v92, v90, s[0:3], 0 offen
	ds_read_b32 v93, v89
	v_add_u32_e32 v91, 1, v91
	v_cmp_lt_u32_e32 vcc, 7, v91
	v_add_u32_e32 v89, 4, v89
	v_add_u32_e32 v90, 4, v90
	s_or_b64 s[10:11], vcc, s[10:11]
	s_waitcnt vmcnt(0) lgkmcnt(0)
	v_fmac_f32_e32 v88, v92, v93
	s_andn2_b64 exec, exec, s[10:11]
	s_cbranch_execnz .LBB105_487
; %bb.488:
	s_or_b64 exec, exec, s[10:11]
.LBB105_489:
	s_or_b64 exec, exec, s[8:9]
	v_mov_b32_e32 v89, 0
	ds_read_b32 v89, v89 offset:36
	s_waitcnt lgkmcnt(0)
	v_mul_f32_e32 v88, v88, v89
	buffer_store_dword v88, off, s[0:3], 0 offset:36
.LBB105_490:
	s_or_b64 exec, exec, s[6:7]
	buffer_load_dword v88, off, s[0:3], 0 offset:40
	v_cmp_gt_u32_e32 vcc, 10, v0
	s_waitcnt vmcnt(0)
	ds_write_b32 v86, v88
	s_waitcnt lgkmcnt(0)
	; wave barrier
	s_waitcnt lgkmcnt(0)
	s_and_saveexec_b64 s[6:7], vcc
	s_cbranch_execz .LBB105_500
; %bb.491:
	s_and_b64 vcc, exec, s[4:5]
	s_cbranch_vccnz .LBB105_493
; %bb.492:
	buffer_load_dword v88, v87, s[0:3], 0 offen
	ds_read_b32 v89, v86
	s_waitcnt vmcnt(0) lgkmcnt(0)
	v_mul_f32_e32 v88, v88, v89
	s_cbranch_execz .LBB105_494
	s_branch .LBB105_495
.LBB105_493:
                                        ; implicit-def: $vgpr88
.LBB105_494:
	ds_read_b32 v88, v86
.LBB105_495:
	v_cmp_ne_u32_e32 vcc, 9, v0
	s_and_saveexec_b64 s[8:9], vcc
	s_cbranch_execz .LBB105_499
; %bb.496:
	v_mov_b32_e32 v90, 0
	v_add_u32_e32 v89, 0xb4, v1
	v_add3_u32 v90, v1, v90, 4
	s_mov_b64 s[10:11], 0
	v_mov_b32_e32 v91, v0
.LBB105_497:                            ; =>This Inner Loop Header: Depth=1
	buffer_load_dword v92, v90, s[0:3], 0 offen
	ds_read_b32 v93, v89
	v_add_u32_e32 v91, 1, v91
	v_cmp_lt_u32_e32 vcc, 8, v91
	v_add_u32_e32 v89, 4, v89
	v_add_u32_e32 v90, 4, v90
	s_or_b64 s[10:11], vcc, s[10:11]
	s_waitcnt vmcnt(0) lgkmcnt(0)
	v_fmac_f32_e32 v88, v92, v93
	s_andn2_b64 exec, exec, s[10:11]
	s_cbranch_execnz .LBB105_497
; %bb.498:
	s_or_b64 exec, exec, s[10:11]
.LBB105_499:
	s_or_b64 exec, exec, s[8:9]
	v_mov_b32_e32 v89, 0
	ds_read_b32 v89, v89 offset:40
	s_waitcnt lgkmcnt(0)
	v_mul_f32_e32 v88, v88, v89
	buffer_store_dword v88, off, s[0:3], 0 offset:40
.LBB105_500:
	s_or_b64 exec, exec, s[6:7]
	buffer_load_dword v88, off, s[0:3], 0 offset:44
	v_cmp_gt_u32_e32 vcc, 11, v0
	s_waitcnt vmcnt(0)
	ds_write_b32 v86, v88
	s_waitcnt lgkmcnt(0)
	; wave barrier
	s_waitcnt lgkmcnt(0)
	s_and_saveexec_b64 s[6:7], vcc
	s_cbranch_execz .LBB105_510
; %bb.501:
	s_and_b64 vcc, exec, s[4:5]
	s_cbranch_vccnz .LBB105_503
; %bb.502:
	buffer_load_dword v88, v87, s[0:3], 0 offen
	ds_read_b32 v89, v86
	s_waitcnt vmcnt(0) lgkmcnt(0)
	v_mul_f32_e32 v88, v88, v89
	s_cbranch_execz .LBB105_504
	s_branch .LBB105_505
.LBB105_503:
                                        ; implicit-def: $vgpr88
.LBB105_504:
	ds_read_b32 v88, v86
.LBB105_505:
	v_cmp_ne_u32_e32 vcc, 10, v0
	s_and_saveexec_b64 s[8:9], vcc
	s_cbranch_execz .LBB105_509
; %bb.506:
	v_mov_b32_e32 v90, 0
	v_add_u32_e32 v89, 0xb4, v1
	v_add3_u32 v90, v1, v90, 4
	s_mov_b64 s[10:11], 0
	v_mov_b32_e32 v91, v0
.LBB105_507:                            ; =>This Inner Loop Header: Depth=1
	buffer_load_dword v92, v90, s[0:3], 0 offen
	ds_read_b32 v93, v89
	v_add_u32_e32 v91, 1, v91
	v_cmp_lt_u32_e32 vcc, 9, v91
	v_add_u32_e32 v89, 4, v89
	v_add_u32_e32 v90, 4, v90
	s_or_b64 s[10:11], vcc, s[10:11]
	s_waitcnt vmcnt(0) lgkmcnt(0)
	v_fmac_f32_e32 v88, v92, v93
	s_andn2_b64 exec, exec, s[10:11]
	s_cbranch_execnz .LBB105_507
; %bb.508:
	s_or_b64 exec, exec, s[10:11]
.LBB105_509:
	s_or_b64 exec, exec, s[8:9]
	v_mov_b32_e32 v89, 0
	ds_read_b32 v89, v89 offset:44
	s_waitcnt lgkmcnt(0)
	v_mul_f32_e32 v88, v88, v89
	buffer_store_dword v88, off, s[0:3], 0 offset:44
.LBB105_510:
	s_or_b64 exec, exec, s[6:7]
	buffer_load_dword v88, off, s[0:3], 0 offset:48
	v_cmp_gt_u32_e32 vcc, 12, v0
	s_waitcnt vmcnt(0)
	ds_write_b32 v86, v88
	s_waitcnt lgkmcnt(0)
	; wave barrier
	s_waitcnt lgkmcnt(0)
	s_and_saveexec_b64 s[6:7], vcc
	s_cbranch_execz .LBB105_520
; %bb.511:
	s_and_b64 vcc, exec, s[4:5]
	s_cbranch_vccnz .LBB105_513
; %bb.512:
	buffer_load_dword v88, v87, s[0:3], 0 offen
	ds_read_b32 v89, v86
	s_waitcnt vmcnt(0) lgkmcnt(0)
	v_mul_f32_e32 v88, v88, v89
	s_cbranch_execz .LBB105_514
	s_branch .LBB105_515
.LBB105_513:
                                        ; implicit-def: $vgpr88
.LBB105_514:
	ds_read_b32 v88, v86
.LBB105_515:
	v_cmp_ne_u32_e32 vcc, 11, v0
	s_and_saveexec_b64 s[8:9], vcc
	s_cbranch_execz .LBB105_519
; %bb.516:
	v_mov_b32_e32 v90, 0
	v_add_u32_e32 v89, 0xb4, v1
	v_add3_u32 v90, v1, v90, 4
	s_mov_b64 s[10:11], 0
	v_mov_b32_e32 v91, v0
.LBB105_517:                            ; =>This Inner Loop Header: Depth=1
	buffer_load_dword v92, v90, s[0:3], 0 offen
	ds_read_b32 v93, v89
	v_add_u32_e32 v91, 1, v91
	v_cmp_lt_u32_e32 vcc, 10, v91
	v_add_u32_e32 v89, 4, v89
	v_add_u32_e32 v90, 4, v90
	s_or_b64 s[10:11], vcc, s[10:11]
	s_waitcnt vmcnt(0) lgkmcnt(0)
	v_fmac_f32_e32 v88, v92, v93
	s_andn2_b64 exec, exec, s[10:11]
	s_cbranch_execnz .LBB105_517
; %bb.518:
	s_or_b64 exec, exec, s[10:11]
.LBB105_519:
	s_or_b64 exec, exec, s[8:9]
	v_mov_b32_e32 v89, 0
	ds_read_b32 v89, v89 offset:48
	s_waitcnt lgkmcnt(0)
	v_mul_f32_e32 v88, v88, v89
	buffer_store_dword v88, off, s[0:3], 0 offset:48
.LBB105_520:
	s_or_b64 exec, exec, s[6:7]
	buffer_load_dword v88, off, s[0:3], 0 offset:52
	v_cmp_gt_u32_e32 vcc, 13, v0
	s_waitcnt vmcnt(0)
	ds_write_b32 v86, v88
	s_waitcnt lgkmcnt(0)
	; wave barrier
	s_waitcnt lgkmcnt(0)
	s_and_saveexec_b64 s[6:7], vcc
	s_cbranch_execz .LBB105_530
; %bb.521:
	s_and_b64 vcc, exec, s[4:5]
	s_cbranch_vccnz .LBB105_523
; %bb.522:
	buffer_load_dword v88, v87, s[0:3], 0 offen
	ds_read_b32 v89, v86
	s_waitcnt vmcnt(0) lgkmcnt(0)
	v_mul_f32_e32 v88, v88, v89
	s_cbranch_execz .LBB105_524
	s_branch .LBB105_525
.LBB105_523:
                                        ; implicit-def: $vgpr88
.LBB105_524:
	ds_read_b32 v88, v86
.LBB105_525:
	v_cmp_ne_u32_e32 vcc, 12, v0
	s_and_saveexec_b64 s[8:9], vcc
	s_cbranch_execz .LBB105_529
; %bb.526:
	v_mov_b32_e32 v90, 0
	v_add_u32_e32 v89, 0xb4, v1
	v_add3_u32 v90, v1, v90, 4
	s_mov_b64 s[10:11], 0
	v_mov_b32_e32 v91, v0
.LBB105_527:                            ; =>This Inner Loop Header: Depth=1
	buffer_load_dword v92, v90, s[0:3], 0 offen
	ds_read_b32 v93, v89
	v_add_u32_e32 v91, 1, v91
	v_cmp_lt_u32_e32 vcc, 11, v91
	v_add_u32_e32 v89, 4, v89
	v_add_u32_e32 v90, 4, v90
	s_or_b64 s[10:11], vcc, s[10:11]
	s_waitcnt vmcnt(0) lgkmcnt(0)
	v_fmac_f32_e32 v88, v92, v93
	s_andn2_b64 exec, exec, s[10:11]
	s_cbranch_execnz .LBB105_527
; %bb.528:
	s_or_b64 exec, exec, s[10:11]
.LBB105_529:
	s_or_b64 exec, exec, s[8:9]
	v_mov_b32_e32 v89, 0
	ds_read_b32 v89, v89 offset:52
	s_waitcnt lgkmcnt(0)
	v_mul_f32_e32 v88, v88, v89
	buffer_store_dword v88, off, s[0:3], 0 offset:52
.LBB105_530:
	s_or_b64 exec, exec, s[6:7]
	buffer_load_dword v88, off, s[0:3], 0 offset:56
	v_cmp_gt_u32_e32 vcc, 14, v0
	s_waitcnt vmcnt(0)
	ds_write_b32 v86, v88
	s_waitcnt lgkmcnt(0)
	; wave barrier
	s_waitcnt lgkmcnt(0)
	s_and_saveexec_b64 s[6:7], vcc
	s_cbranch_execz .LBB105_540
; %bb.531:
	s_and_b64 vcc, exec, s[4:5]
	s_cbranch_vccnz .LBB105_533
; %bb.532:
	buffer_load_dword v88, v87, s[0:3], 0 offen
	ds_read_b32 v89, v86
	s_waitcnt vmcnt(0) lgkmcnt(0)
	v_mul_f32_e32 v88, v88, v89
	s_cbranch_execz .LBB105_534
	s_branch .LBB105_535
.LBB105_533:
                                        ; implicit-def: $vgpr88
.LBB105_534:
	ds_read_b32 v88, v86
.LBB105_535:
	v_cmp_ne_u32_e32 vcc, 13, v0
	s_and_saveexec_b64 s[8:9], vcc
	s_cbranch_execz .LBB105_539
; %bb.536:
	v_mov_b32_e32 v90, 0
	v_add_u32_e32 v89, 0xb4, v1
	v_add3_u32 v90, v1, v90, 4
	s_mov_b64 s[10:11], 0
	v_mov_b32_e32 v91, v0
.LBB105_537:                            ; =>This Inner Loop Header: Depth=1
	buffer_load_dword v92, v90, s[0:3], 0 offen
	ds_read_b32 v93, v89
	v_add_u32_e32 v91, 1, v91
	v_cmp_lt_u32_e32 vcc, 12, v91
	v_add_u32_e32 v89, 4, v89
	v_add_u32_e32 v90, 4, v90
	s_or_b64 s[10:11], vcc, s[10:11]
	s_waitcnt vmcnt(0) lgkmcnt(0)
	v_fmac_f32_e32 v88, v92, v93
	s_andn2_b64 exec, exec, s[10:11]
	s_cbranch_execnz .LBB105_537
; %bb.538:
	s_or_b64 exec, exec, s[10:11]
.LBB105_539:
	s_or_b64 exec, exec, s[8:9]
	v_mov_b32_e32 v89, 0
	ds_read_b32 v89, v89 offset:56
	s_waitcnt lgkmcnt(0)
	v_mul_f32_e32 v88, v88, v89
	buffer_store_dword v88, off, s[0:3], 0 offset:56
.LBB105_540:
	s_or_b64 exec, exec, s[6:7]
	buffer_load_dword v88, off, s[0:3], 0 offset:60
	v_cmp_gt_u32_e32 vcc, 15, v0
	s_waitcnt vmcnt(0)
	ds_write_b32 v86, v88
	s_waitcnt lgkmcnt(0)
	; wave barrier
	s_waitcnt lgkmcnt(0)
	s_and_saveexec_b64 s[6:7], vcc
	s_cbranch_execz .LBB105_550
; %bb.541:
	s_and_b64 vcc, exec, s[4:5]
	s_cbranch_vccnz .LBB105_543
; %bb.542:
	buffer_load_dword v88, v87, s[0:3], 0 offen
	ds_read_b32 v89, v86
	s_waitcnt vmcnt(0) lgkmcnt(0)
	v_mul_f32_e32 v88, v88, v89
	s_cbranch_execz .LBB105_544
	s_branch .LBB105_545
.LBB105_543:
                                        ; implicit-def: $vgpr88
.LBB105_544:
	ds_read_b32 v88, v86
.LBB105_545:
	v_cmp_ne_u32_e32 vcc, 14, v0
	s_and_saveexec_b64 s[8:9], vcc
	s_cbranch_execz .LBB105_549
; %bb.546:
	v_mov_b32_e32 v90, 0
	v_add_u32_e32 v89, 0xb4, v1
	v_add3_u32 v90, v1, v90, 4
	s_mov_b64 s[10:11], 0
	v_mov_b32_e32 v91, v0
.LBB105_547:                            ; =>This Inner Loop Header: Depth=1
	buffer_load_dword v92, v90, s[0:3], 0 offen
	ds_read_b32 v93, v89
	v_add_u32_e32 v91, 1, v91
	v_cmp_lt_u32_e32 vcc, 13, v91
	v_add_u32_e32 v89, 4, v89
	v_add_u32_e32 v90, 4, v90
	s_or_b64 s[10:11], vcc, s[10:11]
	s_waitcnt vmcnt(0) lgkmcnt(0)
	v_fmac_f32_e32 v88, v92, v93
	s_andn2_b64 exec, exec, s[10:11]
	s_cbranch_execnz .LBB105_547
; %bb.548:
	s_or_b64 exec, exec, s[10:11]
.LBB105_549:
	s_or_b64 exec, exec, s[8:9]
	v_mov_b32_e32 v89, 0
	ds_read_b32 v89, v89 offset:60
	s_waitcnt lgkmcnt(0)
	v_mul_f32_e32 v88, v88, v89
	buffer_store_dword v88, off, s[0:3], 0 offset:60
.LBB105_550:
	s_or_b64 exec, exec, s[6:7]
	buffer_load_dword v88, off, s[0:3], 0 offset:64
	v_cmp_gt_u32_e32 vcc, 16, v0
	s_waitcnt vmcnt(0)
	ds_write_b32 v86, v88
	s_waitcnt lgkmcnt(0)
	; wave barrier
	s_waitcnt lgkmcnt(0)
	s_and_saveexec_b64 s[6:7], vcc
	s_cbranch_execz .LBB105_560
; %bb.551:
	s_and_b64 vcc, exec, s[4:5]
	s_cbranch_vccnz .LBB105_553
; %bb.552:
	buffer_load_dword v88, v87, s[0:3], 0 offen
	ds_read_b32 v89, v86
	s_waitcnt vmcnt(0) lgkmcnt(0)
	v_mul_f32_e32 v88, v88, v89
	s_cbranch_execz .LBB105_554
	s_branch .LBB105_555
.LBB105_553:
                                        ; implicit-def: $vgpr88
.LBB105_554:
	ds_read_b32 v88, v86
.LBB105_555:
	v_cmp_ne_u32_e32 vcc, 15, v0
	s_and_saveexec_b64 s[8:9], vcc
	s_cbranch_execz .LBB105_559
; %bb.556:
	v_mov_b32_e32 v90, 0
	v_add_u32_e32 v89, 0xb4, v1
	v_add3_u32 v90, v1, v90, 4
	s_mov_b64 s[10:11], 0
	v_mov_b32_e32 v91, v0
.LBB105_557:                            ; =>This Inner Loop Header: Depth=1
	buffer_load_dword v92, v90, s[0:3], 0 offen
	ds_read_b32 v93, v89
	v_add_u32_e32 v91, 1, v91
	v_cmp_lt_u32_e32 vcc, 14, v91
	v_add_u32_e32 v89, 4, v89
	v_add_u32_e32 v90, 4, v90
	s_or_b64 s[10:11], vcc, s[10:11]
	s_waitcnt vmcnt(0) lgkmcnt(0)
	v_fmac_f32_e32 v88, v92, v93
	s_andn2_b64 exec, exec, s[10:11]
	s_cbranch_execnz .LBB105_557
; %bb.558:
	s_or_b64 exec, exec, s[10:11]
.LBB105_559:
	s_or_b64 exec, exec, s[8:9]
	v_mov_b32_e32 v89, 0
	ds_read_b32 v89, v89 offset:64
	s_waitcnt lgkmcnt(0)
	v_mul_f32_e32 v88, v88, v89
	buffer_store_dword v88, off, s[0:3], 0 offset:64
.LBB105_560:
	s_or_b64 exec, exec, s[6:7]
	buffer_load_dword v88, off, s[0:3], 0 offset:68
	v_cmp_gt_u32_e32 vcc, 17, v0
	s_waitcnt vmcnt(0)
	ds_write_b32 v86, v88
	s_waitcnt lgkmcnt(0)
	; wave barrier
	s_waitcnt lgkmcnt(0)
	s_and_saveexec_b64 s[6:7], vcc
	s_cbranch_execz .LBB105_570
; %bb.561:
	s_and_b64 vcc, exec, s[4:5]
	s_cbranch_vccnz .LBB105_563
; %bb.562:
	buffer_load_dword v88, v87, s[0:3], 0 offen
	ds_read_b32 v89, v86
	s_waitcnt vmcnt(0) lgkmcnt(0)
	v_mul_f32_e32 v88, v88, v89
	s_cbranch_execz .LBB105_564
	s_branch .LBB105_565
.LBB105_563:
                                        ; implicit-def: $vgpr88
.LBB105_564:
	ds_read_b32 v88, v86
.LBB105_565:
	v_cmp_ne_u32_e32 vcc, 16, v0
	s_and_saveexec_b64 s[8:9], vcc
	s_cbranch_execz .LBB105_569
; %bb.566:
	v_mov_b32_e32 v90, 0
	v_add_u32_e32 v89, 0xb4, v1
	v_add3_u32 v90, v1, v90, 4
	s_mov_b64 s[10:11], 0
	v_mov_b32_e32 v91, v0
.LBB105_567:                            ; =>This Inner Loop Header: Depth=1
	buffer_load_dword v92, v90, s[0:3], 0 offen
	ds_read_b32 v93, v89
	v_add_u32_e32 v91, 1, v91
	v_cmp_lt_u32_e32 vcc, 15, v91
	v_add_u32_e32 v89, 4, v89
	v_add_u32_e32 v90, 4, v90
	s_or_b64 s[10:11], vcc, s[10:11]
	s_waitcnt vmcnt(0) lgkmcnt(0)
	v_fmac_f32_e32 v88, v92, v93
	s_andn2_b64 exec, exec, s[10:11]
	s_cbranch_execnz .LBB105_567
; %bb.568:
	s_or_b64 exec, exec, s[10:11]
.LBB105_569:
	s_or_b64 exec, exec, s[8:9]
	v_mov_b32_e32 v89, 0
	ds_read_b32 v89, v89 offset:68
	s_waitcnt lgkmcnt(0)
	v_mul_f32_e32 v88, v88, v89
	buffer_store_dword v88, off, s[0:3], 0 offset:68
.LBB105_570:
	s_or_b64 exec, exec, s[6:7]
	buffer_load_dword v88, off, s[0:3], 0 offset:72
	v_cmp_gt_u32_e32 vcc, 18, v0
	s_waitcnt vmcnt(0)
	ds_write_b32 v86, v88
	s_waitcnt lgkmcnt(0)
	; wave barrier
	s_waitcnt lgkmcnt(0)
	s_and_saveexec_b64 s[6:7], vcc
	s_cbranch_execz .LBB105_580
; %bb.571:
	s_and_b64 vcc, exec, s[4:5]
	s_cbranch_vccnz .LBB105_573
; %bb.572:
	buffer_load_dword v88, v87, s[0:3], 0 offen
	ds_read_b32 v89, v86
	s_waitcnt vmcnt(0) lgkmcnt(0)
	v_mul_f32_e32 v88, v88, v89
	s_cbranch_execz .LBB105_574
	s_branch .LBB105_575
.LBB105_573:
                                        ; implicit-def: $vgpr88
.LBB105_574:
	ds_read_b32 v88, v86
.LBB105_575:
	v_cmp_ne_u32_e32 vcc, 17, v0
	s_and_saveexec_b64 s[8:9], vcc
	s_cbranch_execz .LBB105_579
; %bb.576:
	v_mov_b32_e32 v90, 0
	v_add_u32_e32 v89, 0xb4, v1
	v_add3_u32 v90, v1, v90, 4
	s_mov_b64 s[10:11], 0
	v_mov_b32_e32 v91, v0
.LBB105_577:                            ; =>This Inner Loop Header: Depth=1
	buffer_load_dword v92, v90, s[0:3], 0 offen
	ds_read_b32 v93, v89
	v_add_u32_e32 v91, 1, v91
	v_cmp_lt_u32_e32 vcc, 16, v91
	v_add_u32_e32 v89, 4, v89
	v_add_u32_e32 v90, 4, v90
	s_or_b64 s[10:11], vcc, s[10:11]
	s_waitcnt vmcnt(0) lgkmcnt(0)
	v_fmac_f32_e32 v88, v92, v93
	s_andn2_b64 exec, exec, s[10:11]
	s_cbranch_execnz .LBB105_577
; %bb.578:
	s_or_b64 exec, exec, s[10:11]
.LBB105_579:
	s_or_b64 exec, exec, s[8:9]
	v_mov_b32_e32 v89, 0
	ds_read_b32 v89, v89 offset:72
	s_waitcnt lgkmcnt(0)
	v_mul_f32_e32 v88, v88, v89
	buffer_store_dword v88, off, s[0:3], 0 offset:72
.LBB105_580:
	s_or_b64 exec, exec, s[6:7]
	buffer_load_dword v88, off, s[0:3], 0 offset:76
	v_cmp_gt_u32_e32 vcc, 19, v0
	s_waitcnt vmcnt(0)
	ds_write_b32 v86, v88
	s_waitcnt lgkmcnt(0)
	; wave barrier
	s_waitcnt lgkmcnt(0)
	s_and_saveexec_b64 s[6:7], vcc
	s_cbranch_execz .LBB105_590
; %bb.581:
	s_and_b64 vcc, exec, s[4:5]
	s_cbranch_vccnz .LBB105_583
; %bb.582:
	buffer_load_dword v88, v87, s[0:3], 0 offen
	ds_read_b32 v89, v86
	s_waitcnt vmcnt(0) lgkmcnt(0)
	v_mul_f32_e32 v88, v88, v89
	s_cbranch_execz .LBB105_584
	s_branch .LBB105_585
.LBB105_583:
                                        ; implicit-def: $vgpr88
.LBB105_584:
	ds_read_b32 v88, v86
.LBB105_585:
	v_cmp_ne_u32_e32 vcc, 18, v0
	s_and_saveexec_b64 s[8:9], vcc
	s_cbranch_execz .LBB105_589
; %bb.586:
	v_mov_b32_e32 v90, 0
	v_add_u32_e32 v89, 0xb4, v1
	v_add3_u32 v90, v1, v90, 4
	s_mov_b64 s[10:11], 0
	v_mov_b32_e32 v91, v0
.LBB105_587:                            ; =>This Inner Loop Header: Depth=1
	buffer_load_dword v92, v90, s[0:3], 0 offen
	ds_read_b32 v93, v89
	v_add_u32_e32 v91, 1, v91
	v_cmp_lt_u32_e32 vcc, 17, v91
	v_add_u32_e32 v89, 4, v89
	v_add_u32_e32 v90, 4, v90
	s_or_b64 s[10:11], vcc, s[10:11]
	s_waitcnt vmcnt(0) lgkmcnt(0)
	v_fmac_f32_e32 v88, v92, v93
	s_andn2_b64 exec, exec, s[10:11]
	s_cbranch_execnz .LBB105_587
; %bb.588:
	s_or_b64 exec, exec, s[10:11]
.LBB105_589:
	s_or_b64 exec, exec, s[8:9]
	v_mov_b32_e32 v89, 0
	ds_read_b32 v89, v89 offset:76
	s_waitcnt lgkmcnt(0)
	v_mul_f32_e32 v88, v88, v89
	buffer_store_dword v88, off, s[0:3], 0 offset:76
.LBB105_590:
	s_or_b64 exec, exec, s[6:7]
	buffer_load_dword v88, off, s[0:3], 0 offset:80
	v_cmp_gt_u32_e32 vcc, 20, v0
	s_waitcnt vmcnt(0)
	ds_write_b32 v86, v88
	s_waitcnt lgkmcnt(0)
	; wave barrier
	s_waitcnt lgkmcnt(0)
	s_and_saveexec_b64 s[6:7], vcc
	s_cbranch_execz .LBB105_600
; %bb.591:
	s_and_b64 vcc, exec, s[4:5]
	s_cbranch_vccnz .LBB105_593
; %bb.592:
	buffer_load_dword v88, v87, s[0:3], 0 offen
	ds_read_b32 v89, v86
	s_waitcnt vmcnt(0) lgkmcnt(0)
	v_mul_f32_e32 v88, v88, v89
	s_cbranch_execz .LBB105_594
	s_branch .LBB105_595
.LBB105_593:
                                        ; implicit-def: $vgpr88
.LBB105_594:
	ds_read_b32 v88, v86
.LBB105_595:
	v_cmp_ne_u32_e32 vcc, 19, v0
	s_and_saveexec_b64 s[8:9], vcc
	s_cbranch_execz .LBB105_599
; %bb.596:
	v_mov_b32_e32 v90, 0
	v_add_u32_e32 v89, 0xb4, v1
	v_add3_u32 v90, v1, v90, 4
	s_mov_b64 s[10:11], 0
	v_mov_b32_e32 v91, v0
.LBB105_597:                            ; =>This Inner Loop Header: Depth=1
	buffer_load_dword v92, v90, s[0:3], 0 offen
	ds_read_b32 v93, v89
	v_add_u32_e32 v91, 1, v91
	v_cmp_lt_u32_e32 vcc, 18, v91
	v_add_u32_e32 v89, 4, v89
	v_add_u32_e32 v90, 4, v90
	s_or_b64 s[10:11], vcc, s[10:11]
	s_waitcnt vmcnt(0) lgkmcnt(0)
	v_fmac_f32_e32 v88, v92, v93
	s_andn2_b64 exec, exec, s[10:11]
	s_cbranch_execnz .LBB105_597
; %bb.598:
	s_or_b64 exec, exec, s[10:11]
.LBB105_599:
	s_or_b64 exec, exec, s[8:9]
	v_mov_b32_e32 v89, 0
	ds_read_b32 v89, v89 offset:80
	s_waitcnt lgkmcnt(0)
	v_mul_f32_e32 v88, v88, v89
	buffer_store_dword v88, off, s[0:3], 0 offset:80
.LBB105_600:
	s_or_b64 exec, exec, s[6:7]
	buffer_load_dword v88, off, s[0:3], 0 offset:84
	v_cmp_gt_u32_e32 vcc, 21, v0
	s_waitcnt vmcnt(0)
	ds_write_b32 v86, v88
	s_waitcnt lgkmcnt(0)
	; wave barrier
	s_waitcnt lgkmcnt(0)
	s_and_saveexec_b64 s[6:7], vcc
	s_cbranch_execz .LBB105_610
; %bb.601:
	s_and_b64 vcc, exec, s[4:5]
	s_cbranch_vccnz .LBB105_603
; %bb.602:
	buffer_load_dword v88, v87, s[0:3], 0 offen
	ds_read_b32 v89, v86
	s_waitcnt vmcnt(0) lgkmcnt(0)
	v_mul_f32_e32 v88, v88, v89
	s_cbranch_execz .LBB105_604
	s_branch .LBB105_605
.LBB105_603:
                                        ; implicit-def: $vgpr88
.LBB105_604:
	ds_read_b32 v88, v86
.LBB105_605:
	v_cmp_ne_u32_e32 vcc, 20, v0
	s_and_saveexec_b64 s[8:9], vcc
	s_cbranch_execz .LBB105_609
; %bb.606:
	v_mov_b32_e32 v90, 0
	v_add_u32_e32 v89, 0xb4, v1
	v_add3_u32 v90, v1, v90, 4
	s_mov_b64 s[10:11], 0
	v_mov_b32_e32 v91, v0
.LBB105_607:                            ; =>This Inner Loop Header: Depth=1
	buffer_load_dword v92, v90, s[0:3], 0 offen
	ds_read_b32 v93, v89
	v_add_u32_e32 v91, 1, v91
	v_cmp_lt_u32_e32 vcc, 19, v91
	v_add_u32_e32 v89, 4, v89
	v_add_u32_e32 v90, 4, v90
	s_or_b64 s[10:11], vcc, s[10:11]
	s_waitcnt vmcnt(0) lgkmcnt(0)
	v_fmac_f32_e32 v88, v92, v93
	s_andn2_b64 exec, exec, s[10:11]
	s_cbranch_execnz .LBB105_607
; %bb.608:
	s_or_b64 exec, exec, s[10:11]
.LBB105_609:
	s_or_b64 exec, exec, s[8:9]
	v_mov_b32_e32 v89, 0
	ds_read_b32 v89, v89 offset:84
	s_waitcnt lgkmcnt(0)
	v_mul_f32_e32 v88, v88, v89
	buffer_store_dword v88, off, s[0:3], 0 offset:84
.LBB105_610:
	s_or_b64 exec, exec, s[6:7]
	buffer_load_dword v88, off, s[0:3], 0 offset:88
	v_cmp_gt_u32_e32 vcc, 22, v0
	s_waitcnt vmcnt(0)
	ds_write_b32 v86, v88
	s_waitcnt lgkmcnt(0)
	; wave barrier
	s_waitcnt lgkmcnt(0)
	s_and_saveexec_b64 s[6:7], vcc
	s_cbranch_execz .LBB105_620
; %bb.611:
	s_and_b64 vcc, exec, s[4:5]
	s_cbranch_vccnz .LBB105_613
; %bb.612:
	buffer_load_dword v88, v87, s[0:3], 0 offen
	ds_read_b32 v89, v86
	s_waitcnt vmcnt(0) lgkmcnt(0)
	v_mul_f32_e32 v88, v88, v89
	s_cbranch_execz .LBB105_614
	s_branch .LBB105_615
.LBB105_613:
                                        ; implicit-def: $vgpr88
.LBB105_614:
	ds_read_b32 v88, v86
.LBB105_615:
	v_cmp_ne_u32_e32 vcc, 21, v0
	s_and_saveexec_b64 s[8:9], vcc
	s_cbranch_execz .LBB105_619
; %bb.616:
	v_mov_b32_e32 v90, 0
	v_add_u32_e32 v89, 0xb4, v1
	v_add3_u32 v90, v1, v90, 4
	s_mov_b64 s[10:11], 0
	v_mov_b32_e32 v91, v0
.LBB105_617:                            ; =>This Inner Loop Header: Depth=1
	buffer_load_dword v92, v90, s[0:3], 0 offen
	ds_read_b32 v93, v89
	v_add_u32_e32 v91, 1, v91
	v_cmp_lt_u32_e32 vcc, 20, v91
	v_add_u32_e32 v89, 4, v89
	v_add_u32_e32 v90, 4, v90
	s_or_b64 s[10:11], vcc, s[10:11]
	s_waitcnt vmcnt(0) lgkmcnt(0)
	v_fmac_f32_e32 v88, v92, v93
	s_andn2_b64 exec, exec, s[10:11]
	s_cbranch_execnz .LBB105_617
; %bb.618:
	s_or_b64 exec, exec, s[10:11]
.LBB105_619:
	s_or_b64 exec, exec, s[8:9]
	v_mov_b32_e32 v89, 0
	ds_read_b32 v89, v89 offset:88
	s_waitcnt lgkmcnt(0)
	v_mul_f32_e32 v88, v88, v89
	buffer_store_dword v88, off, s[0:3], 0 offset:88
.LBB105_620:
	s_or_b64 exec, exec, s[6:7]
	buffer_load_dword v88, off, s[0:3], 0 offset:92
	v_cmp_gt_u32_e32 vcc, 23, v0
	s_waitcnt vmcnt(0)
	ds_write_b32 v86, v88
	s_waitcnt lgkmcnt(0)
	; wave barrier
	s_waitcnt lgkmcnt(0)
	s_and_saveexec_b64 s[6:7], vcc
	s_cbranch_execz .LBB105_630
; %bb.621:
	s_and_b64 vcc, exec, s[4:5]
	s_cbranch_vccnz .LBB105_623
; %bb.622:
	buffer_load_dword v88, v87, s[0:3], 0 offen
	ds_read_b32 v89, v86
	s_waitcnt vmcnt(0) lgkmcnt(0)
	v_mul_f32_e32 v88, v88, v89
	s_cbranch_execz .LBB105_624
	s_branch .LBB105_625
.LBB105_623:
                                        ; implicit-def: $vgpr88
.LBB105_624:
	ds_read_b32 v88, v86
.LBB105_625:
	v_cmp_ne_u32_e32 vcc, 22, v0
	s_and_saveexec_b64 s[8:9], vcc
	s_cbranch_execz .LBB105_629
; %bb.626:
	v_mov_b32_e32 v90, 0
	v_add_u32_e32 v89, 0xb4, v1
	v_add3_u32 v90, v1, v90, 4
	s_mov_b64 s[10:11], 0
	v_mov_b32_e32 v91, v0
.LBB105_627:                            ; =>This Inner Loop Header: Depth=1
	buffer_load_dword v92, v90, s[0:3], 0 offen
	ds_read_b32 v93, v89
	v_add_u32_e32 v91, 1, v91
	v_cmp_lt_u32_e32 vcc, 21, v91
	v_add_u32_e32 v89, 4, v89
	v_add_u32_e32 v90, 4, v90
	s_or_b64 s[10:11], vcc, s[10:11]
	s_waitcnt vmcnt(0) lgkmcnt(0)
	v_fmac_f32_e32 v88, v92, v93
	s_andn2_b64 exec, exec, s[10:11]
	s_cbranch_execnz .LBB105_627
; %bb.628:
	s_or_b64 exec, exec, s[10:11]
.LBB105_629:
	s_or_b64 exec, exec, s[8:9]
	v_mov_b32_e32 v89, 0
	ds_read_b32 v89, v89 offset:92
	s_waitcnt lgkmcnt(0)
	v_mul_f32_e32 v88, v88, v89
	buffer_store_dword v88, off, s[0:3], 0 offset:92
.LBB105_630:
	s_or_b64 exec, exec, s[6:7]
	buffer_load_dword v88, off, s[0:3], 0 offset:96
	v_cmp_gt_u32_e32 vcc, 24, v0
	s_waitcnt vmcnt(0)
	ds_write_b32 v86, v88
	s_waitcnt lgkmcnt(0)
	; wave barrier
	s_waitcnt lgkmcnt(0)
	s_and_saveexec_b64 s[6:7], vcc
	s_cbranch_execz .LBB105_640
; %bb.631:
	s_and_b64 vcc, exec, s[4:5]
	s_cbranch_vccnz .LBB105_633
; %bb.632:
	buffer_load_dword v88, v87, s[0:3], 0 offen
	ds_read_b32 v89, v86
	s_waitcnt vmcnt(0) lgkmcnt(0)
	v_mul_f32_e32 v88, v88, v89
	s_cbranch_execz .LBB105_634
	s_branch .LBB105_635
.LBB105_633:
                                        ; implicit-def: $vgpr88
.LBB105_634:
	ds_read_b32 v88, v86
.LBB105_635:
	v_cmp_ne_u32_e32 vcc, 23, v0
	s_and_saveexec_b64 s[8:9], vcc
	s_cbranch_execz .LBB105_639
; %bb.636:
	v_mov_b32_e32 v90, 0
	v_add_u32_e32 v89, 0xb4, v1
	v_add3_u32 v90, v1, v90, 4
	s_mov_b64 s[10:11], 0
	v_mov_b32_e32 v91, v0
.LBB105_637:                            ; =>This Inner Loop Header: Depth=1
	buffer_load_dword v92, v90, s[0:3], 0 offen
	ds_read_b32 v93, v89
	v_add_u32_e32 v91, 1, v91
	v_cmp_lt_u32_e32 vcc, 22, v91
	v_add_u32_e32 v89, 4, v89
	v_add_u32_e32 v90, 4, v90
	s_or_b64 s[10:11], vcc, s[10:11]
	s_waitcnt vmcnt(0) lgkmcnt(0)
	v_fmac_f32_e32 v88, v92, v93
	s_andn2_b64 exec, exec, s[10:11]
	s_cbranch_execnz .LBB105_637
; %bb.638:
	s_or_b64 exec, exec, s[10:11]
.LBB105_639:
	s_or_b64 exec, exec, s[8:9]
	v_mov_b32_e32 v89, 0
	ds_read_b32 v89, v89 offset:96
	s_waitcnt lgkmcnt(0)
	v_mul_f32_e32 v88, v88, v89
	buffer_store_dword v88, off, s[0:3], 0 offset:96
.LBB105_640:
	s_or_b64 exec, exec, s[6:7]
	buffer_load_dword v88, off, s[0:3], 0 offset:100
	v_cmp_gt_u32_e32 vcc, 25, v0
	s_waitcnt vmcnt(0)
	ds_write_b32 v86, v88
	s_waitcnt lgkmcnt(0)
	; wave barrier
	s_waitcnt lgkmcnt(0)
	s_and_saveexec_b64 s[6:7], vcc
	s_cbranch_execz .LBB105_650
; %bb.641:
	s_and_b64 vcc, exec, s[4:5]
	s_cbranch_vccnz .LBB105_643
; %bb.642:
	buffer_load_dword v88, v87, s[0:3], 0 offen
	ds_read_b32 v89, v86
	s_waitcnt vmcnt(0) lgkmcnt(0)
	v_mul_f32_e32 v88, v88, v89
	s_cbranch_execz .LBB105_644
	s_branch .LBB105_645
.LBB105_643:
                                        ; implicit-def: $vgpr88
.LBB105_644:
	ds_read_b32 v88, v86
.LBB105_645:
	v_cmp_ne_u32_e32 vcc, 24, v0
	s_and_saveexec_b64 s[8:9], vcc
	s_cbranch_execz .LBB105_649
; %bb.646:
	v_mov_b32_e32 v90, 0
	v_add_u32_e32 v89, 0xb4, v1
	v_add3_u32 v90, v1, v90, 4
	s_mov_b64 s[10:11], 0
	v_mov_b32_e32 v91, v0
.LBB105_647:                            ; =>This Inner Loop Header: Depth=1
	buffer_load_dword v92, v90, s[0:3], 0 offen
	ds_read_b32 v93, v89
	v_add_u32_e32 v91, 1, v91
	v_cmp_lt_u32_e32 vcc, 23, v91
	v_add_u32_e32 v89, 4, v89
	v_add_u32_e32 v90, 4, v90
	s_or_b64 s[10:11], vcc, s[10:11]
	s_waitcnt vmcnt(0) lgkmcnt(0)
	v_fmac_f32_e32 v88, v92, v93
	s_andn2_b64 exec, exec, s[10:11]
	s_cbranch_execnz .LBB105_647
; %bb.648:
	s_or_b64 exec, exec, s[10:11]
.LBB105_649:
	s_or_b64 exec, exec, s[8:9]
	v_mov_b32_e32 v89, 0
	ds_read_b32 v89, v89 offset:100
	s_waitcnt lgkmcnt(0)
	v_mul_f32_e32 v88, v88, v89
	buffer_store_dword v88, off, s[0:3], 0 offset:100
.LBB105_650:
	s_or_b64 exec, exec, s[6:7]
	buffer_load_dword v88, off, s[0:3], 0 offset:104
	v_cmp_gt_u32_e32 vcc, 26, v0
	s_waitcnt vmcnt(0)
	ds_write_b32 v86, v88
	s_waitcnt lgkmcnt(0)
	; wave barrier
	s_waitcnt lgkmcnt(0)
	s_and_saveexec_b64 s[6:7], vcc
	s_cbranch_execz .LBB105_660
; %bb.651:
	s_and_b64 vcc, exec, s[4:5]
	s_cbranch_vccnz .LBB105_653
; %bb.652:
	buffer_load_dword v88, v87, s[0:3], 0 offen
	ds_read_b32 v89, v86
	s_waitcnt vmcnt(0) lgkmcnt(0)
	v_mul_f32_e32 v88, v88, v89
	s_cbranch_execz .LBB105_654
	s_branch .LBB105_655
.LBB105_653:
                                        ; implicit-def: $vgpr88
.LBB105_654:
	ds_read_b32 v88, v86
.LBB105_655:
	v_cmp_ne_u32_e32 vcc, 25, v0
	s_and_saveexec_b64 s[8:9], vcc
	s_cbranch_execz .LBB105_659
; %bb.656:
	v_mov_b32_e32 v90, 0
	v_add_u32_e32 v89, 0xb4, v1
	v_add3_u32 v90, v1, v90, 4
	s_mov_b64 s[10:11], 0
	v_mov_b32_e32 v91, v0
.LBB105_657:                            ; =>This Inner Loop Header: Depth=1
	buffer_load_dword v92, v90, s[0:3], 0 offen
	ds_read_b32 v93, v89
	v_add_u32_e32 v91, 1, v91
	v_cmp_lt_u32_e32 vcc, 24, v91
	v_add_u32_e32 v89, 4, v89
	v_add_u32_e32 v90, 4, v90
	s_or_b64 s[10:11], vcc, s[10:11]
	s_waitcnt vmcnt(0) lgkmcnt(0)
	v_fmac_f32_e32 v88, v92, v93
	s_andn2_b64 exec, exec, s[10:11]
	s_cbranch_execnz .LBB105_657
; %bb.658:
	s_or_b64 exec, exec, s[10:11]
.LBB105_659:
	s_or_b64 exec, exec, s[8:9]
	v_mov_b32_e32 v89, 0
	ds_read_b32 v89, v89 offset:104
	s_waitcnt lgkmcnt(0)
	v_mul_f32_e32 v88, v88, v89
	buffer_store_dword v88, off, s[0:3], 0 offset:104
.LBB105_660:
	s_or_b64 exec, exec, s[6:7]
	buffer_load_dword v88, off, s[0:3], 0 offset:108
	v_cmp_gt_u32_e32 vcc, 27, v0
	s_waitcnt vmcnt(0)
	ds_write_b32 v86, v88
	s_waitcnt lgkmcnt(0)
	; wave barrier
	s_waitcnt lgkmcnt(0)
	s_and_saveexec_b64 s[6:7], vcc
	s_cbranch_execz .LBB105_670
; %bb.661:
	s_and_b64 vcc, exec, s[4:5]
	s_cbranch_vccnz .LBB105_663
; %bb.662:
	buffer_load_dword v88, v87, s[0:3], 0 offen
	ds_read_b32 v89, v86
	s_waitcnt vmcnt(0) lgkmcnt(0)
	v_mul_f32_e32 v88, v88, v89
	s_cbranch_execz .LBB105_664
	s_branch .LBB105_665
.LBB105_663:
                                        ; implicit-def: $vgpr88
.LBB105_664:
	ds_read_b32 v88, v86
.LBB105_665:
	v_cmp_ne_u32_e32 vcc, 26, v0
	s_and_saveexec_b64 s[8:9], vcc
	s_cbranch_execz .LBB105_669
; %bb.666:
	v_mov_b32_e32 v90, 0
	v_add_u32_e32 v89, 0xb4, v1
	v_add3_u32 v90, v1, v90, 4
	s_mov_b64 s[10:11], 0
	v_mov_b32_e32 v91, v0
.LBB105_667:                            ; =>This Inner Loop Header: Depth=1
	buffer_load_dword v92, v90, s[0:3], 0 offen
	ds_read_b32 v93, v89
	v_add_u32_e32 v91, 1, v91
	v_cmp_lt_u32_e32 vcc, 25, v91
	v_add_u32_e32 v89, 4, v89
	v_add_u32_e32 v90, 4, v90
	s_or_b64 s[10:11], vcc, s[10:11]
	s_waitcnt vmcnt(0) lgkmcnt(0)
	v_fmac_f32_e32 v88, v92, v93
	s_andn2_b64 exec, exec, s[10:11]
	s_cbranch_execnz .LBB105_667
; %bb.668:
	s_or_b64 exec, exec, s[10:11]
.LBB105_669:
	s_or_b64 exec, exec, s[8:9]
	v_mov_b32_e32 v89, 0
	ds_read_b32 v89, v89 offset:108
	s_waitcnt lgkmcnt(0)
	v_mul_f32_e32 v88, v88, v89
	buffer_store_dword v88, off, s[0:3], 0 offset:108
.LBB105_670:
	s_or_b64 exec, exec, s[6:7]
	buffer_load_dword v88, off, s[0:3], 0 offset:112
	v_cmp_gt_u32_e32 vcc, 28, v0
	s_waitcnt vmcnt(0)
	ds_write_b32 v86, v88
	s_waitcnt lgkmcnt(0)
	; wave barrier
	s_waitcnt lgkmcnt(0)
	s_and_saveexec_b64 s[6:7], vcc
	s_cbranch_execz .LBB105_680
; %bb.671:
	s_and_b64 vcc, exec, s[4:5]
	s_cbranch_vccnz .LBB105_673
; %bb.672:
	buffer_load_dword v88, v87, s[0:3], 0 offen
	ds_read_b32 v89, v86
	s_waitcnt vmcnt(0) lgkmcnt(0)
	v_mul_f32_e32 v88, v88, v89
	s_cbranch_execz .LBB105_674
	s_branch .LBB105_675
.LBB105_673:
                                        ; implicit-def: $vgpr88
.LBB105_674:
	ds_read_b32 v88, v86
.LBB105_675:
	v_cmp_ne_u32_e32 vcc, 27, v0
	s_and_saveexec_b64 s[8:9], vcc
	s_cbranch_execz .LBB105_679
; %bb.676:
	v_mov_b32_e32 v90, 0
	v_add_u32_e32 v89, 0xb4, v1
	v_add3_u32 v90, v1, v90, 4
	s_mov_b64 s[10:11], 0
	v_mov_b32_e32 v91, v0
.LBB105_677:                            ; =>This Inner Loop Header: Depth=1
	buffer_load_dword v92, v90, s[0:3], 0 offen
	ds_read_b32 v93, v89
	v_add_u32_e32 v91, 1, v91
	v_cmp_lt_u32_e32 vcc, 26, v91
	v_add_u32_e32 v89, 4, v89
	v_add_u32_e32 v90, 4, v90
	s_or_b64 s[10:11], vcc, s[10:11]
	s_waitcnt vmcnt(0) lgkmcnt(0)
	v_fmac_f32_e32 v88, v92, v93
	s_andn2_b64 exec, exec, s[10:11]
	s_cbranch_execnz .LBB105_677
; %bb.678:
	s_or_b64 exec, exec, s[10:11]
.LBB105_679:
	s_or_b64 exec, exec, s[8:9]
	v_mov_b32_e32 v89, 0
	ds_read_b32 v89, v89 offset:112
	s_waitcnt lgkmcnt(0)
	v_mul_f32_e32 v88, v88, v89
	buffer_store_dword v88, off, s[0:3], 0 offset:112
.LBB105_680:
	s_or_b64 exec, exec, s[6:7]
	buffer_load_dword v88, off, s[0:3], 0 offset:116
	v_cmp_gt_u32_e32 vcc, 29, v0
	s_waitcnt vmcnt(0)
	ds_write_b32 v86, v88
	s_waitcnt lgkmcnt(0)
	; wave barrier
	s_waitcnt lgkmcnt(0)
	s_and_saveexec_b64 s[6:7], vcc
	s_cbranch_execz .LBB105_690
; %bb.681:
	s_and_b64 vcc, exec, s[4:5]
	s_cbranch_vccnz .LBB105_683
; %bb.682:
	buffer_load_dword v88, v87, s[0:3], 0 offen
	ds_read_b32 v89, v86
	s_waitcnt vmcnt(0) lgkmcnt(0)
	v_mul_f32_e32 v88, v88, v89
	s_cbranch_execz .LBB105_684
	s_branch .LBB105_685
.LBB105_683:
                                        ; implicit-def: $vgpr88
.LBB105_684:
	ds_read_b32 v88, v86
.LBB105_685:
	v_cmp_ne_u32_e32 vcc, 28, v0
	s_and_saveexec_b64 s[8:9], vcc
	s_cbranch_execz .LBB105_689
; %bb.686:
	v_mov_b32_e32 v90, 0
	v_add_u32_e32 v89, 0xb4, v1
	v_add3_u32 v90, v1, v90, 4
	s_mov_b64 s[10:11], 0
	v_mov_b32_e32 v91, v0
.LBB105_687:                            ; =>This Inner Loop Header: Depth=1
	buffer_load_dword v92, v90, s[0:3], 0 offen
	ds_read_b32 v93, v89
	v_add_u32_e32 v91, 1, v91
	v_cmp_lt_u32_e32 vcc, 27, v91
	v_add_u32_e32 v89, 4, v89
	v_add_u32_e32 v90, 4, v90
	s_or_b64 s[10:11], vcc, s[10:11]
	s_waitcnt vmcnt(0) lgkmcnt(0)
	v_fmac_f32_e32 v88, v92, v93
	s_andn2_b64 exec, exec, s[10:11]
	s_cbranch_execnz .LBB105_687
; %bb.688:
	s_or_b64 exec, exec, s[10:11]
.LBB105_689:
	s_or_b64 exec, exec, s[8:9]
	v_mov_b32_e32 v89, 0
	ds_read_b32 v89, v89 offset:116
	s_waitcnt lgkmcnt(0)
	v_mul_f32_e32 v88, v88, v89
	buffer_store_dword v88, off, s[0:3], 0 offset:116
.LBB105_690:
	s_or_b64 exec, exec, s[6:7]
	buffer_load_dword v88, off, s[0:3], 0 offset:120
	v_cmp_gt_u32_e32 vcc, 30, v0
	s_waitcnt vmcnt(0)
	ds_write_b32 v86, v88
	s_waitcnt lgkmcnt(0)
	; wave barrier
	s_waitcnt lgkmcnt(0)
	s_and_saveexec_b64 s[6:7], vcc
	s_cbranch_execz .LBB105_700
; %bb.691:
	s_and_b64 vcc, exec, s[4:5]
	s_cbranch_vccnz .LBB105_693
; %bb.692:
	buffer_load_dword v88, v87, s[0:3], 0 offen
	ds_read_b32 v89, v86
	s_waitcnt vmcnt(0) lgkmcnt(0)
	v_mul_f32_e32 v88, v88, v89
	s_cbranch_execz .LBB105_694
	s_branch .LBB105_695
.LBB105_693:
                                        ; implicit-def: $vgpr88
.LBB105_694:
	ds_read_b32 v88, v86
.LBB105_695:
	v_cmp_ne_u32_e32 vcc, 29, v0
	s_and_saveexec_b64 s[8:9], vcc
	s_cbranch_execz .LBB105_699
; %bb.696:
	v_mov_b32_e32 v90, 0
	v_add_u32_e32 v89, 0xb4, v1
	v_add3_u32 v90, v1, v90, 4
	s_mov_b64 s[10:11], 0
	v_mov_b32_e32 v91, v0
.LBB105_697:                            ; =>This Inner Loop Header: Depth=1
	buffer_load_dword v92, v90, s[0:3], 0 offen
	ds_read_b32 v93, v89
	v_add_u32_e32 v91, 1, v91
	v_cmp_lt_u32_e32 vcc, 28, v91
	v_add_u32_e32 v89, 4, v89
	v_add_u32_e32 v90, 4, v90
	s_or_b64 s[10:11], vcc, s[10:11]
	s_waitcnt vmcnt(0) lgkmcnt(0)
	v_fmac_f32_e32 v88, v92, v93
	s_andn2_b64 exec, exec, s[10:11]
	s_cbranch_execnz .LBB105_697
; %bb.698:
	s_or_b64 exec, exec, s[10:11]
.LBB105_699:
	s_or_b64 exec, exec, s[8:9]
	v_mov_b32_e32 v89, 0
	ds_read_b32 v89, v89 offset:120
	s_waitcnt lgkmcnt(0)
	v_mul_f32_e32 v88, v88, v89
	buffer_store_dword v88, off, s[0:3], 0 offset:120
.LBB105_700:
	s_or_b64 exec, exec, s[6:7]
	buffer_load_dword v88, off, s[0:3], 0 offset:124
	v_cmp_gt_u32_e32 vcc, 31, v0
	s_waitcnt vmcnt(0)
	ds_write_b32 v86, v88
	s_waitcnt lgkmcnt(0)
	; wave barrier
	s_waitcnt lgkmcnt(0)
	s_and_saveexec_b64 s[6:7], vcc
	s_cbranch_execz .LBB105_710
; %bb.701:
	s_and_b64 vcc, exec, s[4:5]
	s_cbranch_vccnz .LBB105_703
; %bb.702:
	buffer_load_dword v88, v87, s[0:3], 0 offen
	ds_read_b32 v89, v86
	s_waitcnt vmcnt(0) lgkmcnt(0)
	v_mul_f32_e32 v88, v88, v89
	s_cbranch_execz .LBB105_704
	s_branch .LBB105_705
.LBB105_703:
                                        ; implicit-def: $vgpr88
.LBB105_704:
	ds_read_b32 v88, v86
.LBB105_705:
	v_cmp_ne_u32_e32 vcc, 30, v0
	s_and_saveexec_b64 s[8:9], vcc
	s_cbranch_execz .LBB105_709
; %bb.706:
	v_mov_b32_e32 v90, 0
	v_add_u32_e32 v89, 0xb4, v1
	v_add3_u32 v90, v1, v90, 4
	s_mov_b64 s[10:11], 0
	v_mov_b32_e32 v91, v0
.LBB105_707:                            ; =>This Inner Loop Header: Depth=1
	buffer_load_dword v92, v90, s[0:3], 0 offen
	ds_read_b32 v93, v89
	v_add_u32_e32 v91, 1, v91
	v_cmp_lt_u32_e32 vcc, 29, v91
	v_add_u32_e32 v89, 4, v89
	v_add_u32_e32 v90, 4, v90
	s_or_b64 s[10:11], vcc, s[10:11]
	s_waitcnt vmcnt(0) lgkmcnt(0)
	v_fmac_f32_e32 v88, v92, v93
	s_andn2_b64 exec, exec, s[10:11]
	s_cbranch_execnz .LBB105_707
; %bb.708:
	s_or_b64 exec, exec, s[10:11]
.LBB105_709:
	s_or_b64 exec, exec, s[8:9]
	v_mov_b32_e32 v89, 0
	ds_read_b32 v89, v89 offset:124
	s_waitcnt lgkmcnt(0)
	v_mul_f32_e32 v88, v88, v89
	buffer_store_dword v88, off, s[0:3], 0 offset:124
.LBB105_710:
	s_or_b64 exec, exec, s[6:7]
	buffer_load_dword v88, off, s[0:3], 0 offset:128
	v_cmp_gt_u32_e32 vcc, 32, v0
	s_waitcnt vmcnt(0)
	ds_write_b32 v86, v88
	s_waitcnt lgkmcnt(0)
	; wave barrier
	s_waitcnt lgkmcnt(0)
	s_and_saveexec_b64 s[6:7], vcc
	s_cbranch_execz .LBB105_720
; %bb.711:
	s_and_b64 vcc, exec, s[4:5]
	s_cbranch_vccnz .LBB105_713
; %bb.712:
	buffer_load_dword v88, v87, s[0:3], 0 offen
	ds_read_b32 v89, v86
	s_waitcnt vmcnt(0) lgkmcnt(0)
	v_mul_f32_e32 v88, v88, v89
	s_cbranch_execz .LBB105_714
	s_branch .LBB105_715
.LBB105_713:
                                        ; implicit-def: $vgpr88
.LBB105_714:
	ds_read_b32 v88, v86
.LBB105_715:
	v_cmp_ne_u32_e32 vcc, 31, v0
	s_and_saveexec_b64 s[8:9], vcc
	s_cbranch_execz .LBB105_719
; %bb.716:
	v_mov_b32_e32 v90, 0
	v_add_u32_e32 v89, 0xb4, v1
	v_add3_u32 v90, v1, v90, 4
	s_mov_b64 s[10:11], 0
	v_mov_b32_e32 v91, v0
.LBB105_717:                            ; =>This Inner Loop Header: Depth=1
	buffer_load_dword v92, v90, s[0:3], 0 offen
	ds_read_b32 v93, v89
	v_add_u32_e32 v91, 1, v91
	v_cmp_lt_u32_e32 vcc, 30, v91
	v_add_u32_e32 v89, 4, v89
	v_add_u32_e32 v90, 4, v90
	s_or_b64 s[10:11], vcc, s[10:11]
	s_waitcnt vmcnt(0) lgkmcnt(0)
	v_fmac_f32_e32 v88, v92, v93
	s_andn2_b64 exec, exec, s[10:11]
	s_cbranch_execnz .LBB105_717
; %bb.718:
	s_or_b64 exec, exec, s[10:11]
.LBB105_719:
	s_or_b64 exec, exec, s[8:9]
	v_mov_b32_e32 v89, 0
	ds_read_b32 v89, v89 offset:128
	s_waitcnt lgkmcnt(0)
	v_mul_f32_e32 v88, v88, v89
	buffer_store_dword v88, off, s[0:3], 0 offset:128
.LBB105_720:
	s_or_b64 exec, exec, s[6:7]
	buffer_load_dword v88, off, s[0:3], 0 offset:132
	v_cmp_gt_u32_e32 vcc, 33, v0
	s_waitcnt vmcnt(0)
	ds_write_b32 v86, v88
	s_waitcnt lgkmcnt(0)
	; wave barrier
	s_waitcnt lgkmcnt(0)
	s_and_saveexec_b64 s[6:7], vcc
	s_cbranch_execz .LBB105_730
; %bb.721:
	s_and_b64 vcc, exec, s[4:5]
	s_cbranch_vccnz .LBB105_723
; %bb.722:
	buffer_load_dword v88, v87, s[0:3], 0 offen
	ds_read_b32 v89, v86
	s_waitcnt vmcnt(0) lgkmcnt(0)
	v_mul_f32_e32 v88, v88, v89
	s_cbranch_execz .LBB105_724
	s_branch .LBB105_725
.LBB105_723:
                                        ; implicit-def: $vgpr88
.LBB105_724:
	ds_read_b32 v88, v86
.LBB105_725:
	v_cmp_ne_u32_e32 vcc, 32, v0
	s_and_saveexec_b64 s[8:9], vcc
	s_cbranch_execz .LBB105_729
; %bb.726:
	v_mov_b32_e32 v90, 0
	v_add_u32_e32 v89, 0xb4, v1
	v_add3_u32 v90, v1, v90, 4
	s_mov_b64 s[10:11], 0
	v_mov_b32_e32 v91, v0
.LBB105_727:                            ; =>This Inner Loop Header: Depth=1
	buffer_load_dword v92, v90, s[0:3], 0 offen
	ds_read_b32 v93, v89
	v_add_u32_e32 v91, 1, v91
	v_cmp_lt_u32_e32 vcc, 31, v91
	v_add_u32_e32 v89, 4, v89
	v_add_u32_e32 v90, 4, v90
	s_or_b64 s[10:11], vcc, s[10:11]
	s_waitcnt vmcnt(0) lgkmcnt(0)
	v_fmac_f32_e32 v88, v92, v93
	s_andn2_b64 exec, exec, s[10:11]
	s_cbranch_execnz .LBB105_727
; %bb.728:
	s_or_b64 exec, exec, s[10:11]
.LBB105_729:
	s_or_b64 exec, exec, s[8:9]
	v_mov_b32_e32 v89, 0
	ds_read_b32 v89, v89 offset:132
	s_waitcnt lgkmcnt(0)
	v_mul_f32_e32 v88, v88, v89
	buffer_store_dword v88, off, s[0:3], 0 offset:132
.LBB105_730:
	s_or_b64 exec, exec, s[6:7]
	buffer_load_dword v88, off, s[0:3], 0 offset:136
	v_cmp_gt_u32_e32 vcc, 34, v0
	s_waitcnt vmcnt(0)
	ds_write_b32 v86, v88
	s_waitcnt lgkmcnt(0)
	; wave barrier
	s_waitcnt lgkmcnt(0)
	s_and_saveexec_b64 s[6:7], vcc
	s_cbranch_execz .LBB105_740
; %bb.731:
	s_and_b64 vcc, exec, s[4:5]
	s_cbranch_vccnz .LBB105_733
; %bb.732:
	buffer_load_dword v88, v87, s[0:3], 0 offen
	ds_read_b32 v89, v86
	s_waitcnt vmcnt(0) lgkmcnt(0)
	v_mul_f32_e32 v88, v88, v89
	s_cbranch_execz .LBB105_734
	s_branch .LBB105_735
.LBB105_733:
                                        ; implicit-def: $vgpr88
.LBB105_734:
	ds_read_b32 v88, v86
.LBB105_735:
	v_cmp_ne_u32_e32 vcc, 33, v0
	s_and_saveexec_b64 s[8:9], vcc
	s_cbranch_execz .LBB105_739
; %bb.736:
	v_mov_b32_e32 v90, 0
	v_add_u32_e32 v89, 0xb4, v1
	v_add3_u32 v90, v1, v90, 4
	s_mov_b64 s[10:11], 0
	v_mov_b32_e32 v91, v0
.LBB105_737:                            ; =>This Inner Loop Header: Depth=1
	buffer_load_dword v92, v90, s[0:3], 0 offen
	ds_read_b32 v93, v89
	v_add_u32_e32 v91, 1, v91
	v_cmp_lt_u32_e32 vcc, 32, v91
	v_add_u32_e32 v89, 4, v89
	v_add_u32_e32 v90, 4, v90
	s_or_b64 s[10:11], vcc, s[10:11]
	s_waitcnt vmcnt(0) lgkmcnt(0)
	v_fmac_f32_e32 v88, v92, v93
	s_andn2_b64 exec, exec, s[10:11]
	s_cbranch_execnz .LBB105_737
; %bb.738:
	s_or_b64 exec, exec, s[10:11]
.LBB105_739:
	s_or_b64 exec, exec, s[8:9]
	v_mov_b32_e32 v89, 0
	ds_read_b32 v89, v89 offset:136
	s_waitcnt lgkmcnt(0)
	v_mul_f32_e32 v88, v88, v89
	buffer_store_dword v88, off, s[0:3], 0 offset:136
.LBB105_740:
	s_or_b64 exec, exec, s[6:7]
	buffer_load_dword v88, off, s[0:3], 0 offset:140
	v_cmp_gt_u32_e32 vcc, 35, v0
	s_waitcnt vmcnt(0)
	ds_write_b32 v86, v88
	s_waitcnt lgkmcnt(0)
	; wave barrier
	s_waitcnt lgkmcnt(0)
	s_and_saveexec_b64 s[6:7], vcc
	s_cbranch_execz .LBB105_750
; %bb.741:
	s_and_b64 vcc, exec, s[4:5]
	s_cbranch_vccnz .LBB105_743
; %bb.742:
	buffer_load_dword v88, v87, s[0:3], 0 offen
	ds_read_b32 v89, v86
	s_waitcnt vmcnt(0) lgkmcnt(0)
	v_mul_f32_e32 v88, v88, v89
	s_cbranch_execz .LBB105_744
	s_branch .LBB105_745
.LBB105_743:
                                        ; implicit-def: $vgpr88
.LBB105_744:
	ds_read_b32 v88, v86
.LBB105_745:
	v_cmp_ne_u32_e32 vcc, 34, v0
	s_and_saveexec_b64 s[8:9], vcc
	s_cbranch_execz .LBB105_749
; %bb.746:
	v_mov_b32_e32 v90, 0
	v_add_u32_e32 v89, 0xb4, v1
	v_add3_u32 v90, v1, v90, 4
	s_mov_b64 s[10:11], 0
	v_mov_b32_e32 v91, v0
.LBB105_747:                            ; =>This Inner Loop Header: Depth=1
	buffer_load_dword v92, v90, s[0:3], 0 offen
	ds_read_b32 v93, v89
	v_add_u32_e32 v91, 1, v91
	v_cmp_lt_u32_e32 vcc, 33, v91
	v_add_u32_e32 v89, 4, v89
	v_add_u32_e32 v90, 4, v90
	s_or_b64 s[10:11], vcc, s[10:11]
	s_waitcnt vmcnt(0) lgkmcnt(0)
	v_fmac_f32_e32 v88, v92, v93
	s_andn2_b64 exec, exec, s[10:11]
	s_cbranch_execnz .LBB105_747
; %bb.748:
	s_or_b64 exec, exec, s[10:11]
.LBB105_749:
	s_or_b64 exec, exec, s[8:9]
	v_mov_b32_e32 v89, 0
	ds_read_b32 v89, v89 offset:140
	s_waitcnt lgkmcnt(0)
	v_mul_f32_e32 v88, v88, v89
	buffer_store_dword v88, off, s[0:3], 0 offset:140
.LBB105_750:
	s_or_b64 exec, exec, s[6:7]
	buffer_load_dword v88, off, s[0:3], 0 offset:144
	v_cmp_gt_u32_e32 vcc, 36, v0
	s_waitcnt vmcnt(0)
	ds_write_b32 v86, v88
	s_waitcnt lgkmcnt(0)
	; wave barrier
	s_waitcnt lgkmcnt(0)
	s_and_saveexec_b64 s[6:7], vcc
	s_cbranch_execz .LBB105_760
; %bb.751:
	s_and_b64 vcc, exec, s[4:5]
	s_cbranch_vccnz .LBB105_753
; %bb.752:
	buffer_load_dword v88, v87, s[0:3], 0 offen
	ds_read_b32 v89, v86
	s_waitcnt vmcnt(0) lgkmcnt(0)
	v_mul_f32_e32 v88, v88, v89
	s_cbranch_execz .LBB105_754
	s_branch .LBB105_755
.LBB105_753:
                                        ; implicit-def: $vgpr88
.LBB105_754:
	ds_read_b32 v88, v86
.LBB105_755:
	v_cmp_ne_u32_e32 vcc, 35, v0
	s_and_saveexec_b64 s[8:9], vcc
	s_cbranch_execz .LBB105_759
; %bb.756:
	v_mov_b32_e32 v90, 0
	v_add_u32_e32 v89, 0xb4, v1
	v_add3_u32 v90, v1, v90, 4
	s_mov_b64 s[10:11], 0
	v_mov_b32_e32 v91, v0
.LBB105_757:                            ; =>This Inner Loop Header: Depth=1
	buffer_load_dword v92, v90, s[0:3], 0 offen
	ds_read_b32 v93, v89
	v_add_u32_e32 v91, 1, v91
	v_cmp_lt_u32_e32 vcc, 34, v91
	v_add_u32_e32 v89, 4, v89
	v_add_u32_e32 v90, 4, v90
	s_or_b64 s[10:11], vcc, s[10:11]
	s_waitcnt vmcnt(0) lgkmcnt(0)
	v_fmac_f32_e32 v88, v92, v93
	s_andn2_b64 exec, exec, s[10:11]
	s_cbranch_execnz .LBB105_757
; %bb.758:
	s_or_b64 exec, exec, s[10:11]
.LBB105_759:
	s_or_b64 exec, exec, s[8:9]
	v_mov_b32_e32 v89, 0
	ds_read_b32 v89, v89 offset:144
	s_waitcnt lgkmcnt(0)
	v_mul_f32_e32 v88, v88, v89
	buffer_store_dword v88, off, s[0:3], 0 offset:144
.LBB105_760:
	s_or_b64 exec, exec, s[6:7]
	buffer_load_dword v88, off, s[0:3], 0 offset:148
	v_cmp_gt_u32_e32 vcc, 37, v0
	s_waitcnt vmcnt(0)
	ds_write_b32 v86, v88
	s_waitcnt lgkmcnt(0)
	; wave barrier
	s_waitcnt lgkmcnt(0)
	s_and_saveexec_b64 s[6:7], vcc
	s_cbranch_execz .LBB105_770
; %bb.761:
	s_and_b64 vcc, exec, s[4:5]
	s_cbranch_vccnz .LBB105_763
; %bb.762:
	buffer_load_dword v88, v87, s[0:3], 0 offen
	ds_read_b32 v89, v86
	s_waitcnt vmcnt(0) lgkmcnt(0)
	v_mul_f32_e32 v88, v88, v89
	s_cbranch_execz .LBB105_764
	s_branch .LBB105_765
.LBB105_763:
                                        ; implicit-def: $vgpr88
.LBB105_764:
	ds_read_b32 v88, v86
.LBB105_765:
	v_cmp_ne_u32_e32 vcc, 36, v0
	s_and_saveexec_b64 s[8:9], vcc
	s_cbranch_execz .LBB105_769
; %bb.766:
	v_mov_b32_e32 v90, 0
	v_add_u32_e32 v89, 0xb4, v1
	v_add3_u32 v90, v1, v90, 4
	s_mov_b64 s[10:11], 0
	v_mov_b32_e32 v91, v0
.LBB105_767:                            ; =>This Inner Loop Header: Depth=1
	buffer_load_dword v92, v90, s[0:3], 0 offen
	ds_read_b32 v93, v89
	v_add_u32_e32 v91, 1, v91
	v_cmp_lt_u32_e32 vcc, 35, v91
	v_add_u32_e32 v89, 4, v89
	v_add_u32_e32 v90, 4, v90
	s_or_b64 s[10:11], vcc, s[10:11]
	s_waitcnt vmcnt(0) lgkmcnt(0)
	v_fmac_f32_e32 v88, v92, v93
	s_andn2_b64 exec, exec, s[10:11]
	s_cbranch_execnz .LBB105_767
; %bb.768:
	s_or_b64 exec, exec, s[10:11]
.LBB105_769:
	s_or_b64 exec, exec, s[8:9]
	v_mov_b32_e32 v89, 0
	ds_read_b32 v89, v89 offset:148
	s_waitcnt lgkmcnt(0)
	v_mul_f32_e32 v88, v88, v89
	buffer_store_dword v88, off, s[0:3], 0 offset:148
.LBB105_770:
	s_or_b64 exec, exec, s[6:7]
	buffer_load_dword v88, off, s[0:3], 0 offset:152
	v_cmp_gt_u32_e32 vcc, 38, v0
	s_waitcnt vmcnt(0)
	ds_write_b32 v86, v88
	s_waitcnt lgkmcnt(0)
	; wave barrier
	s_waitcnt lgkmcnt(0)
	s_and_saveexec_b64 s[6:7], vcc
	s_cbranch_execz .LBB105_780
; %bb.771:
	s_and_b64 vcc, exec, s[4:5]
	s_cbranch_vccnz .LBB105_773
; %bb.772:
	buffer_load_dword v88, v87, s[0:3], 0 offen
	ds_read_b32 v89, v86
	s_waitcnt vmcnt(0) lgkmcnt(0)
	v_mul_f32_e32 v88, v88, v89
	s_cbranch_execz .LBB105_774
	s_branch .LBB105_775
.LBB105_773:
                                        ; implicit-def: $vgpr88
.LBB105_774:
	ds_read_b32 v88, v86
.LBB105_775:
	v_cmp_ne_u32_e32 vcc, 37, v0
	s_and_saveexec_b64 s[8:9], vcc
	s_cbranch_execz .LBB105_779
; %bb.776:
	v_mov_b32_e32 v90, 0
	v_add_u32_e32 v89, 0xb4, v1
	v_add3_u32 v90, v1, v90, 4
	s_mov_b64 s[10:11], 0
	v_mov_b32_e32 v91, v0
.LBB105_777:                            ; =>This Inner Loop Header: Depth=1
	buffer_load_dword v92, v90, s[0:3], 0 offen
	ds_read_b32 v93, v89
	v_add_u32_e32 v91, 1, v91
	v_cmp_lt_u32_e32 vcc, 36, v91
	v_add_u32_e32 v89, 4, v89
	v_add_u32_e32 v90, 4, v90
	s_or_b64 s[10:11], vcc, s[10:11]
	s_waitcnt vmcnt(0) lgkmcnt(0)
	v_fmac_f32_e32 v88, v92, v93
	s_andn2_b64 exec, exec, s[10:11]
	s_cbranch_execnz .LBB105_777
; %bb.778:
	s_or_b64 exec, exec, s[10:11]
.LBB105_779:
	s_or_b64 exec, exec, s[8:9]
	v_mov_b32_e32 v89, 0
	ds_read_b32 v89, v89 offset:152
	s_waitcnt lgkmcnt(0)
	v_mul_f32_e32 v88, v88, v89
	buffer_store_dword v88, off, s[0:3], 0 offset:152
.LBB105_780:
	s_or_b64 exec, exec, s[6:7]
	buffer_load_dword v88, off, s[0:3], 0 offset:156
	v_cmp_gt_u32_e32 vcc, 39, v0
	s_waitcnt vmcnt(0)
	ds_write_b32 v86, v88
	s_waitcnt lgkmcnt(0)
	; wave barrier
	s_waitcnt lgkmcnt(0)
	s_and_saveexec_b64 s[6:7], vcc
	s_cbranch_execz .LBB105_790
; %bb.781:
	s_and_b64 vcc, exec, s[4:5]
	s_cbranch_vccnz .LBB105_783
; %bb.782:
	buffer_load_dword v88, v87, s[0:3], 0 offen
	ds_read_b32 v89, v86
	s_waitcnt vmcnt(0) lgkmcnt(0)
	v_mul_f32_e32 v88, v88, v89
	s_cbranch_execz .LBB105_784
	s_branch .LBB105_785
.LBB105_783:
                                        ; implicit-def: $vgpr88
.LBB105_784:
	ds_read_b32 v88, v86
.LBB105_785:
	v_cmp_ne_u32_e32 vcc, 38, v0
	s_and_saveexec_b64 s[8:9], vcc
	s_cbranch_execz .LBB105_789
; %bb.786:
	v_mov_b32_e32 v90, 0
	v_add_u32_e32 v89, 0xb4, v1
	v_add3_u32 v90, v1, v90, 4
	s_mov_b64 s[10:11], 0
	v_mov_b32_e32 v91, v0
.LBB105_787:                            ; =>This Inner Loop Header: Depth=1
	buffer_load_dword v92, v90, s[0:3], 0 offen
	ds_read_b32 v93, v89
	v_add_u32_e32 v91, 1, v91
	v_cmp_lt_u32_e32 vcc, 37, v91
	v_add_u32_e32 v89, 4, v89
	v_add_u32_e32 v90, 4, v90
	s_or_b64 s[10:11], vcc, s[10:11]
	s_waitcnt vmcnt(0) lgkmcnt(0)
	v_fmac_f32_e32 v88, v92, v93
	s_andn2_b64 exec, exec, s[10:11]
	s_cbranch_execnz .LBB105_787
; %bb.788:
	s_or_b64 exec, exec, s[10:11]
.LBB105_789:
	s_or_b64 exec, exec, s[8:9]
	v_mov_b32_e32 v89, 0
	ds_read_b32 v89, v89 offset:156
	s_waitcnt lgkmcnt(0)
	v_mul_f32_e32 v88, v88, v89
	buffer_store_dword v88, off, s[0:3], 0 offset:156
.LBB105_790:
	s_or_b64 exec, exec, s[6:7]
	buffer_load_dword v88, off, s[0:3], 0 offset:160
	v_cmp_gt_u32_e64 s[6:7], 40, v0
	s_waitcnt vmcnt(0)
	ds_write_b32 v86, v88
	s_waitcnt lgkmcnt(0)
	; wave barrier
	s_waitcnt lgkmcnt(0)
	s_and_saveexec_b64 s[8:9], s[6:7]
	s_cbranch_execz .LBB105_800
; %bb.791:
	s_and_b64 vcc, exec, s[4:5]
	s_cbranch_vccnz .LBB105_793
; %bb.792:
	buffer_load_dword v88, v87, s[0:3], 0 offen
	ds_read_b32 v89, v86
	s_waitcnt vmcnt(0) lgkmcnt(0)
	v_mul_f32_e32 v88, v88, v89
	s_cbranch_execz .LBB105_794
	s_branch .LBB105_795
.LBB105_793:
                                        ; implicit-def: $vgpr88
.LBB105_794:
	ds_read_b32 v88, v86
.LBB105_795:
	v_cmp_ne_u32_e32 vcc, 39, v0
	s_and_saveexec_b64 s[10:11], vcc
	s_cbranch_execz .LBB105_799
; %bb.796:
	v_mov_b32_e32 v90, 0
	v_add_u32_e32 v89, 0xb4, v1
	v_add3_u32 v90, v1, v90, 4
	s_mov_b64 s[12:13], 0
	v_mov_b32_e32 v91, v0
.LBB105_797:                            ; =>This Inner Loop Header: Depth=1
	buffer_load_dword v92, v90, s[0:3], 0 offen
	ds_read_b32 v93, v89
	v_add_u32_e32 v91, 1, v91
	v_cmp_lt_u32_e32 vcc, 38, v91
	v_add_u32_e32 v89, 4, v89
	v_add_u32_e32 v90, 4, v90
	s_or_b64 s[12:13], vcc, s[12:13]
	s_waitcnt vmcnt(0) lgkmcnt(0)
	v_fmac_f32_e32 v88, v92, v93
	s_andn2_b64 exec, exec, s[12:13]
	s_cbranch_execnz .LBB105_797
; %bb.798:
	s_or_b64 exec, exec, s[12:13]
.LBB105_799:
	s_or_b64 exec, exec, s[10:11]
	v_mov_b32_e32 v89, 0
	ds_read_b32 v89, v89 offset:160
	s_waitcnt lgkmcnt(0)
	v_mul_f32_e32 v88, v88, v89
	buffer_store_dword v88, off, s[0:3], 0 offset:160
.LBB105_800:
	s_or_b64 exec, exec, s[8:9]
	buffer_load_dword v88, off, s[0:3], 0 offset:164
	v_cmp_ne_u32_e32 vcc, 41, v0
	s_waitcnt vmcnt(0)
	ds_write_b32 v86, v88
	s_waitcnt lgkmcnt(0)
	; wave barrier
	s_waitcnt lgkmcnt(0)
	s_and_saveexec_b64 s[8:9], vcc
	s_cbranch_execz .LBB105_810
; %bb.801:
	s_and_b64 vcc, exec, s[4:5]
	s_cbranch_vccnz .LBB105_803
; %bb.802:
	buffer_load_dword v87, v87, s[0:3], 0 offen
	ds_read_b32 v88, v86
	s_waitcnt vmcnt(0) lgkmcnt(0)
	v_mul_f32_e32 v87, v87, v88
	s_cbranch_execz .LBB105_804
	s_branch .LBB105_805
.LBB105_803:
                                        ; implicit-def: $vgpr87
.LBB105_804:
	ds_read_b32 v87, v86
.LBB105_805:
	s_and_saveexec_b64 s[4:5], s[6:7]
	s_cbranch_execz .LBB105_809
; %bb.806:
	v_mov_b32_e32 v88, 0
	v_add_u32_e32 v86, 0xb4, v1
	v_add3_u32 v1, v1, v88, 4
	s_mov_b64 s[6:7], 0
.LBB105_807:                            ; =>This Inner Loop Header: Depth=1
	buffer_load_dword v88, v1, s[0:3], 0 offen
	ds_read_b32 v89, v86
	v_add_u32_e32 v0, 1, v0
	v_cmp_lt_u32_e32 vcc, 39, v0
	v_add_u32_e32 v86, 4, v86
	v_add_u32_e32 v1, 4, v1
	s_or_b64 s[6:7], vcc, s[6:7]
	s_waitcnt vmcnt(0) lgkmcnt(0)
	v_fmac_f32_e32 v87, v88, v89
	s_andn2_b64 exec, exec, s[6:7]
	s_cbranch_execnz .LBB105_807
; %bb.808:
	s_or_b64 exec, exec, s[6:7]
.LBB105_809:
	s_or_b64 exec, exec, s[4:5]
	v_mov_b32_e32 v0, 0
	ds_read_b32 v0, v0 offset:164
	s_waitcnt lgkmcnt(0)
	v_mul_f32_e32 v0, v87, v0
	buffer_store_dword v0, off, s[0:3], 0 offset:164
.LBB105_810:
	s_or_b64 exec, exec, s[8:9]
.LBB105_811:
	buffer_load_dword v0, off, s[0:3], 0
	buffer_load_dword v1, off, s[0:3], 0 offset:4
	buffer_load_dword v86, off, s[0:3], 0 offset:8
	;; [unrolled: 1-line block ×39, first 2 shown]
	s_waitcnt vmcnt(39)
	global_store_dword v[80:81], v0, off
	buffer_load_dword v0, off, s[0:3], 0 offset:160
	s_nop 0
	buffer_load_dword v80, off, s[0:3], 0 offset:164
	s_waitcnt vmcnt(41)
	global_store_dword v[82:83], v1, off
	s_waitcnt vmcnt(41)
	global_store_dword v[2:3], v86, off
	;; [unrolled: 2-line block ×41, first 2 shown]
.LBB105_812:
	s_endpgm
	.section	.rodata,"a",@progbits
	.p2align	6, 0x0
	.amdhsa_kernel _ZN9rocsolver6v33100L18trti2_kernel_smallILi42EfPKPfEEv13rocblas_fill_17rocblas_diagonal_T1_iil
		.amdhsa_group_segment_fixed_size 344
		.amdhsa_private_segment_fixed_size 176
		.amdhsa_kernarg_size 32
		.amdhsa_user_sgpr_count 8
		.amdhsa_user_sgpr_private_segment_buffer 1
		.amdhsa_user_sgpr_dispatch_ptr 0
		.amdhsa_user_sgpr_queue_ptr 0
		.amdhsa_user_sgpr_kernarg_segment_ptr 1
		.amdhsa_user_sgpr_dispatch_id 0
		.amdhsa_user_sgpr_flat_scratch_init 1
		.amdhsa_user_sgpr_kernarg_preload_length 0
		.amdhsa_user_sgpr_kernarg_preload_offset 0
		.amdhsa_user_sgpr_private_segment_size 0
		.amdhsa_uses_dynamic_stack 0
		.amdhsa_system_sgpr_private_segment_wavefront_offset 1
		.amdhsa_system_sgpr_workgroup_id_x 1
		.amdhsa_system_sgpr_workgroup_id_y 0
		.amdhsa_system_sgpr_workgroup_id_z 0
		.amdhsa_system_sgpr_workgroup_info 0
		.amdhsa_system_vgpr_workitem_id 0
		.amdhsa_next_free_vgpr 124
		.amdhsa_next_free_sgpr 16
		.amdhsa_accum_offset 124
		.amdhsa_reserve_vcc 1
		.amdhsa_reserve_flat_scratch 0
		.amdhsa_float_round_mode_32 0
		.amdhsa_float_round_mode_16_64 0
		.amdhsa_float_denorm_mode_32 3
		.amdhsa_float_denorm_mode_16_64 3
		.amdhsa_dx10_clamp 1
		.amdhsa_ieee_mode 1
		.amdhsa_fp16_overflow 0
		.amdhsa_tg_split 0
		.amdhsa_exception_fp_ieee_invalid_op 0
		.amdhsa_exception_fp_denorm_src 0
		.amdhsa_exception_fp_ieee_div_zero 0
		.amdhsa_exception_fp_ieee_overflow 0
		.amdhsa_exception_fp_ieee_underflow 0
		.amdhsa_exception_fp_ieee_inexact 0
		.amdhsa_exception_int_div_zero 0
	.end_amdhsa_kernel
	.section	.text._ZN9rocsolver6v33100L18trti2_kernel_smallILi42EfPKPfEEv13rocblas_fill_17rocblas_diagonal_T1_iil,"axG",@progbits,_ZN9rocsolver6v33100L18trti2_kernel_smallILi42EfPKPfEEv13rocblas_fill_17rocblas_diagonal_T1_iil,comdat
.Lfunc_end105:
	.size	_ZN9rocsolver6v33100L18trti2_kernel_smallILi42EfPKPfEEv13rocblas_fill_17rocblas_diagonal_T1_iil, .Lfunc_end105-_ZN9rocsolver6v33100L18trti2_kernel_smallILi42EfPKPfEEv13rocblas_fill_17rocblas_diagonal_T1_iil
                                        ; -- End function
	.section	.AMDGPU.csdata,"",@progbits
; Kernel info:
; codeLenInByte = 20488
; NumSgprs: 20
; NumVgprs: 124
; NumAgprs: 0
; TotalNumVgprs: 124
; ScratchSize: 176
; MemoryBound: 0
; FloatMode: 240
; IeeeMode: 1
; LDSByteSize: 344 bytes/workgroup (compile time only)
; SGPRBlocks: 2
; VGPRBlocks: 15
; NumSGPRsForWavesPerEU: 20
; NumVGPRsForWavesPerEU: 124
; AccumOffset: 124
; Occupancy: 4
; WaveLimiterHint : 1
; COMPUTE_PGM_RSRC2:SCRATCH_EN: 1
; COMPUTE_PGM_RSRC2:USER_SGPR: 8
; COMPUTE_PGM_RSRC2:TRAP_HANDLER: 0
; COMPUTE_PGM_RSRC2:TGID_X_EN: 1
; COMPUTE_PGM_RSRC2:TGID_Y_EN: 0
; COMPUTE_PGM_RSRC2:TGID_Z_EN: 0
; COMPUTE_PGM_RSRC2:TIDIG_COMP_CNT: 0
; COMPUTE_PGM_RSRC3_GFX90A:ACCUM_OFFSET: 30
; COMPUTE_PGM_RSRC3_GFX90A:TG_SPLIT: 0
	.section	.text._ZN9rocsolver6v33100L18trti2_kernel_smallILi43EfPKPfEEv13rocblas_fill_17rocblas_diagonal_T1_iil,"axG",@progbits,_ZN9rocsolver6v33100L18trti2_kernel_smallILi43EfPKPfEEv13rocblas_fill_17rocblas_diagonal_T1_iil,comdat
	.globl	_ZN9rocsolver6v33100L18trti2_kernel_smallILi43EfPKPfEEv13rocblas_fill_17rocblas_diagonal_T1_iil ; -- Begin function _ZN9rocsolver6v33100L18trti2_kernel_smallILi43EfPKPfEEv13rocblas_fill_17rocblas_diagonal_T1_iil
	.p2align	8
	.type	_ZN9rocsolver6v33100L18trti2_kernel_smallILi43EfPKPfEEv13rocblas_fill_17rocblas_diagonal_T1_iil,@function
_ZN9rocsolver6v33100L18trti2_kernel_smallILi43EfPKPfEEv13rocblas_fill_17rocblas_diagonal_T1_iil: ; @_ZN9rocsolver6v33100L18trti2_kernel_smallILi43EfPKPfEEv13rocblas_fill_17rocblas_diagonal_T1_iil
; %bb.0:
	s_add_u32 s0, s0, s9
	s_addc_u32 s1, s1, 0
	v_cmp_gt_u32_e32 vcc, 43, v0
	s_and_saveexec_b64 s[6:7], vcc
	s_cbranch_execz .LBB106_832
; %bb.1:
	s_load_dwordx2 s[6:7], s[4:5], 0x10
	s_load_dwordx4 s[12:15], s[4:5], 0x0
	s_ashr_i32 s9, s8, 31
	s_lshl_b64 s[4:5], s[8:9], 3
	s_waitcnt lgkmcnt(0)
	s_ashr_i32 s9, s6, 31
	s_add_u32 s4, s14, s4
	s_addc_u32 s5, s15, s5
	s_load_dwordx2 s[4:5], s[4:5], 0x0
	s_mov_b32 s8, s6
	s_lshl_b64 s[8:9], s[8:9], 2
	s_waitcnt lgkmcnt(0)
	s_add_u32 s4, s4, s8
	s_addc_u32 s5, s5, s9
	s_add_i32 s6, s7, s7
	v_add_u32_e32 v4, s6, v0
	v_ashrrev_i32_e32 v5, 31, v4
	v_lshlrev_b64 v[2:3], 2, v[4:5]
	v_add_u32_e32 v6, s7, v4
	v_mov_b32_e32 v1, s5
	v_add_co_u32_e32 v2, vcc, s4, v2
	v_ashrrev_i32_e32 v7, 31, v6
	v_addc_co_u32_e32 v3, vcc, v1, v3, vcc
	v_lshlrev_b64 v[4:5], 2, v[6:7]
	v_add_u32_e32 v8, s7, v6
	v_add_co_u32_e32 v4, vcc, s4, v4
	v_ashrrev_i32_e32 v9, 31, v8
	v_addc_co_u32_e32 v5, vcc, v1, v5, vcc
	v_lshlrev_b64 v[6:7], 2, v[8:9]
	v_add_u32_e32 v10, s7, v8
	;; [unrolled: 5-line block ×30, first 2 shown]
	v_add_co_u32_e32 v62, vcc, s4, v62
	v_ashrrev_i32_e32 v67, 31, v66
	v_addc_co_u32_e32 v63, vcc, v1, v63, vcc
	v_lshlrev_b64 v[64:65], 2, v[66:67]
	v_add_co_u32_e32 v64, vcc, s4, v64
	v_addc_co_u32_e32 v65, vcc, v1, v65, vcc
	v_lshlrev_b32_e32 v1, 2, v0
	v_add_u32_e32 v68, s7, v66
	v_mov_b32_e32 v66, s5
	v_add_co_u32_e32 v82, vcc, s4, v1
	s_ashr_i32 s9, s7, 31
	s_mov_b32 s8, s7
	v_addc_co_u32_e32 v83, vcc, 0, v66, vcc
	s_lshl_b64 s[8:9], s[8:9], 2
	v_mov_b32_e32 v66, s9
	v_add_co_u32_e32 v76, vcc, s8, v82
	global_load_dword v88, v1, s[4:5]
	v_addc_co_u32_e32 v77, vcc, v83, v66, vcc
	global_load_dword v89, v[76:77], off
	global_load_dword v90, v[2:3], off
	;; [unrolled: 1-line block ×6, first 2 shown]
	v_ashrrev_i32_e32 v69, 31, v68
	v_lshlrev_b64 v[66:67], 2, v[68:69]
	v_mov_b32_e32 v70, s5
	v_add_co_u32_e32 v66, vcc, s4, v66
	v_addc_co_u32_e32 v67, vcc, v70, v67, vcc
	v_add_u32_e32 v70, s7, v68
	v_ashrrev_i32_e32 v71, 31, v70
	v_lshlrev_b64 v[68:69], 2, v[70:71]
	v_mov_b32_e32 v72, s5
	v_add_co_u32_e32 v68, vcc, s4, v68
	v_addc_co_u32_e32 v69, vcc, v72, v69, vcc
	v_add_u32_e32 v72, s7, v70
	;; [unrolled: 6-line block ×7, first 2 shown]
	v_ashrrev_i32_e32 v87, 31, v86
	v_lshlrev_b64 v[84:85], 2, v[86:87]
	v_add_u32_e32 v86, s7, v86
	v_mov_b32_e32 v95, s5
	v_add_co_u32_e32 v84, vcc, s4, v84
	v_ashrrev_i32_e32 v87, 31, v86
	v_addc_co_u32_e32 v85, vcc, v95, v85, vcc
	v_lshlrev_b64 v[86:87], 2, v[86:87]
	v_add_co_u32_e32 v86, vcc, s4, v86
	v_addc_co_u32_e32 v87, vcc, v95, v87, vcc
	global_load_dword v95, v[86:87], off
	s_cmpk_lg_i32 s13, 0x84
	s_cselect_b64 s[10:11], -1, 0
	s_waitcnt vmcnt(7)
	buffer_store_dword v88, off, s[0:3], 0
	global_load_dword v88, v[12:13], off
	s_nop 0
	global_load_dword v96, v[14:15], off
	s_waitcnt vmcnt(9)
	buffer_store_dword v89, off, s[0:3], 0 offset:4
	s_waitcnt vmcnt(9)
	buffer_store_dword v90, off, s[0:3], 0 offset:8
	global_load_dword v89, v[16:17], off
	s_nop 0
	global_load_dword v90, v[22:23], off
	global_load_dword v97, v[24:25], off
	;; [unrolled: 1-line block ×23, first 2 shown]
	s_waitcnt vmcnt(33)
	buffer_store_dword v91, off, s[0:3], 0 offset:12
	s_waitcnt vmcnt(33)
	buffer_store_dword v92, off, s[0:3], 0 offset:16
	global_load_dword v91, v[64:65], off
	s_nop 0
	global_load_dword v92, v[80:81], off
	global_load_dword v119, v[74:75], off
	;; [unrolled: 1-line block ×6, first 2 shown]
	s_cmpk_eq_i32 s13, 0x84
	s_waitcnt vmcnt(40)
	buffer_store_dword v93, off, s[0:3], 0 offset:20
	global_load_dword v93, v[78:79], off
	s_waitcnt vmcnt(41)
	buffer_store_dword v94, off, s[0:3], 0 offset:24
	global_load_dword v94, v[84:85], off
	s_waitcnt vmcnt(40)
	buffer_store_dword v88, off, s[0:3], 0 offset:28
	s_waitcnt vmcnt(40)
	buffer_store_dword v96, off, s[0:3], 0 offset:32
	s_waitcnt vmcnt(38)
	buffer_store_dword v89, off, s[0:3], 0 offset:36
	s_waitcnt vmcnt(33)
	buffer_store_dword v101, off, s[0:3], 0 offset:44
	s_waitcnt vmcnt(33)
	buffer_store_dword v102, off, s[0:3], 0 offset:40
	buffer_store_dword v90, off, s[0:3], 0 offset:48
	buffer_store_dword v97, off, s[0:3], 0 offset:52
	;; [unrolled: 1-line block ×5, first 2 shown]
	s_waitcnt vmcnt(38)
	buffer_store_dword v103, off, s[0:3], 0 offset:68
	s_waitcnt vmcnt(38)
	buffer_store_dword v104, off, s[0:3], 0 offset:72
	;; [unrolled: 2-line block ×5, first 2 shown]
	buffer_store_dword v107, off, s[0:3], 0 offset:92
	buffer_store_dword v108, off, s[0:3], 0 offset:88
	s_waitcnt vmcnt(37)
	buffer_store_dword v111, off, s[0:3], 0 offset:100
	buffer_store_dword v106, off, s[0:3], 0 offset:96
	s_waitcnt vmcnt(33)
	buffer_store_dword v117, off, s[0:3], 0 offset:108
	s_waitcnt vmcnt(33)
	buffer_store_dword v118, off, s[0:3], 0 offset:104
	buffer_store_dword v115, off, s[0:3], 0 offset:116
	buffer_store_dword v116, off, s[0:3], 0 offset:112
	buffer_store_dword v113, off, s[0:3], 0 offset:124
	buffer_store_dword v114, off, s[0:3], 0 offset:120
	s_waitcnt vmcnt(35)
	buffer_store_dword v91, off, s[0:3], 0 offset:132
	buffer_store_dword v112, off, s[0:3], 0 offset:128
	s_waitcnt vmcnt(33)
	buffer_store_dword v121, off, s[0:3], 0 offset:140
	s_waitcnt vmcnt(33)
	;; [unrolled: 2-line block ×3, first 2 shown]
	buffer_store_dword v123, off, s[0:3], 0 offset:148
	buffer_store_dword v120, off, s[0:3], 0 offset:144
	s_waitcnt vmcnt(33)
	buffer_store_dword v93, off, s[0:3], 0 offset:156
	buffer_store_dword v119, off, s[0:3], 0 offset:152
	s_waitcnt vmcnt(33)
	buffer_store_dword v94, off, s[0:3], 0 offset:164
	buffer_store_dword v92, off, s[0:3], 0 offset:160
	;; [unrolled: 1-line block ×3, first 2 shown]
	v_mov_b32_e32 v109, 0
	v_mov_b32_e32 v88, -1.0
	s_cbranch_scc1 .LBB106_3
; %bb.2:
	v_lshl_add_u32 v88, v0, 2, v109
	buffer_load_dword v89, v88, s[0:3], 0 offen
	s_waitcnt vmcnt(0)
	v_div_scale_f32 v90, s[4:5], v89, v89, 1.0
	v_rcp_f32_e32 v91, v90
	v_div_scale_f32 v92, vcc, 1.0, v89, 1.0
	v_fma_f32 v93, -v90, v91, 1.0
	v_fmac_f32_e32 v91, v93, v91
	v_mul_f32_e32 v93, v92, v91
	v_fma_f32 v94, -v90, v93, v92
	v_fmac_f32_e32 v93, v94, v91
	v_fma_f32 v90, -v90, v93, v92
	v_div_fmas_f32 v90, v90, v91, v93
	v_div_fixup_f32 v89, v90, v89, 1.0
	buffer_store_dword v89, v88, s[0:3], 0 offen
	v_xor_b32_e32 v88, 0x80000000, v89
.LBB106_3:
	ds_write_b32 v1, v88
	s_cmpk_eq_i32 s12, 0x79
	v_add_u32_e32 v88, 0xb0, v1
	v_add_u32_e32 v89, 0, v1
	s_mov_b64 s[4:5], -1
	s_cbranch_scc1 .LBB106_417
; %bb.4:
	buffer_load_dword v90, off, s[0:3], 0 offset:164
	v_cmp_eq_u32_e64 s[4:5], 42, v0
	s_waitcnt vmcnt(0)
	ds_write_b32 v88, v90
	s_waitcnt lgkmcnt(0)
	; wave barrier
	s_waitcnt lgkmcnt(0)
	s_and_saveexec_b64 s[6:7], s[4:5]
	s_cbranch_execz .LBB106_10
; %bb.5:
	s_and_b64 vcc, exec, s[10:11]
	s_cbranch_vccz .LBB106_7
; %bb.6:
	buffer_load_dword v90, v89, s[0:3], 0 offen
	ds_read_b32 v91, v88
	s_waitcnt vmcnt(0) lgkmcnt(0)
	v_mul_f32_e32 v90, v90, v91
	s_cbranch_execz .LBB106_8
	s_branch .LBB106_9
.LBB106_7:
                                        ; implicit-def: $vgpr90
.LBB106_8:
	ds_read_b32 v90, v88
.LBB106_9:
	v_mov_b32_e32 v91, 0
	ds_read_b32 v91, v91 offset:164
	s_waitcnt lgkmcnt(0)
	v_mul_f32_e32 v90, v90, v91
	buffer_store_dword v90, off, s[0:3], 0 offset:164
.LBB106_10:
	s_or_b64 exec, exec, s[6:7]
	buffer_load_dword v110, off, s[0:3], 0 offset:160
	v_or_b32_e32 v90, 8, v109
	v_add_u32_e32 v91, 16, v109
	v_add_u32_e32 v92, 24, v109
	;; [unrolled: 1-line block ×19, first 2 shown]
	v_cmp_lt_u32_e64 s[8:9], 40, v0
	s_waitcnt vmcnt(0)
	ds_write_b32 v88, v110
	s_waitcnt lgkmcnt(0)
	; wave barrier
	s_waitcnt lgkmcnt(0)
	s_and_saveexec_b64 s[6:7], s[8:9]
	s_cbranch_execz .LBB106_16
; %bb.11:
	s_andn2_b64 vcc, exec, s[10:11]
	s_cbranch_vccnz .LBB106_13
; %bb.12:
	buffer_load_dword v110, v89, s[0:3], 0 offen
	ds_read_b32 v111, v88
	s_waitcnt vmcnt(0) lgkmcnt(0)
	v_mul_f32_e32 v110, v110, v111
	s_cbranch_execz .LBB106_14
	s_branch .LBB106_15
.LBB106_13:
                                        ; implicit-def: $vgpr110
.LBB106_14:
	ds_read_b32 v110, v88
.LBB106_15:
	buffer_load_dword v111, off, s[0:3], 0 offset:164
	v_mov_b32_e32 v112, 0
	ds_read2_b32 v[112:113], v112 offset0:40 offset1:85
	s_waitcnt vmcnt(0) lgkmcnt(0)
	v_fma_f32 v111, v111, v113, v110
	v_cndmask_b32_e64 v110, v110, v111, s[4:5]
	v_mul_f32_e32 v110, v110, v112
	buffer_store_dword v110, off, s[0:3], 0 offset:160
.LBB106_16:
	s_or_b64 exec, exec, s[6:7]
	buffer_load_dword v110, off, s[0:3], 0 offset:156
	v_cmp_lt_u32_e64 s[6:7], 39, v0
	s_waitcnt vmcnt(0)
	ds_write_b32 v88, v110
	s_waitcnt lgkmcnt(0)
	; wave barrier
	s_waitcnt lgkmcnt(0)
	s_and_saveexec_b64 s[4:5], s[6:7]
	s_cbranch_execz .LBB106_26
; %bb.17:
	s_andn2_b64 vcc, exec, s[10:11]
	s_cbranch_vccnz .LBB106_19
; %bb.18:
	buffer_load_dword v110, v89, s[0:3], 0 offen
	ds_read_b32 v111, v88
	s_waitcnt vmcnt(0) lgkmcnt(0)
	v_mul_f32_e32 v110, v110, v111
	s_cbranch_execz .LBB106_20
	s_branch .LBB106_21
.LBB106_19:
                                        ; implicit-def: $vgpr110
.LBB106_20:
	ds_read_b32 v110, v88
.LBB106_21:
	s_and_saveexec_b64 s[12:13], s[8:9]
	s_cbranch_execz .LBB106_25
; %bb.22:
	v_subrev_u32_e32 v111, 40, v0
	s_movk_i32 s14, 0x150
	s_mov_b64 s[8:9], 0
.LBB106_23:                             ; =>This Inner Loop Header: Depth=1
	buffer_load_dword v112, v109, s[0:3], 0 offen
	v_mov_b32_e32 v113, s14
	ds_read_b32 v113, v113
	v_add_u32_e32 v111, -1, v111
	s_add_i32 s14, s14, 4
	v_cmp_eq_u32_e32 vcc, 0, v111
	v_add_u32_e32 v109, 4, v109
	s_or_b64 s[8:9], vcc, s[8:9]
	s_waitcnt vmcnt(0) lgkmcnt(0)
	v_fmac_f32_e32 v110, v112, v113
	s_andn2_b64 exec, exec, s[8:9]
	s_cbranch_execnz .LBB106_23
; %bb.24:
	s_or_b64 exec, exec, s[8:9]
.LBB106_25:
	s_or_b64 exec, exec, s[12:13]
	v_mov_b32_e32 v109, 0
	ds_read_b32 v109, v109 offset:156
	s_waitcnt lgkmcnt(0)
	v_mul_f32_e32 v109, v110, v109
	buffer_store_dword v109, off, s[0:3], 0 offset:156
.LBB106_26:
	s_or_b64 exec, exec, s[4:5]
	buffer_load_dword v109, off, s[0:3], 0 offset:152
	v_cmp_lt_u32_e64 s[4:5], 38, v0
	s_waitcnt vmcnt(0)
	ds_write_b32 v88, v109
	s_waitcnt lgkmcnt(0)
	; wave barrier
	s_waitcnt lgkmcnt(0)
	s_and_saveexec_b64 s[8:9], s[4:5]
	s_cbranch_execz .LBB106_36
; %bb.27:
	s_andn2_b64 vcc, exec, s[10:11]
	s_cbranch_vccnz .LBB106_29
; %bb.28:
	buffer_load_dword v109, v89, s[0:3], 0 offen
	ds_read_b32 v110, v88
	s_waitcnt vmcnt(0) lgkmcnt(0)
	v_mul_f32_e32 v109, v109, v110
	s_cbranch_execz .LBB106_30
	s_branch .LBB106_31
.LBB106_29:
                                        ; implicit-def: $vgpr109
.LBB106_30:
	ds_read_b32 v109, v88
.LBB106_31:
	s_and_saveexec_b64 s[12:13], s[6:7]
	s_cbranch_execz .LBB106_35
; %bb.32:
	v_mov_b32_e32 v110, 0
	v_add_u32_e32 v110, 0x9c, v110
	v_subrev_u32_e32 v111, 39, v0
	s_movk_i32 s14, 0x14c
	s_mov_b64 s[6:7], 0
.LBB106_33:                             ; =>This Inner Loop Header: Depth=1
	buffer_load_dword v112, v110, s[0:3], 0 offen
	v_mov_b32_e32 v113, s14
	ds_read_b32 v113, v113
	v_add_u32_e32 v111, -1, v111
	s_add_i32 s14, s14, 4
	v_cmp_eq_u32_e32 vcc, 0, v111
	v_add_u32_e32 v110, 4, v110
	s_or_b64 s[6:7], vcc, s[6:7]
	s_waitcnt vmcnt(0) lgkmcnt(0)
	v_fmac_f32_e32 v109, v112, v113
	s_andn2_b64 exec, exec, s[6:7]
	s_cbranch_execnz .LBB106_33
; %bb.34:
	s_or_b64 exec, exec, s[6:7]
.LBB106_35:
	s_or_b64 exec, exec, s[12:13]
	v_mov_b32_e32 v110, 0
	ds_read_b32 v110, v110 offset:152
	s_waitcnt lgkmcnt(0)
	v_mul_f32_e32 v109, v109, v110
	buffer_store_dword v109, off, s[0:3], 0 offset:152
.LBB106_36:
	s_or_b64 exec, exec, s[8:9]
	buffer_load_dword v109, off, s[0:3], 0 offset:148
	v_cmp_lt_u32_e64 s[6:7], 37, v0
	s_waitcnt vmcnt(0)
	ds_write_b32 v88, v109
	s_waitcnt lgkmcnt(0)
	; wave barrier
	s_waitcnt lgkmcnt(0)
	s_and_saveexec_b64 s[8:9], s[6:7]
	s_cbranch_execz .LBB106_46
; %bb.37:
	s_andn2_b64 vcc, exec, s[10:11]
	s_cbranch_vccnz .LBB106_39
; %bb.38:
	buffer_load_dword v109, v89, s[0:3], 0 offen
	ds_read_b32 v110, v88
	s_waitcnt vmcnt(0) lgkmcnt(0)
	v_mul_f32_e32 v109, v109, v110
	s_cbranch_execz .LBB106_40
	s_branch .LBB106_41
.LBB106_39:
                                        ; implicit-def: $vgpr109
.LBB106_40:
	ds_read_b32 v109, v88
.LBB106_41:
	s_and_saveexec_b64 s[12:13], s[4:5]
	s_cbranch_execz .LBB106_45
; %bb.42:
	v_subrev_u32_e32 v110, 38, v0
	s_movk_i32 s14, 0x148
	s_mov_b64 s[4:5], 0
.LBB106_43:                             ; =>This Inner Loop Header: Depth=1
	buffer_load_dword v111, v108, s[0:3], 0 offen
	v_mov_b32_e32 v112, s14
	ds_read_b32 v112, v112
	v_add_u32_e32 v110, -1, v110
	s_add_i32 s14, s14, 4
	v_cmp_eq_u32_e32 vcc, 0, v110
	v_add_u32_e32 v108, 4, v108
	s_or_b64 s[4:5], vcc, s[4:5]
	s_waitcnt vmcnt(0) lgkmcnt(0)
	v_fmac_f32_e32 v109, v111, v112
	s_andn2_b64 exec, exec, s[4:5]
	s_cbranch_execnz .LBB106_43
; %bb.44:
	s_or_b64 exec, exec, s[4:5]
.LBB106_45:
	s_or_b64 exec, exec, s[12:13]
	v_mov_b32_e32 v108, 0
	ds_read_b32 v108, v108 offset:148
	s_waitcnt lgkmcnt(0)
	v_mul_f32_e32 v108, v109, v108
	buffer_store_dword v108, off, s[0:3], 0 offset:148
.LBB106_46:
	s_or_b64 exec, exec, s[8:9]
	buffer_load_dword v108, off, s[0:3], 0 offset:144
	v_cmp_lt_u32_e64 s[4:5], 36, v0
	s_waitcnt vmcnt(0)
	ds_write_b32 v88, v108
	s_waitcnt lgkmcnt(0)
	; wave barrier
	s_waitcnt lgkmcnt(0)
	s_and_saveexec_b64 s[8:9], s[4:5]
	s_cbranch_execz .LBB106_56
; %bb.47:
	s_andn2_b64 vcc, exec, s[10:11]
	s_cbranch_vccnz .LBB106_49
; %bb.48:
	buffer_load_dword v108, v89, s[0:3], 0 offen
	ds_read_b32 v109, v88
	s_waitcnt vmcnt(0) lgkmcnt(0)
	v_mul_f32_e32 v108, v108, v109
	s_cbranch_execz .LBB106_50
	s_branch .LBB106_51
.LBB106_49:
                                        ; implicit-def: $vgpr108
.LBB106_50:
	ds_read_b32 v108, v88
.LBB106_51:
	s_and_saveexec_b64 s[12:13], s[6:7]
	s_cbranch_execz .LBB106_55
; %bb.52:
	v_mov_b32_e32 v109, 0
	v_add_u32_e32 v109, 0x94, v109
	v_subrev_u32_e32 v110, 37, v0
	s_movk_i32 s14, 0x144
	s_mov_b64 s[6:7], 0
.LBB106_53:                             ; =>This Inner Loop Header: Depth=1
	buffer_load_dword v111, v109, s[0:3], 0 offen
	v_mov_b32_e32 v112, s14
	ds_read_b32 v112, v112
	v_add_u32_e32 v110, -1, v110
	s_add_i32 s14, s14, 4
	v_cmp_eq_u32_e32 vcc, 0, v110
	v_add_u32_e32 v109, 4, v109
	s_or_b64 s[6:7], vcc, s[6:7]
	s_waitcnt vmcnt(0) lgkmcnt(0)
	v_fmac_f32_e32 v108, v111, v112
	s_andn2_b64 exec, exec, s[6:7]
	s_cbranch_execnz .LBB106_53
; %bb.54:
	s_or_b64 exec, exec, s[6:7]
.LBB106_55:
	s_or_b64 exec, exec, s[12:13]
	v_mov_b32_e32 v109, 0
	ds_read_b32 v109, v109 offset:144
	s_waitcnt lgkmcnt(0)
	v_mul_f32_e32 v108, v108, v109
	buffer_store_dword v108, off, s[0:3], 0 offset:144
.LBB106_56:
	s_or_b64 exec, exec, s[8:9]
	buffer_load_dword v108, off, s[0:3], 0 offset:140
	v_cmp_lt_u32_e64 s[6:7], 35, v0
	s_waitcnt vmcnt(0)
	ds_write_b32 v88, v108
	s_waitcnt lgkmcnt(0)
	; wave barrier
	s_waitcnt lgkmcnt(0)
	s_and_saveexec_b64 s[8:9], s[6:7]
	s_cbranch_execz .LBB106_66
; %bb.57:
	s_andn2_b64 vcc, exec, s[10:11]
	s_cbranch_vccnz .LBB106_59
; %bb.58:
	buffer_load_dword v108, v89, s[0:3], 0 offen
	ds_read_b32 v109, v88
	s_waitcnt vmcnt(0) lgkmcnt(0)
	v_mul_f32_e32 v108, v108, v109
	s_cbranch_execz .LBB106_60
	s_branch .LBB106_61
.LBB106_59:
                                        ; implicit-def: $vgpr108
.LBB106_60:
	ds_read_b32 v108, v88
.LBB106_61:
	s_and_saveexec_b64 s[12:13], s[4:5]
	s_cbranch_execz .LBB106_65
; %bb.62:
	v_subrev_u32_e32 v109, 36, v0
	s_movk_i32 s14, 0x140
	s_mov_b64 s[4:5], 0
.LBB106_63:                             ; =>This Inner Loop Header: Depth=1
	buffer_load_dword v110, v107, s[0:3], 0 offen
	v_mov_b32_e32 v111, s14
	ds_read_b32 v111, v111
	v_add_u32_e32 v109, -1, v109
	s_add_i32 s14, s14, 4
	v_cmp_eq_u32_e32 vcc, 0, v109
	v_add_u32_e32 v107, 4, v107
	s_or_b64 s[4:5], vcc, s[4:5]
	s_waitcnt vmcnt(0) lgkmcnt(0)
	v_fmac_f32_e32 v108, v110, v111
	s_andn2_b64 exec, exec, s[4:5]
	s_cbranch_execnz .LBB106_63
; %bb.64:
	s_or_b64 exec, exec, s[4:5]
.LBB106_65:
	s_or_b64 exec, exec, s[12:13]
	v_mov_b32_e32 v107, 0
	ds_read_b32 v107, v107 offset:140
	s_waitcnt lgkmcnt(0)
	v_mul_f32_e32 v107, v108, v107
	buffer_store_dword v107, off, s[0:3], 0 offset:140
.LBB106_66:
	s_or_b64 exec, exec, s[8:9]
	buffer_load_dword v107, off, s[0:3], 0 offset:136
	v_cmp_lt_u32_e64 s[4:5], 34, v0
	s_waitcnt vmcnt(0)
	ds_write_b32 v88, v107
	s_waitcnt lgkmcnt(0)
	; wave barrier
	s_waitcnt lgkmcnt(0)
	s_and_saveexec_b64 s[8:9], s[4:5]
	s_cbranch_execz .LBB106_76
; %bb.67:
	s_andn2_b64 vcc, exec, s[10:11]
	s_cbranch_vccnz .LBB106_69
; %bb.68:
	buffer_load_dword v107, v89, s[0:3], 0 offen
	ds_read_b32 v108, v88
	s_waitcnt vmcnt(0) lgkmcnt(0)
	v_mul_f32_e32 v107, v107, v108
	s_cbranch_execz .LBB106_70
	s_branch .LBB106_71
.LBB106_69:
                                        ; implicit-def: $vgpr107
.LBB106_70:
	ds_read_b32 v107, v88
.LBB106_71:
	s_and_saveexec_b64 s[12:13], s[6:7]
	s_cbranch_execz .LBB106_75
; %bb.72:
	v_mov_b32_e32 v108, 0
	v_add_u32_e32 v108, 0x8c, v108
	v_subrev_u32_e32 v109, 35, v0
	s_movk_i32 s14, 0x13c
	s_mov_b64 s[6:7], 0
.LBB106_73:                             ; =>This Inner Loop Header: Depth=1
	buffer_load_dword v110, v108, s[0:3], 0 offen
	v_mov_b32_e32 v111, s14
	ds_read_b32 v111, v111
	v_add_u32_e32 v109, -1, v109
	s_add_i32 s14, s14, 4
	v_cmp_eq_u32_e32 vcc, 0, v109
	v_add_u32_e32 v108, 4, v108
	s_or_b64 s[6:7], vcc, s[6:7]
	s_waitcnt vmcnt(0) lgkmcnt(0)
	v_fmac_f32_e32 v107, v110, v111
	s_andn2_b64 exec, exec, s[6:7]
	s_cbranch_execnz .LBB106_73
; %bb.74:
	s_or_b64 exec, exec, s[6:7]
.LBB106_75:
	s_or_b64 exec, exec, s[12:13]
	v_mov_b32_e32 v108, 0
	ds_read_b32 v108, v108 offset:136
	s_waitcnt lgkmcnt(0)
	v_mul_f32_e32 v107, v107, v108
	buffer_store_dword v107, off, s[0:3], 0 offset:136
.LBB106_76:
	s_or_b64 exec, exec, s[8:9]
	buffer_load_dword v107, off, s[0:3], 0 offset:132
	v_cmp_lt_u32_e64 s[6:7], 33, v0
	s_waitcnt vmcnt(0)
	ds_write_b32 v88, v107
	s_waitcnt lgkmcnt(0)
	; wave barrier
	s_waitcnt lgkmcnt(0)
	s_and_saveexec_b64 s[8:9], s[6:7]
	s_cbranch_execz .LBB106_86
; %bb.77:
	s_andn2_b64 vcc, exec, s[10:11]
	s_cbranch_vccnz .LBB106_79
; %bb.78:
	buffer_load_dword v107, v89, s[0:3], 0 offen
	ds_read_b32 v108, v88
	s_waitcnt vmcnt(0) lgkmcnt(0)
	v_mul_f32_e32 v107, v107, v108
	s_cbranch_execz .LBB106_80
	s_branch .LBB106_81
.LBB106_79:
                                        ; implicit-def: $vgpr107
.LBB106_80:
	ds_read_b32 v107, v88
.LBB106_81:
	s_and_saveexec_b64 s[12:13], s[4:5]
	s_cbranch_execz .LBB106_85
; %bb.82:
	v_subrev_u32_e32 v108, 34, v0
	s_movk_i32 s14, 0x138
	s_mov_b64 s[4:5], 0
.LBB106_83:                             ; =>This Inner Loop Header: Depth=1
	buffer_load_dword v109, v106, s[0:3], 0 offen
	v_mov_b32_e32 v110, s14
	ds_read_b32 v110, v110
	v_add_u32_e32 v108, -1, v108
	s_add_i32 s14, s14, 4
	v_cmp_eq_u32_e32 vcc, 0, v108
	v_add_u32_e32 v106, 4, v106
	s_or_b64 s[4:5], vcc, s[4:5]
	s_waitcnt vmcnt(0) lgkmcnt(0)
	v_fmac_f32_e32 v107, v109, v110
	s_andn2_b64 exec, exec, s[4:5]
	s_cbranch_execnz .LBB106_83
; %bb.84:
	s_or_b64 exec, exec, s[4:5]
.LBB106_85:
	s_or_b64 exec, exec, s[12:13]
	v_mov_b32_e32 v106, 0
	ds_read_b32 v106, v106 offset:132
	s_waitcnt lgkmcnt(0)
	v_mul_f32_e32 v106, v107, v106
	buffer_store_dword v106, off, s[0:3], 0 offset:132
.LBB106_86:
	s_or_b64 exec, exec, s[8:9]
	buffer_load_dword v106, off, s[0:3], 0 offset:128
	v_cmp_lt_u32_e64 s[4:5], 32, v0
	s_waitcnt vmcnt(0)
	ds_write_b32 v88, v106
	s_waitcnt lgkmcnt(0)
	; wave barrier
	s_waitcnt lgkmcnt(0)
	s_and_saveexec_b64 s[8:9], s[4:5]
	s_cbranch_execz .LBB106_96
; %bb.87:
	s_andn2_b64 vcc, exec, s[10:11]
	s_cbranch_vccnz .LBB106_89
; %bb.88:
	buffer_load_dword v106, v89, s[0:3], 0 offen
	ds_read_b32 v107, v88
	s_waitcnt vmcnt(0) lgkmcnt(0)
	v_mul_f32_e32 v106, v106, v107
	s_cbranch_execz .LBB106_90
	s_branch .LBB106_91
.LBB106_89:
                                        ; implicit-def: $vgpr106
.LBB106_90:
	ds_read_b32 v106, v88
.LBB106_91:
	s_and_saveexec_b64 s[12:13], s[6:7]
	s_cbranch_execz .LBB106_95
; %bb.92:
	v_mov_b32_e32 v107, 0
	v_add_u32_e32 v107, 0x84, v107
	v_subrev_u32_e32 v108, 33, v0
	s_movk_i32 s14, 0x134
	s_mov_b64 s[6:7], 0
.LBB106_93:                             ; =>This Inner Loop Header: Depth=1
	buffer_load_dword v109, v107, s[0:3], 0 offen
	v_mov_b32_e32 v110, s14
	ds_read_b32 v110, v110
	v_add_u32_e32 v108, -1, v108
	s_add_i32 s14, s14, 4
	v_cmp_eq_u32_e32 vcc, 0, v108
	v_add_u32_e32 v107, 4, v107
	s_or_b64 s[6:7], vcc, s[6:7]
	s_waitcnt vmcnt(0) lgkmcnt(0)
	v_fmac_f32_e32 v106, v109, v110
	s_andn2_b64 exec, exec, s[6:7]
	s_cbranch_execnz .LBB106_93
; %bb.94:
	s_or_b64 exec, exec, s[6:7]
.LBB106_95:
	s_or_b64 exec, exec, s[12:13]
	v_mov_b32_e32 v107, 0
	ds_read_b32 v107, v107 offset:128
	s_waitcnt lgkmcnt(0)
	v_mul_f32_e32 v106, v106, v107
	buffer_store_dword v106, off, s[0:3], 0 offset:128
.LBB106_96:
	s_or_b64 exec, exec, s[8:9]
	buffer_load_dword v106, off, s[0:3], 0 offset:124
	v_cmp_lt_u32_e64 s[6:7], 31, v0
	s_waitcnt vmcnt(0)
	ds_write_b32 v88, v106
	s_waitcnt lgkmcnt(0)
	; wave barrier
	s_waitcnt lgkmcnt(0)
	s_and_saveexec_b64 s[8:9], s[6:7]
	s_cbranch_execz .LBB106_106
; %bb.97:
	s_andn2_b64 vcc, exec, s[10:11]
	s_cbranch_vccnz .LBB106_99
; %bb.98:
	buffer_load_dword v106, v89, s[0:3], 0 offen
	ds_read_b32 v107, v88
	s_waitcnt vmcnt(0) lgkmcnt(0)
	v_mul_f32_e32 v106, v106, v107
	s_cbranch_execz .LBB106_100
	s_branch .LBB106_101
.LBB106_99:
                                        ; implicit-def: $vgpr106
.LBB106_100:
	ds_read_b32 v106, v88
.LBB106_101:
	s_and_saveexec_b64 s[12:13], s[4:5]
	s_cbranch_execz .LBB106_105
; %bb.102:
	v_subrev_u32_e32 v107, 32, v0
	s_movk_i32 s14, 0x130
	s_mov_b64 s[4:5], 0
.LBB106_103:                            ; =>This Inner Loop Header: Depth=1
	buffer_load_dword v108, v105, s[0:3], 0 offen
	v_mov_b32_e32 v109, s14
	ds_read_b32 v109, v109
	v_add_u32_e32 v107, -1, v107
	s_add_i32 s14, s14, 4
	v_cmp_eq_u32_e32 vcc, 0, v107
	v_add_u32_e32 v105, 4, v105
	s_or_b64 s[4:5], vcc, s[4:5]
	s_waitcnt vmcnt(0) lgkmcnt(0)
	v_fmac_f32_e32 v106, v108, v109
	s_andn2_b64 exec, exec, s[4:5]
	s_cbranch_execnz .LBB106_103
; %bb.104:
	s_or_b64 exec, exec, s[4:5]
.LBB106_105:
	s_or_b64 exec, exec, s[12:13]
	v_mov_b32_e32 v105, 0
	ds_read_b32 v105, v105 offset:124
	s_waitcnt lgkmcnt(0)
	v_mul_f32_e32 v105, v106, v105
	buffer_store_dword v105, off, s[0:3], 0 offset:124
.LBB106_106:
	s_or_b64 exec, exec, s[8:9]
	buffer_load_dword v105, off, s[0:3], 0 offset:120
	v_cmp_lt_u32_e64 s[4:5], 30, v0
	s_waitcnt vmcnt(0)
	ds_write_b32 v88, v105
	s_waitcnt lgkmcnt(0)
	; wave barrier
	s_waitcnt lgkmcnt(0)
	s_and_saveexec_b64 s[8:9], s[4:5]
	s_cbranch_execz .LBB106_116
; %bb.107:
	s_andn2_b64 vcc, exec, s[10:11]
	s_cbranch_vccnz .LBB106_109
; %bb.108:
	buffer_load_dword v105, v89, s[0:3], 0 offen
	ds_read_b32 v106, v88
	s_waitcnt vmcnt(0) lgkmcnt(0)
	v_mul_f32_e32 v105, v105, v106
	s_cbranch_execz .LBB106_110
	s_branch .LBB106_111
.LBB106_109:
                                        ; implicit-def: $vgpr105
.LBB106_110:
	ds_read_b32 v105, v88
.LBB106_111:
	s_and_saveexec_b64 s[12:13], s[6:7]
	s_cbranch_execz .LBB106_115
; %bb.112:
	v_mov_b32_e32 v106, 0
	v_add_u32_e32 v106, 0x7c, v106
	v_subrev_u32_e32 v107, 31, v0
	s_movk_i32 s14, 0x12c
	s_mov_b64 s[6:7], 0
.LBB106_113:                            ; =>This Inner Loop Header: Depth=1
	buffer_load_dword v108, v106, s[0:3], 0 offen
	v_mov_b32_e32 v109, s14
	ds_read_b32 v109, v109
	v_add_u32_e32 v107, -1, v107
	s_add_i32 s14, s14, 4
	v_cmp_eq_u32_e32 vcc, 0, v107
	v_add_u32_e32 v106, 4, v106
	s_or_b64 s[6:7], vcc, s[6:7]
	s_waitcnt vmcnt(0) lgkmcnt(0)
	v_fmac_f32_e32 v105, v108, v109
	s_andn2_b64 exec, exec, s[6:7]
	s_cbranch_execnz .LBB106_113
; %bb.114:
	s_or_b64 exec, exec, s[6:7]
.LBB106_115:
	s_or_b64 exec, exec, s[12:13]
	v_mov_b32_e32 v106, 0
	ds_read_b32 v106, v106 offset:120
	s_waitcnt lgkmcnt(0)
	v_mul_f32_e32 v105, v105, v106
	buffer_store_dword v105, off, s[0:3], 0 offset:120
.LBB106_116:
	s_or_b64 exec, exec, s[8:9]
	buffer_load_dword v105, off, s[0:3], 0 offset:116
	v_cmp_lt_u32_e64 s[6:7], 29, v0
	s_waitcnt vmcnt(0)
	ds_write_b32 v88, v105
	s_waitcnt lgkmcnt(0)
	; wave barrier
	s_waitcnt lgkmcnt(0)
	s_and_saveexec_b64 s[8:9], s[6:7]
	s_cbranch_execz .LBB106_126
; %bb.117:
	s_andn2_b64 vcc, exec, s[10:11]
	s_cbranch_vccnz .LBB106_119
; %bb.118:
	buffer_load_dword v105, v89, s[0:3], 0 offen
	ds_read_b32 v106, v88
	s_waitcnt vmcnt(0) lgkmcnt(0)
	v_mul_f32_e32 v105, v105, v106
	s_cbranch_execz .LBB106_120
	s_branch .LBB106_121
.LBB106_119:
                                        ; implicit-def: $vgpr105
.LBB106_120:
	ds_read_b32 v105, v88
.LBB106_121:
	s_and_saveexec_b64 s[12:13], s[4:5]
	s_cbranch_execz .LBB106_125
; %bb.122:
	v_subrev_u32_e32 v106, 30, v0
	s_movk_i32 s14, 0x128
	s_mov_b64 s[4:5], 0
.LBB106_123:                            ; =>This Inner Loop Header: Depth=1
	buffer_load_dword v107, v104, s[0:3], 0 offen
	v_mov_b32_e32 v108, s14
	ds_read_b32 v108, v108
	v_add_u32_e32 v106, -1, v106
	s_add_i32 s14, s14, 4
	v_cmp_eq_u32_e32 vcc, 0, v106
	v_add_u32_e32 v104, 4, v104
	s_or_b64 s[4:5], vcc, s[4:5]
	s_waitcnt vmcnt(0) lgkmcnt(0)
	v_fmac_f32_e32 v105, v107, v108
	s_andn2_b64 exec, exec, s[4:5]
	s_cbranch_execnz .LBB106_123
; %bb.124:
	s_or_b64 exec, exec, s[4:5]
.LBB106_125:
	s_or_b64 exec, exec, s[12:13]
	v_mov_b32_e32 v104, 0
	ds_read_b32 v104, v104 offset:116
	s_waitcnt lgkmcnt(0)
	v_mul_f32_e32 v104, v105, v104
	buffer_store_dword v104, off, s[0:3], 0 offset:116
.LBB106_126:
	s_or_b64 exec, exec, s[8:9]
	buffer_load_dword v104, off, s[0:3], 0 offset:112
	v_cmp_lt_u32_e64 s[4:5], 28, v0
	s_waitcnt vmcnt(0)
	ds_write_b32 v88, v104
	s_waitcnt lgkmcnt(0)
	; wave barrier
	s_waitcnt lgkmcnt(0)
	s_and_saveexec_b64 s[8:9], s[4:5]
	s_cbranch_execz .LBB106_136
; %bb.127:
	s_andn2_b64 vcc, exec, s[10:11]
	s_cbranch_vccnz .LBB106_129
; %bb.128:
	buffer_load_dword v104, v89, s[0:3], 0 offen
	ds_read_b32 v105, v88
	s_waitcnt vmcnt(0) lgkmcnt(0)
	v_mul_f32_e32 v104, v104, v105
	s_cbranch_execz .LBB106_130
	s_branch .LBB106_131
.LBB106_129:
                                        ; implicit-def: $vgpr104
.LBB106_130:
	ds_read_b32 v104, v88
.LBB106_131:
	s_and_saveexec_b64 s[12:13], s[6:7]
	s_cbranch_execz .LBB106_135
; %bb.132:
	v_mov_b32_e32 v105, 0
	v_add_u32_e32 v105, 0x74, v105
	v_subrev_u32_e32 v106, 29, v0
	s_movk_i32 s14, 0x124
	s_mov_b64 s[6:7], 0
.LBB106_133:                            ; =>This Inner Loop Header: Depth=1
	buffer_load_dword v107, v105, s[0:3], 0 offen
	v_mov_b32_e32 v108, s14
	ds_read_b32 v108, v108
	v_add_u32_e32 v106, -1, v106
	s_add_i32 s14, s14, 4
	v_cmp_eq_u32_e32 vcc, 0, v106
	v_add_u32_e32 v105, 4, v105
	s_or_b64 s[6:7], vcc, s[6:7]
	s_waitcnt vmcnt(0) lgkmcnt(0)
	v_fmac_f32_e32 v104, v107, v108
	s_andn2_b64 exec, exec, s[6:7]
	s_cbranch_execnz .LBB106_133
; %bb.134:
	s_or_b64 exec, exec, s[6:7]
.LBB106_135:
	s_or_b64 exec, exec, s[12:13]
	v_mov_b32_e32 v105, 0
	ds_read_b32 v105, v105 offset:112
	s_waitcnt lgkmcnt(0)
	v_mul_f32_e32 v104, v104, v105
	buffer_store_dword v104, off, s[0:3], 0 offset:112
.LBB106_136:
	s_or_b64 exec, exec, s[8:9]
	buffer_load_dword v104, off, s[0:3], 0 offset:108
	v_cmp_lt_u32_e64 s[6:7], 27, v0
	s_waitcnt vmcnt(0)
	ds_write_b32 v88, v104
	s_waitcnt lgkmcnt(0)
	; wave barrier
	s_waitcnt lgkmcnt(0)
	s_and_saveexec_b64 s[8:9], s[6:7]
	s_cbranch_execz .LBB106_146
; %bb.137:
	s_andn2_b64 vcc, exec, s[10:11]
	s_cbranch_vccnz .LBB106_139
; %bb.138:
	buffer_load_dword v104, v89, s[0:3], 0 offen
	ds_read_b32 v105, v88
	s_waitcnt vmcnt(0) lgkmcnt(0)
	v_mul_f32_e32 v104, v104, v105
	s_cbranch_execz .LBB106_140
	s_branch .LBB106_141
.LBB106_139:
                                        ; implicit-def: $vgpr104
.LBB106_140:
	ds_read_b32 v104, v88
.LBB106_141:
	s_and_saveexec_b64 s[12:13], s[4:5]
	s_cbranch_execz .LBB106_145
; %bb.142:
	v_subrev_u32_e32 v105, 28, v0
	s_movk_i32 s14, 0x120
	s_mov_b64 s[4:5], 0
.LBB106_143:                            ; =>This Inner Loop Header: Depth=1
	buffer_load_dword v106, v103, s[0:3], 0 offen
	v_mov_b32_e32 v107, s14
	ds_read_b32 v107, v107
	v_add_u32_e32 v105, -1, v105
	s_add_i32 s14, s14, 4
	v_cmp_eq_u32_e32 vcc, 0, v105
	v_add_u32_e32 v103, 4, v103
	s_or_b64 s[4:5], vcc, s[4:5]
	s_waitcnt vmcnt(0) lgkmcnt(0)
	v_fmac_f32_e32 v104, v106, v107
	s_andn2_b64 exec, exec, s[4:5]
	s_cbranch_execnz .LBB106_143
; %bb.144:
	s_or_b64 exec, exec, s[4:5]
.LBB106_145:
	s_or_b64 exec, exec, s[12:13]
	v_mov_b32_e32 v103, 0
	ds_read_b32 v103, v103 offset:108
	s_waitcnt lgkmcnt(0)
	v_mul_f32_e32 v103, v104, v103
	buffer_store_dword v103, off, s[0:3], 0 offset:108
.LBB106_146:
	s_or_b64 exec, exec, s[8:9]
	buffer_load_dword v103, off, s[0:3], 0 offset:104
	v_cmp_lt_u32_e64 s[4:5], 26, v0
	s_waitcnt vmcnt(0)
	ds_write_b32 v88, v103
	s_waitcnt lgkmcnt(0)
	; wave barrier
	s_waitcnt lgkmcnt(0)
	s_and_saveexec_b64 s[8:9], s[4:5]
	s_cbranch_execz .LBB106_156
; %bb.147:
	s_andn2_b64 vcc, exec, s[10:11]
	s_cbranch_vccnz .LBB106_149
; %bb.148:
	buffer_load_dword v103, v89, s[0:3], 0 offen
	ds_read_b32 v104, v88
	s_waitcnt vmcnt(0) lgkmcnt(0)
	v_mul_f32_e32 v103, v103, v104
	s_cbranch_execz .LBB106_150
	s_branch .LBB106_151
.LBB106_149:
                                        ; implicit-def: $vgpr103
.LBB106_150:
	ds_read_b32 v103, v88
.LBB106_151:
	s_and_saveexec_b64 s[12:13], s[6:7]
	s_cbranch_execz .LBB106_155
; %bb.152:
	v_mov_b32_e32 v104, 0
	v_add_u32_e32 v104, 0x6c, v104
	v_subrev_u32_e32 v105, 27, v0
	s_movk_i32 s14, 0x11c
	s_mov_b64 s[6:7], 0
.LBB106_153:                            ; =>This Inner Loop Header: Depth=1
	buffer_load_dword v106, v104, s[0:3], 0 offen
	v_mov_b32_e32 v107, s14
	ds_read_b32 v107, v107
	v_add_u32_e32 v105, -1, v105
	s_add_i32 s14, s14, 4
	v_cmp_eq_u32_e32 vcc, 0, v105
	v_add_u32_e32 v104, 4, v104
	s_or_b64 s[6:7], vcc, s[6:7]
	s_waitcnt vmcnt(0) lgkmcnt(0)
	v_fmac_f32_e32 v103, v106, v107
	s_andn2_b64 exec, exec, s[6:7]
	s_cbranch_execnz .LBB106_153
; %bb.154:
	s_or_b64 exec, exec, s[6:7]
.LBB106_155:
	s_or_b64 exec, exec, s[12:13]
	v_mov_b32_e32 v104, 0
	ds_read_b32 v104, v104 offset:104
	s_waitcnt lgkmcnt(0)
	v_mul_f32_e32 v103, v103, v104
	buffer_store_dword v103, off, s[0:3], 0 offset:104
.LBB106_156:
	s_or_b64 exec, exec, s[8:9]
	buffer_load_dword v103, off, s[0:3], 0 offset:100
	v_cmp_lt_u32_e64 s[6:7], 25, v0
	s_waitcnt vmcnt(0)
	ds_write_b32 v88, v103
	s_waitcnt lgkmcnt(0)
	; wave barrier
	s_waitcnt lgkmcnt(0)
	s_and_saveexec_b64 s[8:9], s[6:7]
	s_cbranch_execz .LBB106_166
; %bb.157:
	s_andn2_b64 vcc, exec, s[10:11]
	s_cbranch_vccnz .LBB106_159
; %bb.158:
	buffer_load_dword v103, v89, s[0:3], 0 offen
	ds_read_b32 v104, v88
	s_waitcnt vmcnt(0) lgkmcnt(0)
	v_mul_f32_e32 v103, v103, v104
	s_cbranch_execz .LBB106_160
	s_branch .LBB106_161
.LBB106_159:
                                        ; implicit-def: $vgpr103
.LBB106_160:
	ds_read_b32 v103, v88
.LBB106_161:
	s_and_saveexec_b64 s[12:13], s[4:5]
	s_cbranch_execz .LBB106_165
; %bb.162:
	v_subrev_u32_e32 v104, 26, v0
	s_movk_i32 s14, 0x118
	s_mov_b64 s[4:5], 0
.LBB106_163:                            ; =>This Inner Loop Header: Depth=1
	buffer_load_dword v105, v102, s[0:3], 0 offen
	v_mov_b32_e32 v106, s14
	ds_read_b32 v106, v106
	v_add_u32_e32 v104, -1, v104
	s_add_i32 s14, s14, 4
	v_cmp_eq_u32_e32 vcc, 0, v104
	v_add_u32_e32 v102, 4, v102
	s_or_b64 s[4:5], vcc, s[4:5]
	s_waitcnt vmcnt(0) lgkmcnt(0)
	v_fmac_f32_e32 v103, v105, v106
	s_andn2_b64 exec, exec, s[4:5]
	s_cbranch_execnz .LBB106_163
; %bb.164:
	s_or_b64 exec, exec, s[4:5]
.LBB106_165:
	s_or_b64 exec, exec, s[12:13]
	v_mov_b32_e32 v102, 0
	ds_read_b32 v102, v102 offset:100
	s_waitcnt lgkmcnt(0)
	v_mul_f32_e32 v102, v103, v102
	buffer_store_dword v102, off, s[0:3], 0 offset:100
.LBB106_166:
	s_or_b64 exec, exec, s[8:9]
	buffer_load_dword v102, off, s[0:3], 0 offset:96
	v_cmp_lt_u32_e64 s[4:5], 24, v0
	s_waitcnt vmcnt(0)
	ds_write_b32 v88, v102
	s_waitcnt lgkmcnt(0)
	; wave barrier
	s_waitcnt lgkmcnt(0)
	s_and_saveexec_b64 s[8:9], s[4:5]
	s_cbranch_execz .LBB106_176
; %bb.167:
	s_andn2_b64 vcc, exec, s[10:11]
	s_cbranch_vccnz .LBB106_169
; %bb.168:
	buffer_load_dword v102, v89, s[0:3], 0 offen
	ds_read_b32 v103, v88
	s_waitcnt vmcnt(0) lgkmcnt(0)
	v_mul_f32_e32 v102, v102, v103
	s_cbranch_execz .LBB106_170
	s_branch .LBB106_171
.LBB106_169:
                                        ; implicit-def: $vgpr102
.LBB106_170:
	ds_read_b32 v102, v88
.LBB106_171:
	s_and_saveexec_b64 s[12:13], s[6:7]
	s_cbranch_execz .LBB106_175
; %bb.172:
	v_mov_b32_e32 v103, 0
	v_add_u32_e32 v103, 0x64, v103
	v_subrev_u32_e32 v104, 25, v0
	s_movk_i32 s14, 0x114
	s_mov_b64 s[6:7], 0
.LBB106_173:                            ; =>This Inner Loop Header: Depth=1
	buffer_load_dword v105, v103, s[0:3], 0 offen
	v_mov_b32_e32 v106, s14
	ds_read_b32 v106, v106
	v_add_u32_e32 v104, -1, v104
	s_add_i32 s14, s14, 4
	v_cmp_eq_u32_e32 vcc, 0, v104
	v_add_u32_e32 v103, 4, v103
	s_or_b64 s[6:7], vcc, s[6:7]
	s_waitcnt vmcnt(0) lgkmcnt(0)
	v_fmac_f32_e32 v102, v105, v106
	s_andn2_b64 exec, exec, s[6:7]
	s_cbranch_execnz .LBB106_173
; %bb.174:
	s_or_b64 exec, exec, s[6:7]
.LBB106_175:
	s_or_b64 exec, exec, s[12:13]
	v_mov_b32_e32 v103, 0
	ds_read_b32 v103, v103 offset:96
	s_waitcnt lgkmcnt(0)
	v_mul_f32_e32 v102, v102, v103
	buffer_store_dword v102, off, s[0:3], 0 offset:96
.LBB106_176:
	s_or_b64 exec, exec, s[8:9]
	buffer_load_dword v102, off, s[0:3], 0 offset:92
	v_cmp_lt_u32_e64 s[6:7], 23, v0
	s_waitcnt vmcnt(0)
	ds_write_b32 v88, v102
	s_waitcnt lgkmcnt(0)
	; wave barrier
	s_waitcnt lgkmcnt(0)
	s_and_saveexec_b64 s[8:9], s[6:7]
	s_cbranch_execz .LBB106_186
; %bb.177:
	s_andn2_b64 vcc, exec, s[10:11]
	s_cbranch_vccnz .LBB106_179
; %bb.178:
	buffer_load_dword v102, v89, s[0:3], 0 offen
	ds_read_b32 v103, v88
	s_waitcnt vmcnt(0) lgkmcnt(0)
	v_mul_f32_e32 v102, v102, v103
	s_cbranch_execz .LBB106_180
	s_branch .LBB106_181
.LBB106_179:
                                        ; implicit-def: $vgpr102
.LBB106_180:
	ds_read_b32 v102, v88
.LBB106_181:
	s_and_saveexec_b64 s[12:13], s[4:5]
	s_cbranch_execz .LBB106_185
; %bb.182:
	v_subrev_u32_e32 v103, 24, v0
	s_movk_i32 s14, 0x110
	s_mov_b64 s[4:5], 0
.LBB106_183:                            ; =>This Inner Loop Header: Depth=1
	buffer_load_dword v104, v101, s[0:3], 0 offen
	v_mov_b32_e32 v105, s14
	ds_read_b32 v105, v105
	v_add_u32_e32 v103, -1, v103
	s_add_i32 s14, s14, 4
	v_cmp_eq_u32_e32 vcc, 0, v103
	v_add_u32_e32 v101, 4, v101
	s_or_b64 s[4:5], vcc, s[4:5]
	s_waitcnt vmcnt(0) lgkmcnt(0)
	v_fmac_f32_e32 v102, v104, v105
	s_andn2_b64 exec, exec, s[4:5]
	s_cbranch_execnz .LBB106_183
; %bb.184:
	s_or_b64 exec, exec, s[4:5]
.LBB106_185:
	s_or_b64 exec, exec, s[12:13]
	v_mov_b32_e32 v101, 0
	ds_read_b32 v101, v101 offset:92
	s_waitcnt lgkmcnt(0)
	v_mul_f32_e32 v101, v102, v101
	buffer_store_dword v101, off, s[0:3], 0 offset:92
.LBB106_186:
	s_or_b64 exec, exec, s[8:9]
	buffer_load_dword v101, off, s[0:3], 0 offset:88
	v_cmp_lt_u32_e64 s[4:5], 22, v0
	s_waitcnt vmcnt(0)
	ds_write_b32 v88, v101
	s_waitcnt lgkmcnt(0)
	; wave barrier
	s_waitcnt lgkmcnt(0)
	s_and_saveexec_b64 s[8:9], s[4:5]
	s_cbranch_execz .LBB106_196
; %bb.187:
	s_andn2_b64 vcc, exec, s[10:11]
	s_cbranch_vccnz .LBB106_189
; %bb.188:
	buffer_load_dword v101, v89, s[0:3], 0 offen
	ds_read_b32 v102, v88
	s_waitcnt vmcnt(0) lgkmcnt(0)
	v_mul_f32_e32 v101, v101, v102
	s_cbranch_execz .LBB106_190
	s_branch .LBB106_191
.LBB106_189:
                                        ; implicit-def: $vgpr101
.LBB106_190:
	ds_read_b32 v101, v88
.LBB106_191:
	s_and_saveexec_b64 s[12:13], s[6:7]
	s_cbranch_execz .LBB106_195
; %bb.192:
	v_mov_b32_e32 v102, 0
	v_add_u32_e32 v102, 0x5c, v102
	v_subrev_u32_e32 v103, 23, v0
	s_movk_i32 s14, 0x10c
	s_mov_b64 s[6:7], 0
.LBB106_193:                            ; =>This Inner Loop Header: Depth=1
	buffer_load_dword v104, v102, s[0:3], 0 offen
	v_mov_b32_e32 v105, s14
	ds_read_b32 v105, v105
	v_add_u32_e32 v103, -1, v103
	s_add_i32 s14, s14, 4
	v_cmp_eq_u32_e32 vcc, 0, v103
	v_add_u32_e32 v102, 4, v102
	s_or_b64 s[6:7], vcc, s[6:7]
	s_waitcnt vmcnt(0) lgkmcnt(0)
	v_fmac_f32_e32 v101, v104, v105
	s_andn2_b64 exec, exec, s[6:7]
	s_cbranch_execnz .LBB106_193
; %bb.194:
	s_or_b64 exec, exec, s[6:7]
.LBB106_195:
	s_or_b64 exec, exec, s[12:13]
	v_mov_b32_e32 v102, 0
	ds_read_b32 v102, v102 offset:88
	s_waitcnt lgkmcnt(0)
	v_mul_f32_e32 v101, v101, v102
	buffer_store_dword v101, off, s[0:3], 0 offset:88
.LBB106_196:
	s_or_b64 exec, exec, s[8:9]
	buffer_load_dword v101, off, s[0:3], 0 offset:84
	v_cmp_lt_u32_e64 s[6:7], 21, v0
	s_waitcnt vmcnt(0)
	ds_write_b32 v88, v101
	s_waitcnt lgkmcnt(0)
	; wave barrier
	s_waitcnt lgkmcnt(0)
	s_and_saveexec_b64 s[8:9], s[6:7]
	s_cbranch_execz .LBB106_206
; %bb.197:
	s_andn2_b64 vcc, exec, s[10:11]
	s_cbranch_vccnz .LBB106_199
; %bb.198:
	buffer_load_dword v101, v89, s[0:3], 0 offen
	ds_read_b32 v102, v88
	s_waitcnt vmcnt(0) lgkmcnt(0)
	v_mul_f32_e32 v101, v101, v102
	s_cbranch_execz .LBB106_200
	s_branch .LBB106_201
.LBB106_199:
                                        ; implicit-def: $vgpr101
.LBB106_200:
	ds_read_b32 v101, v88
.LBB106_201:
	s_and_saveexec_b64 s[12:13], s[4:5]
	s_cbranch_execz .LBB106_205
; %bb.202:
	v_subrev_u32_e32 v102, 22, v0
	s_movk_i32 s14, 0x108
	s_mov_b64 s[4:5], 0
.LBB106_203:                            ; =>This Inner Loop Header: Depth=1
	buffer_load_dword v103, v100, s[0:3], 0 offen
	v_mov_b32_e32 v104, s14
	ds_read_b32 v104, v104
	v_add_u32_e32 v102, -1, v102
	s_add_i32 s14, s14, 4
	v_cmp_eq_u32_e32 vcc, 0, v102
	v_add_u32_e32 v100, 4, v100
	s_or_b64 s[4:5], vcc, s[4:5]
	s_waitcnt vmcnt(0) lgkmcnt(0)
	v_fmac_f32_e32 v101, v103, v104
	s_andn2_b64 exec, exec, s[4:5]
	s_cbranch_execnz .LBB106_203
; %bb.204:
	s_or_b64 exec, exec, s[4:5]
.LBB106_205:
	s_or_b64 exec, exec, s[12:13]
	v_mov_b32_e32 v100, 0
	ds_read_b32 v100, v100 offset:84
	s_waitcnt lgkmcnt(0)
	v_mul_f32_e32 v100, v101, v100
	buffer_store_dword v100, off, s[0:3], 0 offset:84
.LBB106_206:
	s_or_b64 exec, exec, s[8:9]
	buffer_load_dword v100, off, s[0:3], 0 offset:80
	v_cmp_lt_u32_e64 s[4:5], 20, v0
	s_waitcnt vmcnt(0)
	ds_write_b32 v88, v100
	s_waitcnt lgkmcnt(0)
	; wave barrier
	s_waitcnt lgkmcnt(0)
	s_and_saveexec_b64 s[8:9], s[4:5]
	s_cbranch_execz .LBB106_216
; %bb.207:
	s_andn2_b64 vcc, exec, s[10:11]
	s_cbranch_vccnz .LBB106_209
; %bb.208:
	buffer_load_dword v100, v89, s[0:3], 0 offen
	ds_read_b32 v101, v88
	s_waitcnt vmcnt(0) lgkmcnt(0)
	v_mul_f32_e32 v100, v100, v101
	s_cbranch_execz .LBB106_210
	s_branch .LBB106_211
.LBB106_209:
                                        ; implicit-def: $vgpr100
.LBB106_210:
	ds_read_b32 v100, v88
.LBB106_211:
	s_and_saveexec_b64 s[12:13], s[6:7]
	s_cbranch_execz .LBB106_215
; %bb.212:
	v_mov_b32_e32 v101, 0
	v_add_u32_e32 v101, 0x54, v101
	v_subrev_u32_e32 v102, 21, v0
	s_movk_i32 s14, 0x104
	s_mov_b64 s[6:7], 0
.LBB106_213:                            ; =>This Inner Loop Header: Depth=1
	buffer_load_dword v103, v101, s[0:3], 0 offen
	v_mov_b32_e32 v104, s14
	ds_read_b32 v104, v104
	v_add_u32_e32 v102, -1, v102
	s_add_i32 s14, s14, 4
	v_cmp_eq_u32_e32 vcc, 0, v102
	v_add_u32_e32 v101, 4, v101
	s_or_b64 s[6:7], vcc, s[6:7]
	s_waitcnt vmcnt(0) lgkmcnt(0)
	v_fmac_f32_e32 v100, v103, v104
	s_andn2_b64 exec, exec, s[6:7]
	s_cbranch_execnz .LBB106_213
; %bb.214:
	s_or_b64 exec, exec, s[6:7]
.LBB106_215:
	s_or_b64 exec, exec, s[12:13]
	v_mov_b32_e32 v101, 0
	ds_read_b32 v101, v101 offset:80
	s_waitcnt lgkmcnt(0)
	v_mul_f32_e32 v100, v100, v101
	buffer_store_dword v100, off, s[0:3], 0 offset:80
.LBB106_216:
	s_or_b64 exec, exec, s[8:9]
	buffer_load_dword v100, off, s[0:3], 0 offset:76
	v_cmp_lt_u32_e64 s[6:7], 19, v0
	s_waitcnt vmcnt(0)
	ds_write_b32 v88, v100
	s_waitcnt lgkmcnt(0)
	; wave barrier
	s_waitcnt lgkmcnt(0)
	s_and_saveexec_b64 s[8:9], s[6:7]
	s_cbranch_execz .LBB106_226
; %bb.217:
	s_andn2_b64 vcc, exec, s[10:11]
	s_cbranch_vccnz .LBB106_219
; %bb.218:
	buffer_load_dword v100, v89, s[0:3], 0 offen
	ds_read_b32 v101, v88
	s_waitcnt vmcnt(0) lgkmcnt(0)
	v_mul_f32_e32 v100, v100, v101
	s_cbranch_execz .LBB106_220
	s_branch .LBB106_221
.LBB106_219:
                                        ; implicit-def: $vgpr100
.LBB106_220:
	ds_read_b32 v100, v88
.LBB106_221:
	s_and_saveexec_b64 s[12:13], s[4:5]
	s_cbranch_execz .LBB106_225
; %bb.222:
	v_subrev_u32_e32 v101, 20, v0
	s_movk_i32 s14, 0x100
	s_mov_b64 s[4:5], 0
.LBB106_223:                            ; =>This Inner Loop Header: Depth=1
	buffer_load_dword v102, v99, s[0:3], 0 offen
	v_mov_b32_e32 v103, s14
	ds_read_b32 v103, v103
	v_add_u32_e32 v101, -1, v101
	s_add_i32 s14, s14, 4
	v_cmp_eq_u32_e32 vcc, 0, v101
	v_add_u32_e32 v99, 4, v99
	s_or_b64 s[4:5], vcc, s[4:5]
	s_waitcnt vmcnt(0) lgkmcnt(0)
	v_fmac_f32_e32 v100, v102, v103
	s_andn2_b64 exec, exec, s[4:5]
	s_cbranch_execnz .LBB106_223
; %bb.224:
	s_or_b64 exec, exec, s[4:5]
.LBB106_225:
	s_or_b64 exec, exec, s[12:13]
	v_mov_b32_e32 v99, 0
	ds_read_b32 v99, v99 offset:76
	s_waitcnt lgkmcnt(0)
	v_mul_f32_e32 v99, v100, v99
	buffer_store_dword v99, off, s[0:3], 0 offset:76
.LBB106_226:
	s_or_b64 exec, exec, s[8:9]
	buffer_load_dword v99, off, s[0:3], 0 offset:72
	v_cmp_lt_u32_e64 s[4:5], 18, v0
	s_waitcnt vmcnt(0)
	ds_write_b32 v88, v99
	s_waitcnt lgkmcnt(0)
	; wave barrier
	s_waitcnt lgkmcnt(0)
	s_and_saveexec_b64 s[8:9], s[4:5]
	s_cbranch_execz .LBB106_236
; %bb.227:
	s_andn2_b64 vcc, exec, s[10:11]
	s_cbranch_vccnz .LBB106_229
; %bb.228:
	buffer_load_dword v99, v89, s[0:3], 0 offen
	ds_read_b32 v100, v88
	s_waitcnt vmcnt(0) lgkmcnt(0)
	v_mul_f32_e32 v99, v99, v100
	s_cbranch_execz .LBB106_230
	s_branch .LBB106_231
.LBB106_229:
                                        ; implicit-def: $vgpr99
.LBB106_230:
	ds_read_b32 v99, v88
.LBB106_231:
	s_and_saveexec_b64 s[12:13], s[6:7]
	s_cbranch_execz .LBB106_235
; %bb.232:
	v_mov_b32_e32 v100, 0
	v_add_u32_e32 v100, 0x4c, v100
	v_subrev_u32_e32 v101, 19, v0
	s_movk_i32 s14, 0xfc
	s_mov_b64 s[6:7], 0
.LBB106_233:                            ; =>This Inner Loop Header: Depth=1
	buffer_load_dword v102, v100, s[0:3], 0 offen
	v_mov_b32_e32 v103, s14
	ds_read_b32 v103, v103
	v_add_u32_e32 v101, -1, v101
	s_add_i32 s14, s14, 4
	v_cmp_eq_u32_e32 vcc, 0, v101
	v_add_u32_e32 v100, 4, v100
	s_or_b64 s[6:7], vcc, s[6:7]
	s_waitcnt vmcnt(0) lgkmcnt(0)
	v_fmac_f32_e32 v99, v102, v103
	s_andn2_b64 exec, exec, s[6:7]
	s_cbranch_execnz .LBB106_233
; %bb.234:
	s_or_b64 exec, exec, s[6:7]
.LBB106_235:
	s_or_b64 exec, exec, s[12:13]
	v_mov_b32_e32 v100, 0
	ds_read_b32 v100, v100 offset:72
	s_waitcnt lgkmcnt(0)
	v_mul_f32_e32 v99, v99, v100
	buffer_store_dword v99, off, s[0:3], 0 offset:72
.LBB106_236:
	s_or_b64 exec, exec, s[8:9]
	buffer_load_dword v99, off, s[0:3], 0 offset:68
	v_cmp_lt_u32_e64 s[6:7], 17, v0
	s_waitcnt vmcnt(0)
	ds_write_b32 v88, v99
	s_waitcnt lgkmcnt(0)
	; wave barrier
	s_waitcnt lgkmcnt(0)
	s_and_saveexec_b64 s[8:9], s[6:7]
	s_cbranch_execz .LBB106_246
; %bb.237:
	s_andn2_b64 vcc, exec, s[10:11]
	s_cbranch_vccnz .LBB106_239
; %bb.238:
	buffer_load_dword v99, v89, s[0:3], 0 offen
	ds_read_b32 v100, v88
	s_waitcnt vmcnt(0) lgkmcnt(0)
	v_mul_f32_e32 v99, v99, v100
	s_cbranch_execz .LBB106_240
	s_branch .LBB106_241
.LBB106_239:
                                        ; implicit-def: $vgpr99
.LBB106_240:
	ds_read_b32 v99, v88
.LBB106_241:
	s_and_saveexec_b64 s[12:13], s[4:5]
	s_cbranch_execz .LBB106_245
; %bb.242:
	v_subrev_u32_e32 v100, 18, v0
	s_movk_i32 s14, 0xf8
	s_mov_b64 s[4:5], 0
.LBB106_243:                            ; =>This Inner Loop Header: Depth=1
	buffer_load_dword v101, v98, s[0:3], 0 offen
	v_mov_b32_e32 v102, s14
	ds_read_b32 v102, v102
	v_add_u32_e32 v100, -1, v100
	s_add_i32 s14, s14, 4
	v_cmp_eq_u32_e32 vcc, 0, v100
	v_add_u32_e32 v98, 4, v98
	s_or_b64 s[4:5], vcc, s[4:5]
	s_waitcnt vmcnt(0) lgkmcnt(0)
	v_fmac_f32_e32 v99, v101, v102
	s_andn2_b64 exec, exec, s[4:5]
	s_cbranch_execnz .LBB106_243
; %bb.244:
	s_or_b64 exec, exec, s[4:5]
.LBB106_245:
	s_or_b64 exec, exec, s[12:13]
	v_mov_b32_e32 v98, 0
	ds_read_b32 v98, v98 offset:68
	s_waitcnt lgkmcnt(0)
	v_mul_f32_e32 v98, v99, v98
	buffer_store_dword v98, off, s[0:3], 0 offset:68
.LBB106_246:
	s_or_b64 exec, exec, s[8:9]
	buffer_load_dword v98, off, s[0:3], 0 offset:64
	v_cmp_lt_u32_e64 s[4:5], 16, v0
	s_waitcnt vmcnt(0)
	ds_write_b32 v88, v98
	s_waitcnt lgkmcnt(0)
	; wave barrier
	s_waitcnt lgkmcnt(0)
	s_and_saveexec_b64 s[8:9], s[4:5]
	s_cbranch_execz .LBB106_256
; %bb.247:
	s_andn2_b64 vcc, exec, s[10:11]
	s_cbranch_vccnz .LBB106_249
; %bb.248:
	buffer_load_dword v98, v89, s[0:3], 0 offen
	ds_read_b32 v99, v88
	s_waitcnt vmcnt(0) lgkmcnt(0)
	v_mul_f32_e32 v98, v98, v99
	s_cbranch_execz .LBB106_250
	s_branch .LBB106_251
.LBB106_249:
                                        ; implicit-def: $vgpr98
.LBB106_250:
	ds_read_b32 v98, v88
.LBB106_251:
	s_and_saveexec_b64 s[12:13], s[6:7]
	s_cbranch_execz .LBB106_255
; %bb.252:
	v_mov_b32_e32 v99, 0
	v_add_u32_e32 v99, 0x44, v99
	v_subrev_u32_e32 v100, 17, v0
	s_movk_i32 s14, 0xf4
	s_mov_b64 s[6:7], 0
.LBB106_253:                            ; =>This Inner Loop Header: Depth=1
	buffer_load_dword v101, v99, s[0:3], 0 offen
	v_mov_b32_e32 v102, s14
	ds_read_b32 v102, v102
	v_add_u32_e32 v100, -1, v100
	s_add_i32 s14, s14, 4
	v_cmp_eq_u32_e32 vcc, 0, v100
	v_add_u32_e32 v99, 4, v99
	s_or_b64 s[6:7], vcc, s[6:7]
	s_waitcnt vmcnt(0) lgkmcnt(0)
	v_fmac_f32_e32 v98, v101, v102
	s_andn2_b64 exec, exec, s[6:7]
	s_cbranch_execnz .LBB106_253
; %bb.254:
	s_or_b64 exec, exec, s[6:7]
.LBB106_255:
	s_or_b64 exec, exec, s[12:13]
	v_mov_b32_e32 v99, 0
	ds_read_b32 v99, v99 offset:64
	s_waitcnt lgkmcnt(0)
	v_mul_f32_e32 v98, v98, v99
	buffer_store_dword v98, off, s[0:3], 0 offset:64
.LBB106_256:
	s_or_b64 exec, exec, s[8:9]
	buffer_load_dword v98, off, s[0:3], 0 offset:60
	v_cmp_lt_u32_e64 s[6:7], 15, v0
	s_waitcnt vmcnt(0)
	ds_write_b32 v88, v98
	s_waitcnt lgkmcnt(0)
	; wave barrier
	s_waitcnt lgkmcnt(0)
	s_and_saveexec_b64 s[8:9], s[6:7]
	s_cbranch_execz .LBB106_266
; %bb.257:
	s_andn2_b64 vcc, exec, s[10:11]
	s_cbranch_vccnz .LBB106_259
; %bb.258:
	buffer_load_dword v98, v89, s[0:3], 0 offen
	ds_read_b32 v99, v88
	s_waitcnt vmcnt(0) lgkmcnt(0)
	v_mul_f32_e32 v98, v98, v99
	s_cbranch_execz .LBB106_260
	s_branch .LBB106_261
.LBB106_259:
                                        ; implicit-def: $vgpr98
.LBB106_260:
	ds_read_b32 v98, v88
.LBB106_261:
	s_and_saveexec_b64 s[12:13], s[4:5]
	s_cbranch_execz .LBB106_265
; %bb.262:
	v_add_u32_e32 v99, -16, v0
	s_movk_i32 s14, 0xf0
	s_mov_b64 s[4:5], 0
.LBB106_263:                            ; =>This Inner Loop Header: Depth=1
	buffer_load_dword v100, v97, s[0:3], 0 offen
	v_mov_b32_e32 v101, s14
	ds_read_b32 v101, v101
	v_add_u32_e32 v99, -1, v99
	s_add_i32 s14, s14, 4
	v_cmp_eq_u32_e32 vcc, 0, v99
	v_add_u32_e32 v97, 4, v97
	s_or_b64 s[4:5], vcc, s[4:5]
	s_waitcnt vmcnt(0) lgkmcnt(0)
	v_fmac_f32_e32 v98, v100, v101
	s_andn2_b64 exec, exec, s[4:5]
	s_cbranch_execnz .LBB106_263
; %bb.264:
	s_or_b64 exec, exec, s[4:5]
.LBB106_265:
	s_or_b64 exec, exec, s[12:13]
	v_mov_b32_e32 v97, 0
	ds_read_b32 v97, v97 offset:60
	s_waitcnt lgkmcnt(0)
	v_mul_f32_e32 v97, v98, v97
	buffer_store_dword v97, off, s[0:3], 0 offset:60
.LBB106_266:
	s_or_b64 exec, exec, s[8:9]
	buffer_load_dword v97, off, s[0:3], 0 offset:56
	v_cmp_lt_u32_e64 s[4:5], 14, v0
	s_waitcnt vmcnt(0)
	ds_write_b32 v88, v97
	s_waitcnt lgkmcnt(0)
	; wave barrier
	s_waitcnt lgkmcnt(0)
	s_and_saveexec_b64 s[8:9], s[4:5]
	s_cbranch_execz .LBB106_276
; %bb.267:
	s_andn2_b64 vcc, exec, s[10:11]
	s_cbranch_vccnz .LBB106_269
; %bb.268:
	buffer_load_dword v97, v89, s[0:3], 0 offen
	ds_read_b32 v98, v88
	s_waitcnt vmcnt(0) lgkmcnt(0)
	v_mul_f32_e32 v97, v97, v98
	s_cbranch_execz .LBB106_270
	s_branch .LBB106_271
.LBB106_269:
                                        ; implicit-def: $vgpr97
.LBB106_270:
	ds_read_b32 v97, v88
.LBB106_271:
	s_and_saveexec_b64 s[12:13], s[6:7]
	s_cbranch_execz .LBB106_275
; %bb.272:
	v_mov_b32_e32 v98, 0
	v_add_u32_e32 v98, 60, v98
	v_add_u32_e32 v99, -15, v0
	s_movk_i32 s14, 0xec
	s_mov_b64 s[6:7], 0
.LBB106_273:                            ; =>This Inner Loop Header: Depth=1
	buffer_load_dword v100, v98, s[0:3], 0 offen
	v_mov_b32_e32 v101, s14
	ds_read_b32 v101, v101
	v_add_u32_e32 v99, -1, v99
	s_add_i32 s14, s14, 4
	v_cmp_eq_u32_e32 vcc, 0, v99
	v_add_u32_e32 v98, 4, v98
	s_or_b64 s[6:7], vcc, s[6:7]
	s_waitcnt vmcnt(0) lgkmcnt(0)
	v_fmac_f32_e32 v97, v100, v101
	s_andn2_b64 exec, exec, s[6:7]
	s_cbranch_execnz .LBB106_273
; %bb.274:
	s_or_b64 exec, exec, s[6:7]
.LBB106_275:
	s_or_b64 exec, exec, s[12:13]
	v_mov_b32_e32 v98, 0
	ds_read_b32 v98, v98 offset:56
	s_waitcnt lgkmcnt(0)
	v_mul_f32_e32 v97, v97, v98
	buffer_store_dword v97, off, s[0:3], 0 offset:56
.LBB106_276:
	s_or_b64 exec, exec, s[8:9]
	buffer_load_dword v97, off, s[0:3], 0 offset:52
	v_cmp_lt_u32_e64 s[6:7], 13, v0
	s_waitcnt vmcnt(0)
	ds_write_b32 v88, v97
	s_waitcnt lgkmcnt(0)
	; wave barrier
	s_waitcnt lgkmcnt(0)
	s_and_saveexec_b64 s[8:9], s[6:7]
	s_cbranch_execz .LBB106_286
; %bb.277:
	s_andn2_b64 vcc, exec, s[10:11]
	s_cbranch_vccnz .LBB106_279
; %bb.278:
	buffer_load_dword v97, v89, s[0:3], 0 offen
	ds_read_b32 v98, v88
	s_waitcnt vmcnt(0) lgkmcnt(0)
	v_mul_f32_e32 v97, v97, v98
	s_cbranch_execz .LBB106_280
	s_branch .LBB106_281
.LBB106_279:
                                        ; implicit-def: $vgpr97
.LBB106_280:
	ds_read_b32 v97, v88
.LBB106_281:
	s_and_saveexec_b64 s[12:13], s[4:5]
	s_cbranch_execz .LBB106_285
; %bb.282:
	v_add_u32_e32 v98, -14, v0
	s_movk_i32 s14, 0xe8
	s_mov_b64 s[4:5], 0
.LBB106_283:                            ; =>This Inner Loop Header: Depth=1
	buffer_load_dword v99, v96, s[0:3], 0 offen
	v_mov_b32_e32 v100, s14
	ds_read_b32 v100, v100
	v_add_u32_e32 v98, -1, v98
	s_add_i32 s14, s14, 4
	v_cmp_eq_u32_e32 vcc, 0, v98
	v_add_u32_e32 v96, 4, v96
	s_or_b64 s[4:5], vcc, s[4:5]
	s_waitcnt vmcnt(0) lgkmcnt(0)
	v_fmac_f32_e32 v97, v99, v100
	s_andn2_b64 exec, exec, s[4:5]
	s_cbranch_execnz .LBB106_283
; %bb.284:
	s_or_b64 exec, exec, s[4:5]
.LBB106_285:
	s_or_b64 exec, exec, s[12:13]
	v_mov_b32_e32 v96, 0
	ds_read_b32 v96, v96 offset:52
	s_waitcnt lgkmcnt(0)
	v_mul_f32_e32 v96, v97, v96
	buffer_store_dword v96, off, s[0:3], 0 offset:52
.LBB106_286:
	s_or_b64 exec, exec, s[8:9]
	buffer_load_dword v96, off, s[0:3], 0 offset:48
	v_cmp_lt_u32_e64 s[4:5], 12, v0
	s_waitcnt vmcnt(0)
	ds_write_b32 v88, v96
	s_waitcnt lgkmcnt(0)
	; wave barrier
	s_waitcnt lgkmcnt(0)
	s_and_saveexec_b64 s[8:9], s[4:5]
	s_cbranch_execz .LBB106_296
; %bb.287:
	s_andn2_b64 vcc, exec, s[10:11]
	s_cbranch_vccnz .LBB106_289
; %bb.288:
	buffer_load_dword v96, v89, s[0:3], 0 offen
	ds_read_b32 v97, v88
	s_waitcnt vmcnt(0) lgkmcnt(0)
	v_mul_f32_e32 v96, v96, v97
	s_cbranch_execz .LBB106_290
	s_branch .LBB106_291
.LBB106_289:
                                        ; implicit-def: $vgpr96
.LBB106_290:
	ds_read_b32 v96, v88
.LBB106_291:
	s_and_saveexec_b64 s[12:13], s[6:7]
	s_cbranch_execz .LBB106_295
; %bb.292:
	v_mov_b32_e32 v97, 0
	v_add_u32_e32 v97, 52, v97
	v_add_u32_e32 v98, -13, v0
	s_movk_i32 s14, 0xe4
	s_mov_b64 s[6:7], 0
.LBB106_293:                            ; =>This Inner Loop Header: Depth=1
	buffer_load_dword v99, v97, s[0:3], 0 offen
	v_mov_b32_e32 v100, s14
	ds_read_b32 v100, v100
	v_add_u32_e32 v98, -1, v98
	s_add_i32 s14, s14, 4
	v_cmp_eq_u32_e32 vcc, 0, v98
	v_add_u32_e32 v97, 4, v97
	s_or_b64 s[6:7], vcc, s[6:7]
	s_waitcnt vmcnt(0) lgkmcnt(0)
	v_fmac_f32_e32 v96, v99, v100
	s_andn2_b64 exec, exec, s[6:7]
	s_cbranch_execnz .LBB106_293
; %bb.294:
	s_or_b64 exec, exec, s[6:7]
.LBB106_295:
	s_or_b64 exec, exec, s[12:13]
	v_mov_b32_e32 v97, 0
	ds_read_b32 v97, v97 offset:48
	s_waitcnt lgkmcnt(0)
	v_mul_f32_e32 v96, v96, v97
	buffer_store_dword v96, off, s[0:3], 0 offset:48
.LBB106_296:
	s_or_b64 exec, exec, s[8:9]
	buffer_load_dword v96, off, s[0:3], 0 offset:44
	v_cmp_lt_u32_e64 s[6:7], 11, v0
	s_waitcnt vmcnt(0)
	ds_write_b32 v88, v96
	s_waitcnt lgkmcnt(0)
	; wave barrier
	s_waitcnt lgkmcnt(0)
	s_and_saveexec_b64 s[8:9], s[6:7]
	s_cbranch_execz .LBB106_306
; %bb.297:
	s_andn2_b64 vcc, exec, s[10:11]
	s_cbranch_vccnz .LBB106_299
; %bb.298:
	buffer_load_dword v96, v89, s[0:3], 0 offen
	ds_read_b32 v97, v88
	s_waitcnt vmcnt(0) lgkmcnt(0)
	v_mul_f32_e32 v96, v96, v97
	s_cbranch_execz .LBB106_300
	s_branch .LBB106_301
.LBB106_299:
                                        ; implicit-def: $vgpr96
.LBB106_300:
	ds_read_b32 v96, v88
.LBB106_301:
	s_and_saveexec_b64 s[12:13], s[4:5]
	s_cbranch_execz .LBB106_305
; %bb.302:
	v_add_u32_e32 v97, -12, v0
	s_movk_i32 s14, 0xe0
	s_mov_b64 s[4:5], 0
.LBB106_303:                            ; =>This Inner Loop Header: Depth=1
	buffer_load_dword v98, v95, s[0:3], 0 offen
	v_mov_b32_e32 v99, s14
	ds_read_b32 v99, v99
	v_add_u32_e32 v97, -1, v97
	s_add_i32 s14, s14, 4
	v_cmp_eq_u32_e32 vcc, 0, v97
	v_add_u32_e32 v95, 4, v95
	s_or_b64 s[4:5], vcc, s[4:5]
	s_waitcnt vmcnt(0) lgkmcnt(0)
	v_fmac_f32_e32 v96, v98, v99
	s_andn2_b64 exec, exec, s[4:5]
	s_cbranch_execnz .LBB106_303
; %bb.304:
	s_or_b64 exec, exec, s[4:5]
.LBB106_305:
	s_or_b64 exec, exec, s[12:13]
	v_mov_b32_e32 v95, 0
	ds_read_b32 v95, v95 offset:44
	s_waitcnt lgkmcnt(0)
	v_mul_f32_e32 v95, v96, v95
	buffer_store_dword v95, off, s[0:3], 0 offset:44
.LBB106_306:
	s_or_b64 exec, exec, s[8:9]
	buffer_load_dword v95, off, s[0:3], 0 offset:40
	v_cmp_lt_u32_e64 s[4:5], 10, v0
	s_waitcnt vmcnt(0)
	ds_write_b32 v88, v95
	s_waitcnt lgkmcnt(0)
	; wave barrier
	s_waitcnt lgkmcnt(0)
	s_and_saveexec_b64 s[8:9], s[4:5]
	s_cbranch_execz .LBB106_316
; %bb.307:
	s_andn2_b64 vcc, exec, s[10:11]
	s_cbranch_vccnz .LBB106_309
; %bb.308:
	buffer_load_dword v95, v89, s[0:3], 0 offen
	ds_read_b32 v96, v88
	s_waitcnt vmcnt(0) lgkmcnt(0)
	v_mul_f32_e32 v95, v95, v96
	s_cbranch_execz .LBB106_310
	s_branch .LBB106_311
.LBB106_309:
                                        ; implicit-def: $vgpr95
.LBB106_310:
	ds_read_b32 v95, v88
.LBB106_311:
	s_and_saveexec_b64 s[12:13], s[6:7]
	s_cbranch_execz .LBB106_315
; %bb.312:
	v_mov_b32_e32 v96, 0
	v_add_u32_e32 v96, 44, v96
	v_add_u32_e32 v97, -11, v0
	s_movk_i32 s14, 0xdc
	s_mov_b64 s[6:7], 0
.LBB106_313:                            ; =>This Inner Loop Header: Depth=1
	buffer_load_dword v98, v96, s[0:3], 0 offen
	v_mov_b32_e32 v99, s14
	ds_read_b32 v99, v99
	v_add_u32_e32 v97, -1, v97
	s_add_i32 s14, s14, 4
	v_cmp_eq_u32_e32 vcc, 0, v97
	v_add_u32_e32 v96, 4, v96
	s_or_b64 s[6:7], vcc, s[6:7]
	s_waitcnt vmcnt(0) lgkmcnt(0)
	v_fmac_f32_e32 v95, v98, v99
	s_andn2_b64 exec, exec, s[6:7]
	s_cbranch_execnz .LBB106_313
; %bb.314:
	s_or_b64 exec, exec, s[6:7]
.LBB106_315:
	s_or_b64 exec, exec, s[12:13]
	v_mov_b32_e32 v96, 0
	ds_read_b32 v96, v96 offset:40
	s_waitcnt lgkmcnt(0)
	v_mul_f32_e32 v95, v95, v96
	buffer_store_dword v95, off, s[0:3], 0 offset:40
.LBB106_316:
	s_or_b64 exec, exec, s[8:9]
	buffer_load_dword v95, off, s[0:3], 0 offset:36
	v_cmp_lt_u32_e64 s[6:7], 9, v0
	s_waitcnt vmcnt(0)
	ds_write_b32 v88, v95
	s_waitcnt lgkmcnt(0)
	; wave barrier
	s_waitcnt lgkmcnt(0)
	s_and_saveexec_b64 s[8:9], s[6:7]
	s_cbranch_execz .LBB106_326
; %bb.317:
	s_andn2_b64 vcc, exec, s[10:11]
	s_cbranch_vccnz .LBB106_319
; %bb.318:
	buffer_load_dword v95, v89, s[0:3], 0 offen
	ds_read_b32 v96, v88
	s_waitcnt vmcnt(0) lgkmcnt(0)
	v_mul_f32_e32 v95, v95, v96
	s_cbranch_execz .LBB106_320
	s_branch .LBB106_321
.LBB106_319:
                                        ; implicit-def: $vgpr95
.LBB106_320:
	ds_read_b32 v95, v88
.LBB106_321:
	s_and_saveexec_b64 s[12:13], s[4:5]
	s_cbranch_execz .LBB106_325
; %bb.322:
	v_add_u32_e32 v96, -10, v0
	s_movk_i32 s14, 0xd8
	s_mov_b64 s[4:5], 0
.LBB106_323:                            ; =>This Inner Loop Header: Depth=1
	buffer_load_dword v97, v94, s[0:3], 0 offen
	v_mov_b32_e32 v98, s14
	ds_read_b32 v98, v98
	v_add_u32_e32 v96, -1, v96
	s_add_i32 s14, s14, 4
	v_cmp_eq_u32_e32 vcc, 0, v96
	v_add_u32_e32 v94, 4, v94
	s_or_b64 s[4:5], vcc, s[4:5]
	s_waitcnt vmcnt(0) lgkmcnt(0)
	v_fmac_f32_e32 v95, v97, v98
	s_andn2_b64 exec, exec, s[4:5]
	s_cbranch_execnz .LBB106_323
; %bb.324:
	s_or_b64 exec, exec, s[4:5]
.LBB106_325:
	s_or_b64 exec, exec, s[12:13]
	v_mov_b32_e32 v94, 0
	ds_read_b32 v94, v94 offset:36
	s_waitcnt lgkmcnt(0)
	v_mul_f32_e32 v94, v95, v94
	buffer_store_dword v94, off, s[0:3], 0 offset:36
.LBB106_326:
	s_or_b64 exec, exec, s[8:9]
	buffer_load_dword v94, off, s[0:3], 0 offset:32
	v_cmp_lt_u32_e64 s[4:5], 8, v0
	s_waitcnt vmcnt(0)
	ds_write_b32 v88, v94
	s_waitcnt lgkmcnt(0)
	; wave barrier
	s_waitcnt lgkmcnt(0)
	s_and_saveexec_b64 s[8:9], s[4:5]
	s_cbranch_execz .LBB106_336
; %bb.327:
	s_andn2_b64 vcc, exec, s[10:11]
	s_cbranch_vccnz .LBB106_329
; %bb.328:
	buffer_load_dword v94, v89, s[0:3], 0 offen
	ds_read_b32 v95, v88
	s_waitcnt vmcnt(0) lgkmcnt(0)
	v_mul_f32_e32 v94, v94, v95
	s_cbranch_execz .LBB106_330
	s_branch .LBB106_331
.LBB106_329:
                                        ; implicit-def: $vgpr94
.LBB106_330:
	ds_read_b32 v94, v88
.LBB106_331:
	s_and_saveexec_b64 s[12:13], s[6:7]
	s_cbranch_execz .LBB106_335
; %bb.332:
	v_mov_b32_e32 v95, 0
	v_add_u32_e32 v95, 36, v95
	v_add_u32_e32 v96, -9, v0
	s_movk_i32 s14, 0xd4
	s_mov_b64 s[6:7], 0
.LBB106_333:                            ; =>This Inner Loop Header: Depth=1
	buffer_load_dword v97, v95, s[0:3], 0 offen
	v_mov_b32_e32 v98, s14
	ds_read_b32 v98, v98
	v_add_u32_e32 v96, -1, v96
	s_add_i32 s14, s14, 4
	v_cmp_eq_u32_e32 vcc, 0, v96
	v_add_u32_e32 v95, 4, v95
	s_or_b64 s[6:7], vcc, s[6:7]
	s_waitcnt vmcnt(0) lgkmcnt(0)
	v_fmac_f32_e32 v94, v97, v98
	s_andn2_b64 exec, exec, s[6:7]
	s_cbranch_execnz .LBB106_333
; %bb.334:
	s_or_b64 exec, exec, s[6:7]
.LBB106_335:
	s_or_b64 exec, exec, s[12:13]
	v_mov_b32_e32 v95, 0
	ds_read_b32 v95, v95 offset:32
	s_waitcnt lgkmcnt(0)
	v_mul_f32_e32 v94, v94, v95
	buffer_store_dword v94, off, s[0:3], 0 offset:32
.LBB106_336:
	s_or_b64 exec, exec, s[8:9]
	buffer_load_dword v94, off, s[0:3], 0 offset:28
	v_cmp_lt_u32_e64 s[6:7], 7, v0
	s_waitcnt vmcnt(0)
	ds_write_b32 v88, v94
	s_waitcnt lgkmcnt(0)
	; wave barrier
	s_waitcnt lgkmcnt(0)
	s_and_saveexec_b64 s[8:9], s[6:7]
	s_cbranch_execz .LBB106_346
; %bb.337:
	s_andn2_b64 vcc, exec, s[10:11]
	s_cbranch_vccnz .LBB106_339
; %bb.338:
	buffer_load_dword v94, v89, s[0:3], 0 offen
	ds_read_b32 v95, v88
	s_waitcnt vmcnt(0) lgkmcnt(0)
	v_mul_f32_e32 v94, v94, v95
	s_cbranch_execz .LBB106_340
	s_branch .LBB106_341
.LBB106_339:
                                        ; implicit-def: $vgpr94
.LBB106_340:
	ds_read_b32 v94, v88
.LBB106_341:
	s_and_saveexec_b64 s[12:13], s[4:5]
	s_cbranch_execz .LBB106_345
; %bb.342:
	v_add_u32_e32 v95, -8, v0
	s_movk_i32 s14, 0xd0
	s_mov_b64 s[4:5], 0
.LBB106_343:                            ; =>This Inner Loop Header: Depth=1
	buffer_load_dword v96, v93, s[0:3], 0 offen
	v_mov_b32_e32 v97, s14
	ds_read_b32 v97, v97
	v_add_u32_e32 v95, -1, v95
	s_add_i32 s14, s14, 4
	v_cmp_eq_u32_e32 vcc, 0, v95
	v_add_u32_e32 v93, 4, v93
	s_or_b64 s[4:5], vcc, s[4:5]
	s_waitcnt vmcnt(0) lgkmcnt(0)
	v_fmac_f32_e32 v94, v96, v97
	s_andn2_b64 exec, exec, s[4:5]
	s_cbranch_execnz .LBB106_343
; %bb.344:
	s_or_b64 exec, exec, s[4:5]
.LBB106_345:
	s_or_b64 exec, exec, s[12:13]
	v_mov_b32_e32 v93, 0
	ds_read_b32 v93, v93 offset:28
	s_waitcnt lgkmcnt(0)
	v_mul_f32_e32 v93, v94, v93
	buffer_store_dword v93, off, s[0:3], 0 offset:28
.LBB106_346:
	s_or_b64 exec, exec, s[8:9]
	buffer_load_dword v93, off, s[0:3], 0 offset:24
	v_cmp_lt_u32_e64 s[4:5], 6, v0
	s_waitcnt vmcnt(0)
	ds_write_b32 v88, v93
	s_waitcnt lgkmcnt(0)
	; wave barrier
	s_waitcnt lgkmcnt(0)
	s_and_saveexec_b64 s[8:9], s[4:5]
	s_cbranch_execz .LBB106_356
; %bb.347:
	s_andn2_b64 vcc, exec, s[10:11]
	s_cbranch_vccnz .LBB106_349
; %bb.348:
	buffer_load_dword v93, v89, s[0:3], 0 offen
	ds_read_b32 v94, v88
	s_waitcnt vmcnt(0) lgkmcnt(0)
	v_mul_f32_e32 v93, v93, v94
	s_cbranch_execz .LBB106_350
	s_branch .LBB106_351
.LBB106_349:
                                        ; implicit-def: $vgpr93
.LBB106_350:
	ds_read_b32 v93, v88
.LBB106_351:
	s_and_saveexec_b64 s[12:13], s[6:7]
	s_cbranch_execz .LBB106_355
; %bb.352:
	v_mov_b32_e32 v94, 0
	v_add_u32_e32 v94, 28, v94
	v_add_u32_e32 v95, -7, v0
	s_movk_i32 s14, 0xcc
	s_mov_b64 s[6:7], 0
.LBB106_353:                            ; =>This Inner Loop Header: Depth=1
	buffer_load_dword v96, v94, s[0:3], 0 offen
	v_mov_b32_e32 v97, s14
	ds_read_b32 v97, v97
	v_add_u32_e32 v95, -1, v95
	s_add_i32 s14, s14, 4
	v_cmp_eq_u32_e32 vcc, 0, v95
	v_add_u32_e32 v94, 4, v94
	s_or_b64 s[6:7], vcc, s[6:7]
	s_waitcnt vmcnt(0) lgkmcnt(0)
	v_fmac_f32_e32 v93, v96, v97
	s_andn2_b64 exec, exec, s[6:7]
	s_cbranch_execnz .LBB106_353
; %bb.354:
	s_or_b64 exec, exec, s[6:7]
.LBB106_355:
	s_or_b64 exec, exec, s[12:13]
	v_mov_b32_e32 v94, 0
	ds_read_b32 v94, v94 offset:24
	s_waitcnt lgkmcnt(0)
	v_mul_f32_e32 v93, v93, v94
	buffer_store_dword v93, off, s[0:3], 0 offset:24
.LBB106_356:
	s_or_b64 exec, exec, s[8:9]
	buffer_load_dword v93, off, s[0:3], 0 offset:20
	v_cmp_lt_u32_e64 s[6:7], 5, v0
	s_waitcnt vmcnt(0)
	ds_write_b32 v88, v93
	s_waitcnt lgkmcnt(0)
	; wave barrier
	s_waitcnt lgkmcnt(0)
	s_and_saveexec_b64 s[8:9], s[6:7]
	s_cbranch_execz .LBB106_366
; %bb.357:
	s_andn2_b64 vcc, exec, s[10:11]
	s_cbranch_vccnz .LBB106_359
; %bb.358:
	buffer_load_dword v93, v89, s[0:3], 0 offen
	ds_read_b32 v94, v88
	s_waitcnt vmcnt(0) lgkmcnt(0)
	v_mul_f32_e32 v93, v93, v94
	s_cbranch_execz .LBB106_360
	s_branch .LBB106_361
.LBB106_359:
                                        ; implicit-def: $vgpr93
.LBB106_360:
	ds_read_b32 v93, v88
.LBB106_361:
	s_and_saveexec_b64 s[12:13], s[4:5]
	s_cbranch_execz .LBB106_365
; %bb.362:
	v_add_u32_e32 v94, -6, v0
	s_movk_i32 s14, 0xc8
	s_mov_b64 s[4:5], 0
.LBB106_363:                            ; =>This Inner Loop Header: Depth=1
	buffer_load_dword v95, v92, s[0:3], 0 offen
	v_mov_b32_e32 v96, s14
	ds_read_b32 v96, v96
	v_add_u32_e32 v94, -1, v94
	s_add_i32 s14, s14, 4
	v_cmp_eq_u32_e32 vcc, 0, v94
	v_add_u32_e32 v92, 4, v92
	s_or_b64 s[4:5], vcc, s[4:5]
	s_waitcnt vmcnt(0) lgkmcnt(0)
	v_fmac_f32_e32 v93, v95, v96
	s_andn2_b64 exec, exec, s[4:5]
	s_cbranch_execnz .LBB106_363
; %bb.364:
	s_or_b64 exec, exec, s[4:5]
.LBB106_365:
	s_or_b64 exec, exec, s[12:13]
	v_mov_b32_e32 v92, 0
	ds_read_b32 v92, v92 offset:20
	s_waitcnt lgkmcnt(0)
	v_mul_f32_e32 v92, v93, v92
	buffer_store_dword v92, off, s[0:3], 0 offset:20
.LBB106_366:
	s_or_b64 exec, exec, s[8:9]
	buffer_load_dword v92, off, s[0:3], 0 offset:16
	v_cmp_lt_u32_e64 s[4:5], 4, v0
	s_waitcnt vmcnt(0)
	ds_write_b32 v88, v92
	s_waitcnt lgkmcnt(0)
	; wave barrier
	s_waitcnt lgkmcnt(0)
	s_and_saveexec_b64 s[8:9], s[4:5]
	s_cbranch_execz .LBB106_376
; %bb.367:
	s_andn2_b64 vcc, exec, s[10:11]
	s_cbranch_vccnz .LBB106_369
; %bb.368:
	buffer_load_dword v92, v89, s[0:3], 0 offen
	ds_read_b32 v93, v88
	s_waitcnt vmcnt(0) lgkmcnt(0)
	v_mul_f32_e32 v92, v92, v93
	s_cbranch_execz .LBB106_370
	s_branch .LBB106_371
.LBB106_369:
                                        ; implicit-def: $vgpr92
.LBB106_370:
	ds_read_b32 v92, v88
.LBB106_371:
	s_and_saveexec_b64 s[12:13], s[6:7]
	s_cbranch_execz .LBB106_375
; %bb.372:
	v_mov_b32_e32 v93, 0
	v_add_u32_e32 v93, 20, v93
	v_add_u32_e32 v94, -5, v0
	s_movk_i32 s14, 0xc4
	s_mov_b64 s[6:7], 0
.LBB106_373:                            ; =>This Inner Loop Header: Depth=1
	buffer_load_dword v95, v93, s[0:3], 0 offen
	v_mov_b32_e32 v96, s14
	ds_read_b32 v96, v96
	v_add_u32_e32 v94, -1, v94
	s_add_i32 s14, s14, 4
	v_cmp_eq_u32_e32 vcc, 0, v94
	v_add_u32_e32 v93, 4, v93
	s_or_b64 s[6:7], vcc, s[6:7]
	s_waitcnt vmcnt(0) lgkmcnt(0)
	v_fmac_f32_e32 v92, v95, v96
	s_andn2_b64 exec, exec, s[6:7]
	s_cbranch_execnz .LBB106_373
; %bb.374:
	s_or_b64 exec, exec, s[6:7]
.LBB106_375:
	s_or_b64 exec, exec, s[12:13]
	v_mov_b32_e32 v93, 0
	ds_read_b32 v93, v93 offset:16
	s_waitcnt lgkmcnt(0)
	v_mul_f32_e32 v92, v92, v93
	buffer_store_dword v92, off, s[0:3], 0 offset:16
.LBB106_376:
	s_or_b64 exec, exec, s[8:9]
	buffer_load_dword v92, off, s[0:3], 0 offset:12
	v_cmp_lt_u32_e64 s[6:7], 3, v0
	s_waitcnt vmcnt(0)
	ds_write_b32 v88, v92
	s_waitcnt lgkmcnt(0)
	; wave barrier
	s_waitcnt lgkmcnt(0)
	s_and_saveexec_b64 s[8:9], s[6:7]
	s_cbranch_execz .LBB106_386
; %bb.377:
	s_andn2_b64 vcc, exec, s[10:11]
	s_cbranch_vccnz .LBB106_379
; %bb.378:
	buffer_load_dword v92, v89, s[0:3], 0 offen
	ds_read_b32 v93, v88
	s_waitcnt vmcnt(0) lgkmcnt(0)
	v_mul_f32_e32 v92, v92, v93
	s_cbranch_execz .LBB106_380
	s_branch .LBB106_381
.LBB106_379:
                                        ; implicit-def: $vgpr92
.LBB106_380:
	ds_read_b32 v92, v88
.LBB106_381:
	s_and_saveexec_b64 s[12:13], s[4:5]
	s_cbranch_execz .LBB106_385
; %bb.382:
	v_add_u32_e32 v93, -4, v0
	s_movk_i32 s14, 0xc0
	s_mov_b64 s[4:5], 0
.LBB106_383:                            ; =>This Inner Loop Header: Depth=1
	buffer_load_dword v94, v91, s[0:3], 0 offen
	v_mov_b32_e32 v95, s14
	ds_read_b32 v95, v95
	v_add_u32_e32 v93, -1, v93
	s_add_i32 s14, s14, 4
	v_cmp_eq_u32_e32 vcc, 0, v93
	v_add_u32_e32 v91, 4, v91
	s_or_b64 s[4:5], vcc, s[4:5]
	s_waitcnt vmcnt(0) lgkmcnt(0)
	v_fmac_f32_e32 v92, v94, v95
	s_andn2_b64 exec, exec, s[4:5]
	s_cbranch_execnz .LBB106_383
; %bb.384:
	s_or_b64 exec, exec, s[4:5]
.LBB106_385:
	s_or_b64 exec, exec, s[12:13]
	v_mov_b32_e32 v91, 0
	ds_read_b32 v91, v91 offset:12
	s_waitcnt lgkmcnt(0)
	v_mul_f32_e32 v91, v92, v91
	buffer_store_dword v91, off, s[0:3], 0 offset:12
.LBB106_386:
	s_or_b64 exec, exec, s[8:9]
	buffer_load_dword v91, off, s[0:3], 0 offset:8
	v_cmp_lt_u32_e64 s[4:5], 2, v0
	s_waitcnt vmcnt(0)
	ds_write_b32 v88, v91
	s_waitcnt lgkmcnt(0)
	; wave barrier
	s_waitcnt lgkmcnt(0)
	s_and_saveexec_b64 s[8:9], s[4:5]
	s_cbranch_execz .LBB106_396
; %bb.387:
	s_andn2_b64 vcc, exec, s[10:11]
	s_cbranch_vccnz .LBB106_389
; %bb.388:
	buffer_load_dword v91, v89, s[0:3], 0 offen
	ds_read_b32 v92, v88
	s_waitcnt vmcnt(0) lgkmcnt(0)
	v_mul_f32_e32 v91, v91, v92
	s_cbranch_execz .LBB106_390
	s_branch .LBB106_391
.LBB106_389:
                                        ; implicit-def: $vgpr91
.LBB106_390:
	ds_read_b32 v91, v88
.LBB106_391:
	s_and_saveexec_b64 s[12:13], s[6:7]
	s_cbranch_execz .LBB106_395
; %bb.392:
	v_mov_b32_e32 v92, 0
	v_or_b32_e32 v92, 12, v92
	v_add_u32_e32 v93, -3, v0
	s_movk_i32 s14, 0xbc
	s_mov_b64 s[6:7], 0
.LBB106_393:                            ; =>This Inner Loop Header: Depth=1
	buffer_load_dword v94, v92, s[0:3], 0 offen
	v_mov_b32_e32 v95, s14
	ds_read_b32 v95, v95
	v_add_u32_e32 v93, -1, v93
	s_add_i32 s14, s14, 4
	v_cmp_eq_u32_e32 vcc, 0, v93
	v_add_u32_e32 v92, 4, v92
	s_or_b64 s[6:7], vcc, s[6:7]
	s_waitcnt vmcnt(0) lgkmcnt(0)
	v_fmac_f32_e32 v91, v94, v95
	s_andn2_b64 exec, exec, s[6:7]
	s_cbranch_execnz .LBB106_393
; %bb.394:
	s_or_b64 exec, exec, s[6:7]
.LBB106_395:
	s_or_b64 exec, exec, s[12:13]
	v_mov_b32_e32 v92, 0
	ds_read_b32 v92, v92 offset:8
	s_waitcnt lgkmcnt(0)
	v_mul_f32_e32 v91, v91, v92
	buffer_store_dword v91, off, s[0:3], 0 offset:8
.LBB106_396:
	s_or_b64 exec, exec, s[8:9]
	buffer_load_dword v91, off, s[0:3], 0 offset:4
	v_cmp_lt_u32_e64 s[6:7], 1, v0
	s_waitcnt vmcnt(0)
	ds_write_b32 v88, v91
	s_waitcnt lgkmcnt(0)
	; wave barrier
	s_waitcnt lgkmcnt(0)
	s_and_saveexec_b64 s[8:9], s[6:7]
	s_cbranch_execz .LBB106_406
; %bb.397:
	s_andn2_b64 vcc, exec, s[10:11]
	s_cbranch_vccnz .LBB106_399
; %bb.398:
	buffer_load_dword v91, v89, s[0:3], 0 offen
	ds_read_b32 v92, v88
	s_waitcnt vmcnt(0) lgkmcnt(0)
	v_mul_f32_e32 v91, v91, v92
	s_cbranch_execz .LBB106_400
	s_branch .LBB106_401
.LBB106_399:
                                        ; implicit-def: $vgpr91
.LBB106_400:
	ds_read_b32 v91, v88
.LBB106_401:
	s_and_saveexec_b64 s[12:13], s[4:5]
	s_cbranch_execz .LBB106_405
; %bb.402:
	v_add_u32_e32 v92, -2, v0
	s_movk_i32 s14, 0xb8
	s_mov_b64 s[4:5], 0
.LBB106_403:                            ; =>This Inner Loop Header: Depth=1
	buffer_load_dword v93, v90, s[0:3], 0 offen
	v_mov_b32_e32 v94, s14
	ds_read_b32 v94, v94
	v_add_u32_e32 v92, -1, v92
	s_add_i32 s14, s14, 4
	v_cmp_eq_u32_e32 vcc, 0, v92
	v_add_u32_e32 v90, 4, v90
	s_or_b64 s[4:5], vcc, s[4:5]
	s_waitcnt vmcnt(0) lgkmcnt(0)
	v_fmac_f32_e32 v91, v93, v94
	s_andn2_b64 exec, exec, s[4:5]
	s_cbranch_execnz .LBB106_403
; %bb.404:
	s_or_b64 exec, exec, s[4:5]
.LBB106_405:
	s_or_b64 exec, exec, s[12:13]
	v_mov_b32_e32 v90, 0
	ds_read_b32 v90, v90 offset:4
	s_waitcnt lgkmcnt(0)
	v_mul_f32_e32 v90, v91, v90
	buffer_store_dword v90, off, s[0:3], 0 offset:4
.LBB106_406:
	s_or_b64 exec, exec, s[8:9]
	buffer_load_dword v90, off, s[0:3], 0
	v_cmp_ne_u32_e32 vcc, 0, v0
	s_waitcnt vmcnt(0)
	ds_write_b32 v88, v90
	s_waitcnt lgkmcnt(0)
	; wave barrier
	s_waitcnt lgkmcnt(0)
	s_and_saveexec_b64 s[4:5], vcc
	s_cbranch_execz .LBB106_416
; %bb.407:
	s_andn2_b64 vcc, exec, s[10:11]
	s_cbranch_vccnz .LBB106_409
; %bb.408:
	buffer_load_dword v90, v89, s[0:3], 0 offen
	ds_read_b32 v91, v88
	s_waitcnt vmcnt(0) lgkmcnt(0)
	v_mul_f32_e32 v90, v90, v91
	s_cbranch_execz .LBB106_410
	s_branch .LBB106_411
.LBB106_409:
                                        ; implicit-def: $vgpr90
.LBB106_410:
	ds_read_b32 v90, v88
.LBB106_411:
	s_and_saveexec_b64 s[8:9], s[6:7]
	s_cbranch_execz .LBB106_415
; %bb.412:
	v_mov_b32_e32 v91, 0
	v_or_b32_e32 v91, 4, v91
	v_add_u32_e32 v92, -1, v0
	s_movk_i32 s12, 0xb4
	s_mov_b64 s[6:7], 0
.LBB106_413:                            ; =>This Inner Loop Header: Depth=1
	buffer_load_dword v93, v91, s[0:3], 0 offen
	v_mov_b32_e32 v94, s12
	ds_read_b32 v94, v94
	v_add_u32_e32 v92, -1, v92
	s_add_i32 s12, s12, 4
	v_cmp_eq_u32_e32 vcc, 0, v92
	v_add_u32_e32 v91, 4, v91
	s_or_b64 s[6:7], vcc, s[6:7]
	s_waitcnt vmcnt(0) lgkmcnt(0)
	v_fmac_f32_e32 v90, v93, v94
	s_andn2_b64 exec, exec, s[6:7]
	s_cbranch_execnz .LBB106_413
; %bb.414:
	s_or_b64 exec, exec, s[6:7]
.LBB106_415:
	s_or_b64 exec, exec, s[8:9]
	v_mov_b32_e32 v91, 0
	ds_read_b32 v91, v91
	s_waitcnt lgkmcnt(0)
	v_mul_f32_e32 v90, v90, v91
	buffer_store_dword v90, off, s[0:3], 0
.LBB106_416:
	s_or_b64 exec, exec, s[4:5]
	s_mov_b64 s[4:5], 0
.LBB106_417:
	s_and_b64 vcc, exec, s[4:5]
	s_cbranch_vccz .LBB106_831
; %bb.418:
	buffer_load_dword v90, off, s[0:3], 0 offset:4
	v_cmp_eq_u32_e64 s[6:7], 0, v0
	s_waitcnt vmcnt(0)
	ds_write_b32 v88, v90
	s_waitcnt lgkmcnt(0)
	; wave barrier
	s_waitcnt lgkmcnt(0)
	s_and_saveexec_b64 s[4:5], s[6:7]
	s_cbranch_execz .LBB106_424
; %bb.419:
	s_and_b64 vcc, exec, s[10:11]
	s_cbranch_vccz .LBB106_421
; %bb.420:
	buffer_load_dword v90, v89, s[0:3], 0 offen
	ds_read_b32 v91, v88
	s_waitcnt vmcnt(0) lgkmcnt(0)
	v_mul_f32_e32 v90, v90, v91
	s_cbranch_execz .LBB106_422
	s_branch .LBB106_423
.LBB106_421:
                                        ; implicit-def: $vgpr90
.LBB106_422:
	ds_read_b32 v90, v88
.LBB106_423:
	v_mov_b32_e32 v91, 0
	ds_read_b32 v91, v91 offset:4
	s_waitcnt lgkmcnt(0)
	v_mul_f32_e32 v90, v90, v91
	buffer_store_dword v90, off, s[0:3], 0 offset:4
.LBB106_424:
	s_or_b64 exec, exec, s[4:5]
	buffer_load_dword v90, off, s[0:3], 0 offset:8
	v_cndmask_b32_e64 v91, 0, 1, s[10:11]
	v_cmp_gt_u32_e32 vcc, 2, v0
	v_cmp_ne_u32_e64 s[4:5], 1, v91
	s_waitcnt vmcnt(0)
	ds_write_b32 v88, v90
	s_waitcnt lgkmcnt(0)
	; wave barrier
	s_waitcnt lgkmcnt(0)
	s_and_saveexec_b64 s[8:9], vcc
	s_cbranch_execz .LBB106_432
; %bb.425:
	s_and_b64 vcc, exec, s[4:5]
	s_cbranch_vccnz .LBB106_427
; %bb.426:
	buffer_load_dword v90, v89, s[0:3], 0 offen
	ds_read_b32 v91, v88
	s_waitcnt vmcnt(0) lgkmcnt(0)
	v_mul_f32_e32 v90, v90, v91
	s_cbranch_execz .LBB106_428
	s_branch .LBB106_429
.LBB106_427:
                                        ; implicit-def: $vgpr90
.LBB106_428:
	ds_read_b32 v90, v88
.LBB106_429:
	s_and_saveexec_b64 s[10:11], s[6:7]
	s_cbranch_execz .LBB106_431
; %bb.430:
	buffer_load_dword v91, v89, s[0:3], 0 offen offset:4
	ds_read_b32 v92, v88 offset:4
	s_waitcnt vmcnt(0) lgkmcnt(0)
	v_fmac_f32_e32 v90, v91, v92
.LBB106_431:
	s_or_b64 exec, exec, s[10:11]
	v_mov_b32_e32 v91, 0
	ds_read_b32 v91, v91 offset:8
	s_waitcnt lgkmcnt(0)
	v_mul_f32_e32 v90, v90, v91
	buffer_store_dword v90, off, s[0:3], 0 offset:8
.LBB106_432:
	s_or_b64 exec, exec, s[8:9]
	buffer_load_dword v90, off, s[0:3], 0 offset:12
	v_cmp_gt_u32_e32 vcc, 3, v0
	s_waitcnt vmcnt(0)
	ds_write_b32 v88, v90
	s_waitcnt lgkmcnt(0)
	; wave barrier
	s_waitcnt lgkmcnt(0)
	s_and_saveexec_b64 s[8:9], vcc
	s_cbranch_execz .LBB106_440
; %bb.433:
	s_and_b64 vcc, exec, s[4:5]
	s_cbranch_vccnz .LBB106_435
; %bb.434:
	buffer_load_dword v90, v89, s[0:3], 0 offen
	ds_read_b32 v91, v88
	s_waitcnt vmcnt(0) lgkmcnt(0)
	v_mul_f32_e32 v90, v90, v91
	s_cbranch_execz .LBB106_436
	s_branch .LBB106_437
.LBB106_435:
                                        ; implicit-def: $vgpr90
.LBB106_436:
	ds_read_b32 v90, v88
.LBB106_437:
	v_cmp_ne_u32_e32 vcc, 2, v0
	s_and_saveexec_b64 s[10:11], vcc
	s_cbranch_execz .LBB106_439
; %bb.438:
	buffer_load_dword v91, v89, s[0:3], 0 offen offset:4
	buffer_load_dword v92, off, s[0:3], 0 offset:8
	v_mov_b32_e32 v93, 0
	ds_read_b32 v94, v88 offset:4
	ds_read_b32 v93, v93 offset:184
	s_waitcnt vmcnt(1) lgkmcnt(1)
	v_fmac_f32_e32 v90, v91, v94
	s_waitcnt vmcnt(0) lgkmcnt(0)
	v_fma_f32 v91, v92, v93, v90
	v_cndmask_b32_e64 v90, v90, v91, s[6:7]
.LBB106_439:
	s_or_b64 exec, exec, s[10:11]
	v_mov_b32_e32 v91, 0
	ds_read_b32 v91, v91 offset:12
	s_waitcnt lgkmcnt(0)
	v_mul_f32_e32 v90, v90, v91
	buffer_store_dword v90, off, s[0:3], 0 offset:12
.LBB106_440:
	s_or_b64 exec, exec, s[8:9]
	buffer_load_dword v90, off, s[0:3], 0 offset:16
	v_cmp_gt_u32_e32 vcc, 4, v0
	s_waitcnt vmcnt(0)
	ds_write_b32 v88, v90
	s_waitcnt lgkmcnt(0)
	; wave barrier
	s_waitcnt lgkmcnt(0)
	s_and_saveexec_b64 s[6:7], vcc
	s_cbranch_execz .LBB106_450
; %bb.441:
	s_and_b64 vcc, exec, s[4:5]
	s_cbranch_vccnz .LBB106_443
; %bb.442:
	buffer_load_dword v90, v89, s[0:3], 0 offen
	ds_read_b32 v91, v88
	s_waitcnt vmcnt(0) lgkmcnt(0)
	v_mul_f32_e32 v90, v90, v91
	s_cbranch_execz .LBB106_444
	s_branch .LBB106_445
.LBB106_443:
                                        ; implicit-def: $vgpr90
.LBB106_444:
	ds_read_b32 v90, v88
.LBB106_445:
	v_cmp_ne_u32_e32 vcc, 3, v0
	s_and_saveexec_b64 s[8:9], vcc
	s_cbranch_execz .LBB106_449
; %bb.446:
	v_mov_b32_e32 v92, 0
	v_add_u32_e32 v91, 0xb4, v1
	v_add3_u32 v92, v1, v92, 4
	s_mov_b64 s[10:11], 0
	v_mov_b32_e32 v93, v0
.LBB106_447:                            ; =>This Inner Loop Header: Depth=1
	buffer_load_dword v94, v92, s[0:3], 0 offen
	ds_read_b32 v95, v91
	v_add_u32_e32 v93, 1, v93
	v_cmp_lt_u32_e32 vcc, 2, v93
	v_add_u32_e32 v91, 4, v91
	v_add_u32_e32 v92, 4, v92
	s_or_b64 s[10:11], vcc, s[10:11]
	s_waitcnt vmcnt(0) lgkmcnt(0)
	v_fmac_f32_e32 v90, v94, v95
	s_andn2_b64 exec, exec, s[10:11]
	s_cbranch_execnz .LBB106_447
; %bb.448:
	s_or_b64 exec, exec, s[10:11]
.LBB106_449:
	s_or_b64 exec, exec, s[8:9]
	v_mov_b32_e32 v91, 0
	ds_read_b32 v91, v91 offset:16
	s_waitcnt lgkmcnt(0)
	v_mul_f32_e32 v90, v90, v91
	buffer_store_dword v90, off, s[0:3], 0 offset:16
.LBB106_450:
	s_or_b64 exec, exec, s[6:7]
	buffer_load_dword v90, off, s[0:3], 0 offset:20
	v_cmp_gt_u32_e32 vcc, 5, v0
	s_waitcnt vmcnt(0)
	ds_write_b32 v88, v90
	s_waitcnt lgkmcnt(0)
	; wave barrier
	s_waitcnt lgkmcnt(0)
	s_and_saveexec_b64 s[6:7], vcc
	s_cbranch_execz .LBB106_460
; %bb.451:
	s_and_b64 vcc, exec, s[4:5]
	s_cbranch_vccnz .LBB106_453
; %bb.452:
	buffer_load_dword v90, v89, s[0:3], 0 offen
	ds_read_b32 v91, v88
	s_waitcnt vmcnt(0) lgkmcnt(0)
	v_mul_f32_e32 v90, v90, v91
	s_cbranch_execz .LBB106_454
	s_branch .LBB106_455
.LBB106_453:
                                        ; implicit-def: $vgpr90
.LBB106_454:
	ds_read_b32 v90, v88
.LBB106_455:
	v_cmp_ne_u32_e32 vcc, 4, v0
	s_and_saveexec_b64 s[8:9], vcc
	s_cbranch_execz .LBB106_459
; %bb.456:
	v_mov_b32_e32 v92, 0
	v_add_u32_e32 v91, 0xb4, v1
	v_add3_u32 v92, v1, v92, 4
	s_mov_b64 s[10:11], 0
	v_mov_b32_e32 v93, v0
.LBB106_457:                            ; =>This Inner Loop Header: Depth=1
	buffer_load_dword v94, v92, s[0:3], 0 offen
	ds_read_b32 v95, v91
	v_add_u32_e32 v93, 1, v93
	v_cmp_lt_u32_e32 vcc, 3, v93
	v_add_u32_e32 v91, 4, v91
	v_add_u32_e32 v92, 4, v92
	s_or_b64 s[10:11], vcc, s[10:11]
	s_waitcnt vmcnt(0) lgkmcnt(0)
	v_fmac_f32_e32 v90, v94, v95
	s_andn2_b64 exec, exec, s[10:11]
	s_cbranch_execnz .LBB106_457
; %bb.458:
	s_or_b64 exec, exec, s[10:11]
.LBB106_459:
	s_or_b64 exec, exec, s[8:9]
	v_mov_b32_e32 v91, 0
	ds_read_b32 v91, v91 offset:20
	s_waitcnt lgkmcnt(0)
	v_mul_f32_e32 v90, v90, v91
	buffer_store_dword v90, off, s[0:3], 0 offset:20
.LBB106_460:
	;; [unrolled: 56-line block ×37, first 2 shown]
	s_or_b64 exec, exec, s[6:7]
	buffer_load_dword v90, off, s[0:3], 0 offset:164
	v_cmp_gt_u32_e64 s[6:7], 41, v0
	s_waitcnt vmcnt(0)
	ds_write_b32 v88, v90
	s_waitcnt lgkmcnt(0)
	; wave barrier
	s_waitcnt lgkmcnt(0)
	s_and_saveexec_b64 s[8:9], s[6:7]
	s_cbranch_execz .LBB106_820
; %bb.811:
	s_and_b64 vcc, exec, s[4:5]
	s_cbranch_vccnz .LBB106_813
; %bb.812:
	buffer_load_dword v90, v89, s[0:3], 0 offen
	ds_read_b32 v91, v88
	s_waitcnt vmcnt(0) lgkmcnt(0)
	v_mul_f32_e32 v90, v90, v91
	s_cbranch_execz .LBB106_814
	s_branch .LBB106_815
.LBB106_813:
                                        ; implicit-def: $vgpr90
.LBB106_814:
	ds_read_b32 v90, v88
.LBB106_815:
	v_cmp_ne_u32_e32 vcc, 40, v0
	s_and_saveexec_b64 s[10:11], vcc
	s_cbranch_execz .LBB106_819
; %bb.816:
	v_mov_b32_e32 v92, 0
	v_add_u32_e32 v91, 0xb4, v1
	v_add3_u32 v92, v1, v92, 4
	s_mov_b64 s[12:13], 0
	v_mov_b32_e32 v93, v0
.LBB106_817:                            ; =>This Inner Loop Header: Depth=1
	buffer_load_dword v94, v92, s[0:3], 0 offen
	ds_read_b32 v95, v91
	v_add_u32_e32 v93, 1, v93
	v_cmp_lt_u32_e32 vcc, 39, v93
	v_add_u32_e32 v91, 4, v91
	v_add_u32_e32 v92, 4, v92
	s_or_b64 s[12:13], vcc, s[12:13]
	s_waitcnt vmcnt(0) lgkmcnt(0)
	v_fmac_f32_e32 v90, v94, v95
	s_andn2_b64 exec, exec, s[12:13]
	s_cbranch_execnz .LBB106_817
; %bb.818:
	s_or_b64 exec, exec, s[12:13]
.LBB106_819:
	s_or_b64 exec, exec, s[10:11]
	v_mov_b32_e32 v91, 0
	ds_read_b32 v91, v91 offset:164
	s_waitcnt lgkmcnt(0)
	v_mul_f32_e32 v90, v90, v91
	buffer_store_dword v90, off, s[0:3], 0 offset:164
.LBB106_820:
	s_or_b64 exec, exec, s[8:9]
	buffer_load_dword v90, off, s[0:3], 0 offset:168
	v_cmp_ne_u32_e32 vcc, 42, v0
	s_waitcnt vmcnt(0)
	ds_write_b32 v88, v90
	s_waitcnt lgkmcnt(0)
	; wave barrier
	s_waitcnt lgkmcnt(0)
	s_and_saveexec_b64 s[8:9], vcc
	s_cbranch_execz .LBB106_830
; %bb.821:
	s_and_b64 vcc, exec, s[4:5]
	s_cbranch_vccnz .LBB106_823
; %bb.822:
	buffer_load_dword v89, v89, s[0:3], 0 offen
	ds_read_b32 v90, v88
	s_waitcnt vmcnt(0) lgkmcnt(0)
	v_mul_f32_e32 v89, v89, v90
	s_cbranch_execz .LBB106_824
	s_branch .LBB106_825
.LBB106_823:
                                        ; implicit-def: $vgpr89
.LBB106_824:
	ds_read_b32 v89, v88
.LBB106_825:
	s_and_saveexec_b64 s[4:5], s[6:7]
	s_cbranch_execz .LBB106_829
; %bb.826:
	v_mov_b32_e32 v90, 0
	v_add_u32_e32 v88, 0xb4, v1
	v_add3_u32 v1, v1, v90, 4
	s_mov_b64 s[6:7], 0
.LBB106_827:                            ; =>This Inner Loop Header: Depth=1
	buffer_load_dword v90, v1, s[0:3], 0 offen
	ds_read_b32 v91, v88
	v_add_u32_e32 v0, 1, v0
	v_cmp_lt_u32_e32 vcc, 40, v0
	v_add_u32_e32 v88, 4, v88
	v_add_u32_e32 v1, 4, v1
	s_or_b64 s[6:7], vcc, s[6:7]
	s_waitcnt vmcnt(0) lgkmcnt(0)
	v_fmac_f32_e32 v89, v90, v91
	s_andn2_b64 exec, exec, s[6:7]
	s_cbranch_execnz .LBB106_827
; %bb.828:
	s_or_b64 exec, exec, s[6:7]
.LBB106_829:
	s_or_b64 exec, exec, s[4:5]
	v_mov_b32_e32 v0, 0
	ds_read_b32 v0, v0 offset:168
	s_waitcnt lgkmcnt(0)
	v_mul_f32_e32 v0, v89, v0
	buffer_store_dword v0, off, s[0:3], 0 offset:168
.LBB106_830:
	s_or_b64 exec, exec, s[8:9]
.LBB106_831:
	buffer_load_dword v0, off, s[0:3], 0
	buffer_load_dword v1, off, s[0:3], 0 offset:4
	buffer_load_dword v88, off, s[0:3], 0 offset:8
	;; [unrolled: 1-line block ×31, first 2 shown]
	s_waitcnt vmcnt(31)
	global_store_dword v[82:83], v0, off
	buffer_load_dword v0, off, s[0:3], 0 offset:128
	s_nop 0
	buffer_load_dword v82, off, s[0:3], 0 offset:132
	buffer_load_dword v83, off, s[0:3], 0 offset:136
	;; [unrolled: 1-line block ×7, first 2 shown]
	s_waitcnt vmcnt(39)
	global_store_dword v[76:77], v1, off
	buffer_load_dword v1, off, s[0:3], 0 offset:160
	s_nop 0
	buffer_load_dword v76, off, s[0:3], 0 offset:164
	buffer_load_dword v77, off, s[0:3], 0 offset:168
	s_waitcnt vmcnt(42)
	global_store_dword v[2:3], v88, off
	s_waitcnt vmcnt(42)
	global_store_dword v[4:5], v89, off
	;; [unrolled: 2-line block ×41, first 2 shown]
.LBB106_832:
	s_endpgm
	.section	.rodata,"a",@progbits
	.p2align	6, 0x0
	.amdhsa_kernel _ZN9rocsolver6v33100L18trti2_kernel_smallILi43EfPKPfEEv13rocblas_fill_17rocblas_diagonal_T1_iil
		.amdhsa_group_segment_fixed_size 348
		.amdhsa_private_segment_fixed_size 176
		.amdhsa_kernarg_size 32
		.amdhsa_user_sgpr_count 8
		.amdhsa_user_sgpr_private_segment_buffer 1
		.amdhsa_user_sgpr_dispatch_ptr 0
		.amdhsa_user_sgpr_queue_ptr 0
		.amdhsa_user_sgpr_kernarg_segment_ptr 1
		.amdhsa_user_sgpr_dispatch_id 0
		.amdhsa_user_sgpr_flat_scratch_init 1
		.amdhsa_user_sgpr_kernarg_preload_length 0
		.amdhsa_user_sgpr_kernarg_preload_offset 0
		.amdhsa_user_sgpr_private_segment_size 0
		.amdhsa_uses_dynamic_stack 0
		.amdhsa_system_sgpr_private_segment_wavefront_offset 1
		.amdhsa_system_sgpr_workgroup_id_x 1
		.amdhsa_system_sgpr_workgroup_id_y 0
		.amdhsa_system_sgpr_workgroup_id_z 0
		.amdhsa_system_sgpr_workgroup_info 0
		.amdhsa_system_vgpr_workitem_id 0
		.amdhsa_next_free_vgpr 124
		.amdhsa_next_free_sgpr 16
		.amdhsa_accum_offset 124
		.amdhsa_reserve_vcc 1
		.amdhsa_reserve_flat_scratch 0
		.amdhsa_float_round_mode_32 0
		.amdhsa_float_round_mode_16_64 0
		.amdhsa_float_denorm_mode_32 3
		.amdhsa_float_denorm_mode_16_64 3
		.amdhsa_dx10_clamp 1
		.amdhsa_ieee_mode 1
		.amdhsa_fp16_overflow 0
		.amdhsa_tg_split 0
		.amdhsa_exception_fp_ieee_invalid_op 0
		.amdhsa_exception_fp_denorm_src 0
		.amdhsa_exception_fp_ieee_div_zero 0
		.amdhsa_exception_fp_ieee_overflow 0
		.amdhsa_exception_fp_ieee_underflow 0
		.amdhsa_exception_fp_ieee_inexact 0
		.amdhsa_exception_int_div_zero 0
	.end_amdhsa_kernel
	.section	.text._ZN9rocsolver6v33100L18trti2_kernel_smallILi43EfPKPfEEv13rocblas_fill_17rocblas_diagonal_T1_iil,"axG",@progbits,_ZN9rocsolver6v33100L18trti2_kernel_smallILi43EfPKPfEEv13rocblas_fill_17rocblas_diagonal_T1_iil,comdat
.Lfunc_end106:
	.size	_ZN9rocsolver6v33100L18trti2_kernel_smallILi43EfPKPfEEv13rocblas_fill_17rocblas_diagonal_T1_iil, .Lfunc_end106-_ZN9rocsolver6v33100L18trti2_kernel_smallILi43EfPKPfEEv13rocblas_fill_17rocblas_diagonal_T1_iil
                                        ; -- End function
	.section	.AMDGPU.csdata,"",@progbits
; Kernel info:
; codeLenInByte = 21000
; NumSgprs: 20
; NumVgprs: 124
; NumAgprs: 0
; TotalNumVgprs: 124
; ScratchSize: 176
; MemoryBound: 0
; FloatMode: 240
; IeeeMode: 1
; LDSByteSize: 348 bytes/workgroup (compile time only)
; SGPRBlocks: 2
; VGPRBlocks: 15
; NumSGPRsForWavesPerEU: 20
; NumVGPRsForWavesPerEU: 124
; AccumOffset: 124
; Occupancy: 4
; WaveLimiterHint : 1
; COMPUTE_PGM_RSRC2:SCRATCH_EN: 1
; COMPUTE_PGM_RSRC2:USER_SGPR: 8
; COMPUTE_PGM_RSRC2:TRAP_HANDLER: 0
; COMPUTE_PGM_RSRC2:TGID_X_EN: 1
; COMPUTE_PGM_RSRC2:TGID_Y_EN: 0
; COMPUTE_PGM_RSRC2:TGID_Z_EN: 0
; COMPUTE_PGM_RSRC2:TIDIG_COMP_CNT: 0
; COMPUTE_PGM_RSRC3_GFX90A:ACCUM_OFFSET: 30
; COMPUTE_PGM_RSRC3_GFX90A:TG_SPLIT: 0
	.section	.text._ZN9rocsolver6v33100L18trti2_kernel_smallILi44EfPKPfEEv13rocblas_fill_17rocblas_diagonal_T1_iil,"axG",@progbits,_ZN9rocsolver6v33100L18trti2_kernel_smallILi44EfPKPfEEv13rocblas_fill_17rocblas_diagonal_T1_iil,comdat
	.globl	_ZN9rocsolver6v33100L18trti2_kernel_smallILi44EfPKPfEEv13rocblas_fill_17rocblas_diagonal_T1_iil ; -- Begin function _ZN9rocsolver6v33100L18trti2_kernel_smallILi44EfPKPfEEv13rocblas_fill_17rocblas_diagonal_T1_iil
	.p2align	8
	.type	_ZN9rocsolver6v33100L18trti2_kernel_smallILi44EfPKPfEEv13rocblas_fill_17rocblas_diagonal_T1_iil,@function
_ZN9rocsolver6v33100L18trti2_kernel_smallILi44EfPKPfEEv13rocblas_fill_17rocblas_diagonal_T1_iil: ; @_ZN9rocsolver6v33100L18trti2_kernel_smallILi44EfPKPfEEv13rocblas_fill_17rocblas_diagonal_T1_iil
; %bb.0:
	s_add_u32 s0, s0, s9
	s_addc_u32 s1, s1, 0
	v_cmp_gt_u32_e32 vcc, 44, v0
	s_and_saveexec_b64 s[6:7], vcc
	s_cbranch_execz .LBB107_852
; %bb.1:
	s_load_dwordx2 s[6:7], s[4:5], 0x10
	s_load_dwordx4 s[12:15], s[4:5], 0x0
	s_ashr_i32 s9, s8, 31
	s_lshl_b64 s[4:5], s[8:9], 3
	s_waitcnt lgkmcnt(0)
	s_ashr_i32 s9, s6, 31
	s_add_u32 s4, s14, s4
	s_addc_u32 s5, s15, s5
	s_load_dwordx2 s[4:5], s[4:5], 0x0
	s_mov_b32 s8, s6
	s_lshl_b64 s[8:9], s[8:9], 2
	s_waitcnt lgkmcnt(0)
	s_add_u32 s4, s4, s8
	s_addc_u32 s5, s5, s9
	s_add_i32 s6, s7, s7
	v_add_u32_e32 v4, s6, v0
	v_ashrrev_i32_e32 v5, 31, v4
	v_lshlrev_b64 v[2:3], 2, v[4:5]
	v_add_u32_e32 v6, s7, v4
	v_mov_b32_e32 v1, s5
	v_add_co_u32_e32 v2, vcc, s4, v2
	v_ashrrev_i32_e32 v7, 31, v6
	v_addc_co_u32_e32 v3, vcc, v1, v3, vcc
	v_lshlrev_b64 v[4:5], 2, v[6:7]
	v_add_u32_e32 v8, s7, v6
	v_add_co_u32_e32 v4, vcc, s4, v4
	v_ashrrev_i32_e32 v9, 31, v8
	v_addc_co_u32_e32 v5, vcc, v1, v5, vcc
	v_lshlrev_b64 v[6:7], 2, v[8:9]
	v_add_u32_e32 v10, s7, v8
	;; [unrolled: 5-line block ×31, first 2 shown]
	v_add_co_u32_e32 v64, vcc, s4, v64
	v_ashrrev_i32_e32 v69, 31, v68
	v_addc_co_u32_e32 v65, vcc, v1, v65, vcc
	v_lshlrev_b64 v[66:67], 2, v[68:69]
	v_add_co_u32_e32 v66, vcc, s4, v66
	v_addc_co_u32_e32 v67, vcc, v1, v67, vcc
	v_lshlrev_b32_e32 v1, 2, v0
	v_add_u32_e32 v70, s7, v68
	v_mov_b32_e32 v68, s5
	v_add_co_u32_e32 v76, vcc, s4, v1
	s_ashr_i32 s9, s7, 31
	s_mov_b32 s8, s7
	v_addc_co_u32_e32 v77, vcc, 0, v68, vcc
	s_lshl_b64 s[8:9], s[8:9], 2
	v_mov_b32_e32 v68, s9
	v_add_co_u32_e32 v78, vcc, s8, v76
	v_addc_co_u32_e32 v79, vcc, v77, v68, vcc
	global_load_dword v90, v1, s[4:5]
	global_load_dword v91, v[78:79], off
	global_load_dword v92, v[2:3], off
	global_load_dword v93, v[4:5], off
	global_load_dword v94, v[6:7], off
	global_load_dword v95, v[8:9], off
	global_load_dword v96, v[10:11], off
	global_load_dword v97, v[12:13], off
	global_load_dword v98, v[14:15], off
	global_load_dword v99, v[16:17], off
	v_ashrrev_i32_e32 v71, 31, v70
	v_lshlrev_b64 v[68:69], 2, v[70:71]
	v_mov_b32_e32 v72, s5
	v_add_co_u32_e32 v68, vcc, s4, v68
	v_addc_co_u32_e32 v69, vcc, v72, v69, vcc
	v_add_u32_e32 v72, s7, v70
	v_ashrrev_i32_e32 v73, 31, v72
	v_lshlrev_b64 v[70:71], 2, v[72:73]
	v_mov_b32_e32 v74, s5
	v_add_co_u32_e32 v70, vcc, s4, v70
	v_addc_co_u32_e32 v71, vcc, v74, v71, vcc
	v_add_u32_e32 v74, s7, v72
	;; [unrolled: 6-line block ×7, first 2 shown]
	v_ashrrev_i32_e32 v89, 31, v88
	v_lshlrev_b64 v[86:87], 2, v[88:89]
	v_add_u32_e32 v88, s7, v88
	v_mov_b32_e32 v100, s5
	v_add_co_u32_e32 v86, vcc, s4, v86
	v_ashrrev_i32_e32 v89, 31, v88
	v_addc_co_u32_e32 v87, vcc, v100, v87, vcc
	v_lshlrev_b64 v[88:89], 2, v[88:89]
	v_add_co_u32_e32 v88, vcc, s4, v88
	v_addc_co_u32_e32 v89, vcc, v100, v89, vcc
	global_load_dword v100, v[88:89], off
	s_waitcnt vmcnt(10)
	buffer_store_dword v90, off, s[0:3], 0
	s_waitcnt vmcnt(10)
	buffer_store_dword v91, off, s[0:3], 0 offset:4
	s_waitcnt vmcnt(10)
	buffer_store_dword v92, off, s[0:3], 0 offset:8
	;; [unrolled: 2-line block ×4, first 2 shown]
	global_load_dword v90, v[22:23], off
	global_load_dword v91, v[24:25], off
	;; [unrolled: 1-line block ×4, first 2 shown]
	s_nop 0
	global_load_dword v94, v[30:31], off
	global_load_dword v101, v[20:21], off
	;; [unrolled: 1-line block ×19, first 2 shown]
	s_waitcnt vmcnt(33)
	buffer_store_dword v95, off, s[0:3], 0 offset:20
	s_waitcnt vmcnt(33)
	buffer_store_dword v96, off, s[0:3], 0 offset:24
	global_load_dword v95, v[64:65], off
	s_nop 0
	global_load_dword v96, v[82:83], off
	global_load_dword v119, v[74:75], off
	;; [unrolled: 1-line block ×6, first 2 shown]
	s_cmpk_lg_i32 s13, 0x84
	s_waitcnt vmcnt(40)
	buffer_store_dword v97, off, s[0:3], 0 offset:28
	global_load_dword v97, v[80:81], off
	s_cselect_b64 s[8:9], -1, 0
	s_waitcnt vmcnt(41)
	buffer_store_dword v98, off, s[0:3], 0 offset:32
	global_load_dword v98, v[84:85], off
	s_cmpk_eq_i32 s13, 0x84
	s_waitcnt vmcnt(42)
	buffer_store_dword v99, off, s[0:3], 0 offset:36
	global_load_dword v99, v[86:87], off
	s_waitcnt vmcnt(32)
	buffer_store_dword v101, off, s[0:3], 0 offset:44
	s_waitcnt vmcnt(32)
	buffer_store_dword v102, off, s[0:3], 0 offset:40
	buffer_store_dword v90, off, s[0:3], 0 offset:48
	;; [unrolled: 1-line block ×6, first 2 shown]
	s_waitcnt vmcnt(37)
	buffer_store_dword v103, off, s[0:3], 0 offset:68
	s_waitcnt vmcnt(37)
	buffer_store_dword v104, off, s[0:3], 0 offset:72
	;; [unrolled: 2-line block ×5, first 2 shown]
	buffer_store_dword v107, off, s[0:3], 0 offset:92
	buffer_store_dword v108, off, s[0:3], 0 offset:88
	s_waitcnt vmcnt(36)
	buffer_store_dword v111, off, s[0:3], 0 offset:100
	buffer_store_dword v106, off, s[0:3], 0 offset:96
	s_waitcnt vmcnt(32)
	buffer_store_dword v117, off, s[0:3], 0 offset:108
	s_waitcnt vmcnt(32)
	buffer_store_dword v118, off, s[0:3], 0 offset:104
	buffer_store_dword v115, off, s[0:3], 0 offset:116
	;; [unrolled: 1-line block ×5, first 2 shown]
	s_waitcnt vmcnt(34)
	buffer_store_dword v95, off, s[0:3], 0 offset:132
	buffer_store_dword v112, off, s[0:3], 0 offset:128
	s_waitcnt vmcnt(32)
	buffer_store_dword v121, off, s[0:3], 0 offset:140
	s_waitcnt vmcnt(32)
	buffer_store_dword v122, off, s[0:3], 0 offset:136
	s_waitcnt vmcnt(32)
	buffer_store_dword v123, off, s[0:3], 0 offset:148
	buffer_store_dword v120, off, s[0:3], 0 offset:144
	s_waitcnt vmcnt(32)
	buffer_store_dword v97, off, s[0:3], 0 offset:156
	buffer_store_dword v119, off, s[0:3], 0 offset:152
	s_waitcnt vmcnt(32)
	buffer_store_dword v98, off, s[0:3], 0 offset:164
	buffer_store_dword v96, off, s[0:3], 0 offset:160
	;; [unrolled: 1-line block ×3, first 2 shown]
	s_waitcnt vmcnt(33)
	buffer_store_dword v99, off, s[0:3], 0 offset:168
	v_mov_b32_e32 v111, 0
	v_mov_b32_e32 v90, -1.0
	s_cbranch_scc1 .LBB107_3
; %bb.2:
	v_lshl_add_u32 v90, v0, 2, v111
	buffer_load_dword v91, v90, s[0:3], 0 offen
	s_waitcnt vmcnt(0)
	v_div_scale_f32 v92, s[4:5], v91, v91, 1.0
	v_rcp_f32_e32 v93, v92
	v_div_scale_f32 v94, vcc, 1.0, v91, 1.0
	v_fma_f32 v95, -v92, v93, 1.0
	v_fmac_f32_e32 v93, v95, v93
	v_mul_f32_e32 v95, v94, v93
	v_fma_f32 v96, -v92, v95, v94
	v_fmac_f32_e32 v95, v96, v93
	v_fma_f32 v92, -v92, v95, v94
	v_div_fmas_f32 v92, v92, v93, v95
	v_div_fixup_f32 v91, v92, v91, 1.0
	buffer_store_dword v91, v90, s[0:3], 0 offen
	v_xor_b32_e32 v90, 0x80000000, v91
.LBB107_3:
	ds_write_b32 v1, v90
	s_cmpk_eq_i32 s12, 0x79
	v_add_u32_e32 v90, 0xb0, v1
	v_add_u32_e32 v91, 0, v1
	s_mov_b64 s[4:5], -1
	s_cbranch_scc1 .LBB107_427
; %bb.4:
	buffer_load_dword v92, off, s[0:3], 0 offset:168
	v_cmp_eq_u32_e64 s[4:5], 43, v0
	s_waitcnt vmcnt(0)
	ds_write_b32 v90, v92
	s_waitcnt lgkmcnt(0)
	; wave barrier
	s_waitcnt lgkmcnt(0)
	s_and_saveexec_b64 s[6:7], s[4:5]
	s_cbranch_execz .LBB107_10
; %bb.5:
	s_and_b64 vcc, exec, s[8:9]
	s_cbranch_vccz .LBB107_7
; %bb.6:
	buffer_load_dword v92, v91, s[0:3], 0 offen
	ds_read_b32 v93, v90
	s_waitcnt vmcnt(0) lgkmcnt(0)
	v_mul_f32_e32 v92, v92, v93
	s_cbranch_execz .LBB107_8
	s_branch .LBB107_9
.LBB107_7:
                                        ; implicit-def: $vgpr92
.LBB107_8:
	ds_read_b32 v92, v90
.LBB107_9:
	v_mov_b32_e32 v93, 0
	ds_read_b32 v93, v93 offset:168
	s_waitcnt lgkmcnt(0)
	v_mul_f32_e32 v92, v92, v93
	buffer_store_dword v92, off, s[0:3], 0 offset:168
.LBB107_10:
	s_or_b64 exec, exec, s[6:7]
	buffer_load_dword v112, off, s[0:3], 0 offset:164
	v_or_b32_e32 v92, 8, v111
	v_add_u32_e32 v93, 16, v111
	v_add_u32_e32 v94, 24, v111
	;; [unrolled: 1-line block ×19, first 2 shown]
	v_cmp_lt_u32_e64 s[6:7], 41, v0
	s_waitcnt vmcnt(0)
	ds_write_b32 v90, v112
	s_waitcnt lgkmcnt(0)
	; wave barrier
	s_waitcnt lgkmcnt(0)
	s_and_saveexec_b64 s[10:11], s[6:7]
	s_cbranch_execz .LBB107_16
; %bb.11:
	s_andn2_b64 vcc, exec, s[8:9]
	s_cbranch_vccnz .LBB107_13
; %bb.12:
	buffer_load_dword v112, v91, s[0:3], 0 offen
	ds_read_b32 v113, v90
	s_waitcnt vmcnt(0) lgkmcnt(0)
	v_mul_f32_e32 v112, v112, v113
	s_cbranch_execz .LBB107_14
	s_branch .LBB107_15
.LBB107_13:
                                        ; implicit-def: $vgpr112
.LBB107_14:
	ds_read_b32 v112, v90
.LBB107_15:
	buffer_load_dword v113, off, s[0:3], 0 offset:168
	v_mov_b32_e32 v114, 0
	ds_read2_b32 v[114:115], v114 offset0:41 offset1:86
	s_waitcnt vmcnt(0) lgkmcnt(0)
	v_fma_f32 v113, v113, v115, v112
	v_cndmask_b32_e64 v112, v112, v113, s[4:5]
	v_mul_f32_e32 v112, v112, v114
	buffer_store_dword v112, off, s[0:3], 0 offset:164
.LBB107_16:
	s_or_b64 exec, exec, s[10:11]
	buffer_load_dword v112, off, s[0:3], 0 offset:160
	v_cmp_lt_u32_e64 s[4:5], 40, v0
	s_waitcnt vmcnt(0)
	ds_write_b32 v90, v112
	s_waitcnt lgkmcnt(0)
	; wave barrier
	s_waitcnt lgkmcnt(0)
	s_and_saveexec_b64 s[10:11], s[4:5]
	s_cbranch_execz .LBB107_26
; %bb.17:
	s_andn2_b64 vcc, exec, s[8:9]
	s_cbranch_vccnz .LBB107_19
; %bb.18:
	buffer_load_dword v112, v91, s[0:3], 0 offen
	ds_read_b32 v113, v90
	s_waitcnt vmcnt(0) lgkmcnt(0)
	v_mul_f32_e32 v112, v112, v113
	s_cbranch_execz .LBB107_20
	s_branch .LBB107_21
.LBB107_19:
                                        ; implicit-def: $vgpr112
.LBB107_20:
	ds_read_b32 v112, v90
.LBB107_21:
	s_and_saveexec_b64 s[12:13], s[6:7]
	s_cbranch_execz .LBB107_25
; %bb.22:
	v_mov_b32_e32 v113, 0
	v_add_u32_e32 v113, 0xa4, v113
	v_subrev_u32_e32 v114, 41, v0
	s_movk_i32 s14, 0x154
	s_mov_b64 s[6:7], 0
.LBB107_23:                             ; =>This Inner Loop Header: Depth=1
	buffer_load_dword v115, v113, s[0:3], 0 offen
	v_mov_b32_e32 v116, s14
	ds_read_b32 v116, v116
	v_add_u32_e32 v114, -1, v114
	s_add_i32 s14, s14, 4
	v_cmp_eq_u32_e32 vcc, 0, v114
	v_add_u32_e32 v113, 4, v113
	s_or_b64 s[6:7], vcc, s[6:7]
	s_waitcnt vmcnt(0) lgkmcnt(0)
	v_fmac_f32_e32 v112, v115, v116
	s_andn2_b64 exec, exec, s[6:7]
	s_cbranch_execnz .LBB107_23
; %bb.24:
	s_or_b64 exec, exec, s[6:7]
.LBB107_25:
	s_or_b64 exec, exec, s[12:13]
	v_mov_b32_e32 v113, 0
	ds_read_b32 v113, v113 offset:160
	s_waitcnt lgkmcnt(0)
	v_mul_f32_e32 v112, v112, v113
	buffer_store_dword v112, off, s[0:3], 0 offset:160
.LBB107_26:
	s_or_b64 exec, exec, s[10:11]
	buffer_load_dword v112, off, s[0:3], 0 offset:156
	v_cmp_lt_u32_e64 s[6:7], 39, v0
	s_waitcnt vmcnt(0)
	ds_write_b32 v90, v112
	s_waitcnt lgkmcnt(0)
	; wave barrier
	s_waitcnt lgkmcnt(0)
	s_and_saveexec_b64 s[10:11], s[6:7]
	s_cbranch_execz .LBB107_36
; %bb.27:
	s_andn2_b64 vcc, exec, s[8:9]
	s_cbranch_vccnz .LBB107_29
; %bb.28:
	buffer_load_dword v112, v91, s[0:3], 0 offen
	ds_read_b32 v113, v90
	s_waitcnt vmcnt(0) lgkmcnt(0)
	v_mul_f32_e32 v112, v112, v113
	s_cbranch_execz .LBB107_30
	s_branch .LBB107_31
.LBB107_29:
                                        ; implicit-def: $vgpr112
.LBB107_30:
	ds_read_b32 v112, v90
.LBB107_31:
	s_and_saveexec_b64 s[12:13], s[4:5]
	s_cbranch_execz .LBB107_35
; %bb.32:
	v_subrev_u32_e32 v113, 40, v0
	s_movk_i32 s14, 0x150
	s_mov_b64 s[4:5], 0
.LBB107_33:                             ; =>This Inner Loop Header: Depth=1
	buffer_load_dword v114, v111, s[0:3], 0 offen
	v_mov_b32_e32 v115, s14
	ds_read_b32 v115, v115
	v_add_u32_e32 v113, -1, v113
	s_add_i32 s14, s14, 4
	v_cmp_eq_u32_e32 vcc, 0, v113
	v_add_u32_e32 v111, 4, v111
	s_or_b64 s[4:5], vcc, s[4:5]
	s_waitcnt vmcnt(0) lgkmcnt(0)
	v_fmac_f32_e32 v112, v114, v115
	s_andn2_b64 exec, exec, s[4:5]
	s_cbranch_execnz .LBB107_33
; %bb.34:
	s_or_b64 exec, exec, s[4:5]
.LBB107_35:
	s_or_b64 exec, exec, s[12:13]
	v_mov_b32_e32 v111, 0
	ds_read_b32 v111, v111 offset:156
	s_waitcnt lgkmcnt(0)
	v_mul_f32_e32 v111, v112, v111
	buffer_store_dword v111, off, s[0:3], 0 offset:156
.LBB107_36:
	s_or_b64 exec, exec, s[10:11]
	buffer_load_dword v111, off, s[0:3], 0 offset:152
	v_cmp_lt_u32_e64 s[4:5], 38, v0
	s_waitcnt vmcnt(0)
	ds_write_b32 v90, v111
	s_waitcnt lgkmcnt(0)
	; wave barrier
	s_waitcnt lgkmcnt(0)
	s_and_saveexec_b64 s[10:11], s[4:5]
	s_cbranch_execz .LBB107_46
; %bb.37:
	s_andn2_b64 vcc, exec, s[8:9]
	s_cbranch_vccnz .LBB107_39
; %bb.38:
	buffer_load_dword v111, v91, s[0:3], 0 offen
	ds_read_b32 v112, v90
	s_waitcnt vmcnt(0) lgkmcnt(0)
	v_mul_f32_e32 v111, v111, v112
	s_cbranch_execz .LBB107_40
	s_branch .LBB107_41
.LBB107_39:
                                        ; implicit-def: $vgpr111
.LBB107_40:
	ds_read_b32 v111, v90
.LBB107_41:
	s_and_saveexec_b64 s[12:13], s[6:7]
	s_cbranch_execz .LBB107_45
; %bb.42:
	v_mov_b32_e32 v112, 0
	v_add_u32_e32 v112, 0x9c, v112
	v_subrev_u32_e32 v113, 39, v0
	s_movk_i32 s14, 0x14c
	s_mov_b64 s[6:7], 0
.LBB107_43:                             ; =>This Inner Loop Header: Depth=1
	buffer_load_dword v114, v112, s[0:3], 0 offen
	v_mov_b32_e32 v115, s14
	ds_read_b32 v115, v115
	v_add_u32_e32 v113, -1, v113
	s_add_i32 s14, s14, 4
	v_cmp_eq_u32_e32 vcc, 0, v113
	v_add_u32_e32 v112, 4, v112
	s_or_b64 s[6:7], vcc, s[6:7]
	s_waitcnt vmcnt(0) lgkmcnt(0)
	v_fmac_f32_e32 v111, v114, v115
	s_andn2_b64 exec, exec, s[6:7]
	s_cbranch_execnz .LBB107_43
; %bb.44:
	s_or_b64 exec, exec, s[6:7]
.LBB107_45:
	s_or_b64 exec, exec, s[12:13]
	v_mov_b32_e32 v112, 0
	ds_read_b32 v112, v112 offset:152
	s_waitcnt lgkmcnt(0)
	v_mul_f32_e32 v111, v111, v112
	buffer_store_dword v111, off, s[0:3], 0 offset:152
.LBB107_46:
	s_or_b64 exec, exec, s[10:11]
	buffer_load_dword v111, off, s[0:3], 0 offset:148
	v_cmp_lt_u32_e64 s[6:7], 37, v0
	s_waitcnt vmcnt(0)
	ds_write_b32 v90, v111
	s_waitcnt lgkmcnt(0)
	; wave barrier
	s_waitcnt lgkmcnt(0)
	s_and_saveexec_b64 s[10:11], s[6:7]
	s_cbranch_execz .LBB107_56
; %bb.47:
	s_andn2_b64 vcc, exec, s[8:9]
	s_cbranch_vccnz .LBB107_49
; %bb.48:
	buffer_load_dword v111, v91, s[0:3], 0 offen
	ds_read_b32 v112, v90
	s_waitcnt vmcnt(0) lgkmcnt(0)
	v_mul_f32_e32 v111, v111, v112
	s_cbranch_execz .LBB107_50
	s_branch .LBB107_51
.LBB107_49:
                                        ; implicit-def: $vgpr111
.LBB107_50:
	ds_read_b32 v111, v90
.LBB107_51:
	s_and_saveexec_b64 s[12:13], s[4:5]
	s_cbranch_execz .LBB107_55
; %bb.52:
	v_subrev_u32_e32 v112, 38, v0
	s_movk_i32 s14, 0x148
	s_mov_b64 s[4:5], 0
.LBB107_53:                             ; =>This Inner Loop Header: Depth=1
	buffer_load_dword v113, v110, s[0:3], 0 offen
	v_mov_b32_e32 v114, s14
	ds_read_b32 v114, v114
	v_add_u32_e32 v112, -1, v112
	s_add_i32 s14, s14, 4
	v_cmp_eq_u32_e32 vcc, 0, v112
	v_add_u32_e32 v110, 4, v110
	s_or_b64 s[4:5], vcc, s[4:5]
	s_waitcnt vmcnt(0) lgkmcnt(0)
	v_fmac_f32_e32 v111, v113, v114
	s_andn2_b64 exec, exec, s[4:5]
	s_cbranch_execnz .LBB107_53
; %bb.54:
	s_or_b64 exec, exec, s[4:5]
.LBB107_55:
	s_or_b64 exec, exec, s[12:13]
	v_mov_b32_e32 v110, 0
	ds_read_b32 v110, v110 offset:148
	s_waitcnt lgkmcnt(0)
	v_mul_f32_e32 v110, v111, v110
	buffer_store_dword v110, off, s[0:3], 0 offset:148
.LBB107_56:
	s_or_b64 exec, exec, s[10:11]
	buffer_load_dword v110, off, s[0:3], 0 offset:144
	v_cmp_lt_u32_e64 s[4:5], 36, v0
	s_waitcnt vmcnt(0)
	ds_write_b32 v90, v110
	s_waitcnt lgkmcnt(0)
	; wave barrier
	s_waitcnt lgkmcnt(0)
	s_and_saveexec_b64 s[10:11], s[4:5]
	s_cbranch_execz .LBB107_66
; %bb.57:
	s_andn2_b64 vcc, exec, s[8:9]
	s_cbranch_vccnz .LBB107_59
; %bb.58:
	buffer_load_dword v110, v91, s[0:3], 0 offen
	ds_read_b32 v111, v90
	s_waitcnt vmcnt(0) lgkmcnt(0)
	v_mul_f32_e32 v110, v110, v111
	s_cbranch_execz .LBB107_60
	s_branch .LBB107_61
.LBB107_59:
                                        ; implicit-def: $vgpr110
.LBB107_60:
	ds_read_b32 v110, v90
.LBB107_61:
	s_and_saveexec_b64 s[12:13], s[6:7]
	s_cbranch_execz .LBB107_65
; %bb.62:
	v_mov_b32_e32 v111, 0
	v_add_u32_e32 v111, 0x94, v111
	v_subrev_u32_e32 v112, 37, v0
	s_movk_i32 s14, 0x144
	s_mov_b64 s[6:7], 0
.LBB107_63:                             ; =>This Inner Loop Header: Depth=1
	buffer_load_dword v113, v111, s[0:3], 0 offen
	v_mov_b32_e32 v114, s14
	ds_read_b32 v114, v114
	v_add_u32_e32 v112, -1, v112
	s_add_i32 s14, s14, 4
	v_cmp_eq_u32_e32 vcc, 0, v112
	v_add_u32_e32 v111, 4, v111
	s_or_b64 s[6:7], vcc, s[6:7]
	s_waitcnt vmcnt(0) lgkmcnt(0)
	v_fmac_f32_e32 v110, v113, v114
	s_andn2_b64 exec, exec, s[6:7]
	s_cbranch_execnz .LBB107_63
; %bb.64:
	s_or_b64 exec, exec, s[6:7]
.LBB107_65:
	s_or_b64 exec, exec, s[12:13]
	v_mov_b32_e32 v111, 0
	ds_read_b32 v111, v111 offset:144
	s_waitcnt lgkmcnt(0)
	v_mul_f32_e32 v110, v110, v111
	buffer_store_dword v110, off, s[0:3], 0 offset:144
.LBB107_66:
	s_or_b64 exec, exec, s[10:11]
	buffer_load_dword v110, off, s[0:3], 0 offset:140
	v_cmp_lt_u32_e64 s[6:7], 35, v0
	s_waitcnt vmcnt(0)
	ds_write_b32 v90, v110
	s_waitcnt lgkmcnt(0)
	; wave barrier
	s_waitcnt lgkmcnt(0)
	s_and_saveexec_b64 s[10:11], s[6:7]
	s_cbranch_execz .LBB107_76
; %bb.67:
	s_andn2_b64 vcc, exec, s[8:9]
	s_cbranch_vccnz .LBB107_69
; %bb.68:
	buffer_load_dword v110, v91, s[0:3], 0 offen
	ds_read_b32 v111, v90
	s_waitcnt vmcnt(0) lgkmcnt(0)
	v_mul_f32_e32 v110, v110, v111
	s_cbranch_execz .LBB107_70
	s_branch .LBB107_71
.LBB107_69:
                                        ; implicit-def: $vgpr110
.LBB107_70:
	ds_read_b32 v110, v90
.LBB107_71:
	s_and_saveexec_b64 s[12:13], s[4:5]
	s_cbranch_execz .LBB107_75
; %bb.72:
	v_subrev_u32_e32 v111, 36, v0
	s_movk_i32 s14, 0x140
	s_mov_b64 s[4:5], 0
.LBB107_73:                             ; =>This Inner Loop Header: Depth=1
	buffer_load_dword v112, v109, s[0:3], 0 offen
	v_mov_b32_e32 v113, s14
	ds_read_b32 v113, v113
	v_add_u32_e32 v111, -1, v111
	s_add_i32 s14, s14, 4
	v_cmp_eq_u32_e32 vcc, 0, v111
	v_add_u32_e32 v109, 4, v109
	s_or_b64 s[4:5], vcc, s[4:5]
	s_waitcnt vmcnt(0) lgkmcnt(0)
	v_fmac_f32_e32 v110, v112, v113
	s_andn2_b64 exec, exec, s[4:5]
	s_cbranch_execnz .LBB107_73
; %bb.74:
	s_or_b64 exec, exec, s[4:5]
.LBB107_75:
	s_or_b64 exec, exec, s[12:13]
	v_mov_b32_e32 v109, 0
	ds_read_b32 v109, v109 offset:140
	s_waitcnt lgkmcnt(0)
	v_mul_f32_e32 v109, v110, v109
	buffer_store_dword v109, off, s[0:3], 0 offset:140
.LBB107_76:
	s_or_b64 exec, exec, s[10:11]
	buffer_load_dword v109, off, s[0:3], 0 offset:136
	v_cmp_lt_u32_e64 s[4:5], 34, v0
	s_waitcnt vmcnt(0)
	ds_write_b32 v90, v109
	s_waitcnt lgkmcnt(0)
	; wave barrier
	s_waitcnt lgkmcnt(0)
	s_and_saveexec_b64 s[10:11], s[4:5]
	s_cbranch_execz .LBB107_86
; %bb.77:
	s_andn2_b64 vcc, exec, s[8:9]
	s_cbranch_vccnz .LBB107_79
; %bb.78:
	buffer_load_dword v109, v91, s[0:3], 0 offen
	ds_read_b32 v110, v90
	s_waitcnt vmcnt(0) lgkmcnt(0)
	v_mul_f32_e32 v109, v109, v110
	s_cbranch_execz .LBB107_80
	s_branch .LBB107_81
.LBB107_79:
                                        ; implicit-def: $vgpr109
.LBB107_80:
	ds_read_b32 v109, v90
.LBB107_81:
	s_and_saveexec_b64 s[12:13], s[6:7]
	s_cbranch_execz .LBB107_85
; %bb.82:
	v_mov_b32_e32 v110, 0
	v_add_u32_e32 v110, 0x8c, v110
	v_subrev_u32_e32 v111, 35, v0
	s_movk_i32 s14, 0x13c
	s_mov_b64 s[6:7], 0
.LBB107_83:                             ; =>This Inner Loop Header: Depth=1
	buffer_load_dword v112, v110, s[0:3], 0 offen
	v_mov_b32_e32 v113, s14
	ds_read_b32 v113, v113
	v_add_u32_e32 v111, -1, v111
	s_add_i32 s14, s14, 4
	v_cmp_eq_u32_e32 vcc, 0, v111
	v_add_u32_e32 v110, 4, v110
	s_or_b64 s[6:7], vcc, s[6:7]
	s_waitcnt vmcnt(0) lgkmcnt(0)
	v_fmac_f32_e32 v109, v112, v113
	s_andn2_b64 exec, exec, s[6:7]
	s_cbranch_execnz .LBB107_83
; %bb.84:
	s_or_b64 exec, exec, s[6:7]
.LBB107_85:
	s_or_b64 exec, exec, s[12:13]
	v_mov_b32_e32 v110, 0
	ds_read_b32 v110, v110 offset:136
	s_waitcnt lgkmcnt(0)
	v_mul_f32_e32 v109, v109, v110
	buffer_store_dword v109, off, s[0:3], 0 offset:136
.LBB107_86:
	s_or_b64 exec, exec, s[10:11]
	buffer_load_dword v109, off, s[0:3], 0 offset:132
	v_cmp_lt_u32_e64 s[6:7], 33, v0
	s_waitcnt vmcnt(0)
	ds_write_b32 v90, v109
	s_waitcnt lgkmcnt(0)
	; wave barrier
	s_waitcnt lgkmcnt(0)
	s_and_saveexec_b64 s[10:11], s[6:7]
	s_cbranch_execz .LBB107_96
; %bb.87:
	s_andn2_b64 vcc, exec, s[8:9]
	s_cbranch_vccnz .LBB107_89
; %bb.88:
	buffer_load_dword v109, v91, s[0:3], 0 offen
	ds_read_b32 v110, v90
	s_waitcnt vmcnt(0) lgkmcnt(0)
	v_mul_f32_e32 v109, v109, v110
	s_cbranch_execz .LBB107_90
	s_branch .LBB107_91
.LBB107_89:
                                        ; implicit-def: $vgpr109
.LBB107_90:
	ds_read_b32 v109, v90
.LBB107_91:
	s_and_saveexec_b64 s[12:13], s[4:5]
	s_cbranch_execz .LBB107_95
; %bb.92:
	v_subrev_u32_e32 v110, 34, v0
	s_movk_i32 s14, 0x138
	s_mov_b64 s[4:5], 0
.LBB107_93:                             ; =>This Inner Loop Header: Depth=1
	buffer_load_dword v111, v108, s[0:3], 0 offen
	v_mov_b32_e32 v112, s14
	ds_read_b32 v112, v112
	v_add_u32_e32 v110, -1, v110
	s_add_i32 s14, s14, 4
	v_cmp_eq_u32_e32 vcc, 0, v110
	v_add_u32_e32 v108, 4, v108
	s_or_b64 s[4:5], vcc, s[4:5]
	s_waitcnt vmcnt(0) lgkmcnt(0)
	v_fmac_f32_e32 v109, v111, v112
	s_andn2_b64 exec, exec, s[4:5]
	s_cbranch_execnz .LBB107_93
; %bb.94:
	s_or_b64 exec, exec, s[4:5]
.LBB107_95:
	s_or_b64 exec, exec, s[12:13]
	v_mov_b32_e32 v108, 0
	ds_read_b32 v108, v108 offset:132
	s_waitcnt lgkmcnt(0)
	v_mul_f32_e32 v108, v109, v108
	buffer_store_dword v108, off, s[0:3], 0 offset:132
.LBB107_96:
	s_or_b64 exec, exec, s[10:11]
	buffer_load_dword v108, off, s[0:3], 0 offset:128
	v_cmp_lt_u32_e64 s[4:5], 32, v0
	s_waitcnt vmcnt(0)
	ds_write_b32 v90, v108
	s_waitcnt lgkmcnt(0)
	; wave barrier
	s_waitcnt lgkmcnt(0)
	s_and_saveexec_b64 s[10:11], s[4:5]
	s_cbranch_execz .LBB107_106
; %bb.97:
	s_andn2_b64 vcc, exec, s[8:9]
	s_cbranch_vccnz .LBB107_99
; %bb.98:
	buffer_load_dword v108, v91, s[0:3], 0 offen
	ds_read_b32 v109, v90
	s_waitcnt vmcnt(0) lgkmcnt(0)
	v_mul_f32_e32 v108, v108, v109
	s_cbranch_execz .LBB107_100
	s_branch .LBB107_101
.LBB107_99:
                                        ; implicit-def: $vgpr108
.LBB107_100:
	ds_read_b32 v108, v90
.LBB107_101:
	s_and_saveexec_b64 s[12:13], s[6:7]
	s_cbranch_execz .LBB107_105
; %bb.102:
	v_mov_b32_e32 v109, 0
	v_add_u32_e32 v109, 0x84, v109
	v_subrev_u32_e32 v110, 33, v0
	s_movk_i32 s14, 0x134
	s_mov_b64 s[6:7], 0
.LBB107_103:                            ; =>This Inner Loop Header: Depth=1
	buffer_load_dword v111, v109, s[0:3], 0 offen
	v_mov_b32_e32 v112, s14
	ds_read_b32 v112, v112
	v_add_u32_e32 v110, -1, v110
	s_add_i32 s14, s14, 4
	v_cmp_eq_u32_e32 vcc, 0, v110
	v_add_u32_e32 v109, 4, v109
	s_or_b64 s[6:7], vcc, s[6:7]
	s_waitcnt vmcnt(0) lgkmcnt(0)
	v_fmac_f32_e32 v108, v111, v112
	s_andn2_b64 exec, exec, s[6:7]
	s_cbranch_execnz .LBB107_103
; %bb.104:
	s_or_b64 exec, exec, s[6:7]
.LBB107_105:
	s_or_b64 exec, exec, s[12:13]
	v_mov_b32_e32 v109, 0
	ds_read_b32 v109, v109 offset:128
	s_waitcnt lgkmcnt(0)
	v_mul_f32_e32 v108, v108, v109
	buffer_store_dword v108, off, s[0:3], 0 offset:128
.LBB107_106:
	s_or_b64 exec, exec, s[10:11]
	buffer_load_dword v108, off, s[0:3], 0 offset:124
	v_cmp_lt_u32_e64 s[6:7], 31, v0
	s_waitcnt vmcnt(0)
	ds_write_b32 v90, v108
	s_waitcnt lgkmcnt(0)
	; wave barrier
	s_waitcnt lgkmcnt(0)
	s_and_saveexec_b64 s[10:11], s[6:7]
	s_cbranch_execz .LBB107_116
; %bb.107:
	s_andn2_b64 vcc, exec, s[8:9]
	s_cbranch_vccnz .LBB107_109
; %bb.108:
	buffer_load_dword v108, v91, s[0:3], 0 offen
	ds_read_b32 v109, v90
	s_waitcnt vmcnt(0) lgkmcnt(0)
	v_mul_f32_e32 v108, v108, v109
	s_cbranch_execz .LBB107_110
	s_branch .LBB107_111
.LBB107_109:
                                        ; implicit-def: $vgpr108
.LBB107_110:
	ds_read_b32 v108, v90
.LBB107_111:
	s_and_saveexec_b64 s[12:13], s[4:5]
	s_cbranch_execz .LBB107_115
; %bb.112:
	v_subrev_u32_e32 v109, 32, v0
	s_movk_i32 s14, 0x130
	s_mov_b64 s[4:5], 0
.LBB107_113:                            ; =>This Inner Loop Header: Depth=1
	buffer_load_dword v110, v107, s[0:3], 0 offen
	v_mov_b32_e32 v111, s14
	ds_read_b32 v111, v111
	v_add_u32_e32 v109, -1, v109
	s_add_i32 s14, s14, 4
	v_cmp_eq_u32_e32 vcc, 0, v109
	v_add_u32_e32 v107, 4, v107
	s_or_b64 s[4:5], vcc, s[4:5]
	s_waitcnt vmcnt(0) lgkmcnt(0)
	v_fmac_f32_e32 v108, v110, v111
	s_andn2_b64 exec, exec, s[4:5]
	s_cbranch_execnz .LBB107_113
; %bb.114:
	s_or_b64 exec, exec, s[4:5]
.LBB107_115:
	s_or_b64 exec, exec, s[12:13]
	v_mov_b32_e32 v107, 0
	ds_read_b32 v107, v107 offset:124
	s_waitcnt lgkmcnt(0)
	v_mul_f32_e32 v107, v108, v107
	buffer_store_dword v107, off, s[0:3], 0 offset:124
.LBB107_116:
	s_or_b64 exec, exec, s[10:11]
	buffer_load_dword v107, off, s[0:3], 0 offset:120
	v_cmp_lt_u32_e64 s[4:5], 30, v0
	s_waitcnt vmcnt(0)
	ds_write_b32 v90, v107
	s_waitcnt lgkmcnt(0)
	; wave barrier
	s_waitcnt lgkmcnt(0)
	s_and_saveexec_b64 s[10:11], s[4:5]
	s_cbranch_execz .LBB107_126
; %bb.117:
	s_andn2_b64 vcc, exec, s[8:9]
	s_cbranch_vccnz .LBB107_119
; %bb.118:
	buffer_load_dword v107, v91, s[0:3], 0 offen
	ds_read_b32 v108, v90
	s_waitcnt vmcnt(0) lgkmcnt(0)
	v_mul_f32_e32 v107, v107, v108
	s_cbranch_execz .LBB107_120
	s_branch .LBB107_121
.LBB107_119:
                                        ; implicit-def: $vgpr107
.LBB107_120:
	ds_read_b32 v107, v90
.LBB107_121:
	s_and_saveexec_b64 s[12:13], s[6:7]
	s_cbranch_execz .LBB107_125
; %bb.122:
	v_mov_b32_e32 v108, 0
	v_add_u32_e32 v108, 0x7c, v108
	v_subrev_u32_e32 v109, 31, v0
	s_movk_i32 s14, 0x12c
	s_mov_b64 s[6:7], 0
.LBB107_123:                            ; =>This Inner Loop Header: Depth=1
	buffer_load_dword v110, v108, s[0:3], 0 offen
	v_mov_b32_e32 v111, s14
	ds_read_b32 v111, v111
	v_add_u32_e32 v109, -1, v109
	s_add_i32 s14, s14, 4
	v_cmp_eq_u32_e32 vcc, 0, v109
	v_add_u32_e32 v108, 4, v108
	s_or_b64 s[6:7], vcc, s[6:7]
	s_waitcnt vmcnt(0) lgkmcnt(0)
	v_fmac_f32_e32 v107, v110, v111
	s_andn2_b64 exec, exec, s[6:7]
	s_cbranch_execnz .LBB107_123
; %bb.124:
	s_or_b64 exec, exec, s[6:7]
.LBB107_125:
	s_or_b64 exec, exec, s[12:13]
	v_mov_b32_e32 v108, 0
	ds_read_b32 v108, v108 offset:120
	s_waitcnt lgkmcnt(0)
	v_mul_f32_e32 v107, v107, v108
	buffer_store_dword v107, off, s[0:3], 0 offset:120
.LBB107_126:
	s_or_b64 exec, exec, s[10:11]
	buffer_load_dword v107, off, s[0:3], 0 offset:116
	v_cmp_lt_u32_e64 s[6:7], 29, v0
	s_waitcnt vmcnt(0)
	ds_write_b32 v90, v107
	s_waitcnt lgkmcnt(0)
	; wave barrier
	s_waitcnt lgkmcnt(0)
	s_and_saveexec_b64 s[10:11], s[6:7]
	s_cbranch_execz .LBB107_136
; %bb.127:
	s_andn2_b64 vcc, exec, s[8:9]
	s_cbranch_vccnz .LBB107_129
; %bb.128:
	buffer_load_dword v107, v91, s[0:3], 0 offen
	ds_read_b32 v108, v90
	s_waitcnt vmcnt(0) lgkmcnt(0)
	v_mul_f32_e32 v107, v107, v108
	s_cbranch_execz .LBB107_130
	s_branch .LBB107_131
.LBB107_129:
                                        ; implicit-def: $vgpr107
.LBB107_130:
	ds_read_b32 v107, v90
.LBB107_131:
	s_and_saveexec_b64 s[12:13], s[4:5]
	s_cbranch_execz .LBB107_135
; %bb.132:
	v_subrev_u32_e32 v108, 30, v0
	s_movk_i32 s14, 0x128
	s_mov_b64 s[4:5], 0
.LBB107_133:                            ; =>This Inner Loop Header: Depth=1
	buffer_load_dword v109, v106, s[0:3], 0 offen
	v_mov_b32_e32 v110, s14
	ds_read_b32 v110, v110
	v_add_u32_e32 v108, -1, v108
	s_add_i32 s14, s14, 4
	v_cmp_eq_u32_e32 vcc, 0, v108
	v_add_u32_e32 v106, 4, v106
	s_or_b64 s[4:5], vcc, s[4:5]
	s_waitcnt vmcnt(0) lgkmcnt(0)
	v_fmac_f32_e32 v107, v109, v110
	s_andn2_b64 exec, exec, s[4:5]
	s_cbranch_execnz .LBB107_133
; %bb.134:
	s_or_b64 exec, exec, s[4:5]
.LBB107_135:
	s_or_b64 exec, exec, s[12:13]
	v_mov_b32_e32 v106, 0
	ds_read_b32 v106, v106 offset:116
	s_waitcnt lgkmcnt(0)
	v_mul_f32_e32 v106, v107, v106
	buffer_store_dword v106, off, s[0:3], 0 offset:116
.LBB107_136:
	s_or_b64 exec, exec, s[10:11]
	buffer_load_dword v106, off, s[0:3], 0 offset:112
	v_cmp_lt_u32_e64 s[4:5], 28, v0
	s_waitcnt vmcnt(0)
	ds_write_b32 v90, v106
	s_waitcnt lgkmcnt(0)
	; wave barrier
	s_waitcnt lgkmcnt(0)
	s_and_saveexec_b64 s[10:11], s[4:5]
	s_cbranch_execz .LBB107_146
; %bb.137:
	s_andn2_b64 vcc, exec, s[8:9]
	s_cbranch_vccnz .LBB107_139
; %bb.138:
	buffer_load_dword v106, v91, s[0:3], 0 offen
	ds_read_b32 v107, v90
	s_waitcnt vmcnt(0) lgkmcnt(0)
	v_mul_f32_e32 v106, v106, v107
	s_cbranch_execz .LBB107_140
	s_branch .LBB107_141
.LBB107_139:
                                        ; implicit-def: $vgpr106
.LBB107_140:
	ds_read_b32 v106, v90
.LBB107_141:
	s_and_saveexec_b64 s[12:13], s[6:7]
	s_cbranch_execz .LBB107_145
; %bb.142:
	v_mov_b32_e32 v107, 0
	v_add_u32_e32 v107, 0x74, v107
	v_subrev_u32_e32 v108, 29, v0
	s_movk_i32 s14, 0x124
	s_mov_b64 s[6:7], 0
.LBB107_143:                            ; =>This Inner Loop Header: Depth=1
	buffer_load_dword v109, v107, s[0:3], 0 offen
	v_mov_b32_e32 v110, s14
	ds_read_b32 v110, v110
	v_add_u32_e32 v108, -1, v108
	s_add_i32 s14, s14, 4
	v_cmp_eq_u32_e32 vcc, 0, v108
	v_add_u32_e32 v107, 4, v107
	s_or_b64 s[6:7], vcc, s[6:7]
	s_waitcnt vmcnt(0) lgkmcnt(0)
	v_fmac_f32_e32 v106, v109, v110
	s_andn2_b64 exec, exec, s[6:7]
	s_cbranch_execnz .LBB107_143
; %bb.144:
	s_or_b64 exec, exec, s[6:7]
.LBB107_145:
	s_or_b64 exec, exec, s[12:13]
	v_mov_b32_e32 v107, 0
	ds_read_b32 v107, v107 offset:112
	s_waitcnt lgkmcnt(0)
	v_mul_f32_e32 v106, v106, v107
	buffer_store_dword v106, off, s[0:3], 0 offset:112
.LBB107_146:
	s_or_b64 exec, exec, s[10:11]
	buffer_load_dword v106, off, s[0:3], 0 offset:108
	v_cmp_lt_u32_e64 s[6:7], 27, v0
	s_waitcnt vmcnt(0)
	ds_write_b32 v90, v106
	s_waitcnt lgkmcnt(0)
	; wave barrier
	s_waitcnt lgkmcnt(0)
	s_and_saveexec_b64 s[10:11], s[6:7]
	s_cbranch_execz .LBB107_156
; %bb.147:
	s_andn2_b64 vcc, exec, s[8:9]
	s_cbranch_vccnz .LBB107_149
; %bb.148:
	buffer_load_dword v106, v91, s[0:3], 0 offen
	ds_read_b32 v107, v90
	s_waitcnt vmcnt(0) lgkmcnt(0)
	v_mul_f32_e32 v106, v106, v107
	s_cbranch_execz .LBB107_150
	s_branch .LBB107_151
.LBB107_149:
                                        ; implicit-def: $vgpr106
.LBB107_150:
	ds_read_b32 v106, v90
.LBB107_151:
	s_and_saveexec_b64 s[12:13], s[4:5]
	s_cbranch_execz .LBB107_155
; %bb.152:
	v_subrev_u32_e32 v107, 28, v0
	s_movk_i32 s14, 0x120
	s_mov_b64 s[4:5], 0
.LBB107_153:                            ; =>This Inner Loop Header: Depth=1
	buffer_load_dword v108, v105, s[0:3], 0 offen
	v_mov_b32_e32 v109, s14
	ds_read_b32 v109, v109
	v_add_u32_e32 v107, -1, v107
	s_add_i32 s14, s14, 4
	v_cmp_eq_u32_e32 vcc, 0, v107
	v_add_u32_e32 v105, 4, v105
	s_or_b64 s[4:5], vcc, s[4:5]
	s_waitcnt vmcnt(0) lgkmcnt(0)
	v_fmac_f32_e32 v106, v108, v109
	s_andn2_b64 exec, exec, s[4:5]
	s_cbranch_execnz .LBB107_153
; %bb.154:
	s_or_b64 exec, exec, s[4:5]
.LBB107_155:
	s_or_b64 exec, exec, s[12:13]
	v_mov_b32_e32 v105, 0
	ds_read_b32 v105, v105 offset:108
	s_waitcnt lgkmcnt(0)
	v_mul_f32_e32 v105, v106, v105
	buffer_store_dword v105, off, s[0:3], 0 offset:108
.LBB107_156:
	s_or_b64 exec, exec, s[10:11]
	buffer_load_dword v105, off, s[0:3], 0 offset:104
	v_cmp_lt_u32_e64 s[4:5], 26, v0
	s_waitcnt vmcnt(0)
	ds_write_b32 v90, v105
	s_waitcnt lgkmcnt(0)
	; wave barrier
	s_waitcnt lgkmcnt(0)
	s_and_saveexec_b64 s[10:11], s[4:5]
	s_cbranch_execz .LBB107_166
; %bb.157:
	s_andn2_b64 vcc, exec, s[8:9]
	s_cbranch_vccnz .LBB107_159
; %bb.158:
	buffer_load_dword v105, v91, s[0:3], 0 offen
	ds_read_b32 v106, v90
	s_waitcnt vmcnt(0) lgkmcnt(0)
	v_mul_f32_e32 v105, v105, v106
	s_cbranch_execz .LBB107_160
	s_branch .LBB107_161
.LBB107_159:
                                        ; implicit-def: $vgpr105
.LBB107_160:
	ds_read_b32 v105, v90
.LBB107_161:
	s_and_saveexec_b64 s[12:13], s[6:7]
	s_cbranch_execz .LBB107_165
; %bb.162:
	v_mov_b32_e32 v106, 0
	v_add_u32_e32 v106, 0x6c, v106
	v_subrev_u32_e32 v107, 27, v0
	s_movk_i32 s14, 0x11c
	s_mov_b64 s[6:7], 0
.LBB107_163:                            ; =>This Inner Loop Header: Depth=1
	buffer_load_dword v108, v106, s[0:3], 0 offen
	v_mov_b32_e32 v109, s14
	ds_read_b32 v109, v109
	v_add_u32_e32 v107, -1, v107
	s_add_i32 s14, s14, 4
	v_cmp_eq_u32_e32 vcc, 0, v107
	v_add_u32_e32 v106, 4, v106
	s_or_b64 s[6:7], vcc, s[6:7]
	s_waitcnt vmcnt(0) lgkmcnt(0)
	v_fmac_f32_e32 v105, v108, v109
	s_andn2_b64 exec, exec, s[6:7]
	s_cbranch_execnz .LBB107_163
; %bb.164:
	s_or_b64 exec, exec, s[6:7]
.LBB107_165:
	s_or_b64 exec, exec, s[12:13]
	v_mov_b32_e32 v106, 0
	ds_read_b32 v106, v106 offset:104
	s_waitcnt lgkmcnt(0)
	v_mul_f32_e32 v105, v105, v106
	buffer_store_dword v105, off, s[0:3], 0 offset:104
.LBB107_166:
	s_or_b64 exec, exec, s[10:11]
	buffer_load_dword v105, off, s[0:3], 0 offset:100
	v_cmp_lt_u32_e64 s[6:7], 25, v0
	s_waitcnt vmcnt(0)
	ds_write_b32 v90, v105
	s_waitcnt lgkmcnt(0)
	; wave barrier
	s_waitcnt lgkmcnt(0)
	s_and_saveexec_b64 s[10:11], s[6:7]
	s_cbranch_execz .LBB107_176
; %bb.167:
	s_andn2_b64 vcc, exec, s[8:9]
	s_cbranch_vccnz .LBB107_169
; %bb.168:
	buffer_load_dword v105, v91, s[0:3], 0 offen
	ds_read_b32 v106, v90
	s_waitcnt vmcnt(0) lgkmcnt(0)
	v_mul_f32_e32 v105, v105, v106
	s_cbranch_execz .LBB107_170
	s_branch .LBB107_171
.LBB107_169:
                                        ; implicit-def: $vgpr105
.LBB107_170:
	ds_read_b32 v105, v90
.LBB107_171:
	s_and_saveexec_b64 s[12:13], s[4:5]
	s_cbranch_execz .LBB107_175
; %bb.172:
	v_subrev_u32_e32 v106, 26, v0
	s_movk_i32 s14, 0x118
	s_mov_b64 s[4:5], 0
.LBB107_173:                            ; =>This Inner Loop Header: Depth=1
	buffer_load_dword v107, v104, s[0:3], 0 offen
	v_mov_b32_e32 v108, s14
	ds_read_b32 v108, v108
	v_add_u32_e32 v106, -1, v106
	s_add_i32 s14, s14, 4
	v_cmp_eq_u32_e32 vcc, 0, v106
	v_add_u32_e32 v104, 4, v104
	s_or_b64 s[4:5], vcc, s[4:5]
	s_waitcnt vmcnt(0) lgkmcnt(0)
	v_fmac_f32_e32 v105, v107, v108
	s_andn2_b64 exec, exec, s[4:5]
	s_cbranch_execnz .LBB107_173
; %bb.174:
	s_or_b64 exec, exec, s[4:5]
.LBB107_175:
	s_or_b64 exec, exec, s[12:13]
	v_mov_b32_e32 v104, 0
	ds_read_b32 v104, v104 offset:100
	s_waitcnt lgkmcnt(0)
	v_mul_f32_e32 v104, v105, v104
	buffer_store_dword v104, off, s[0:3], 0 offset:100
.LBB107_176:
	s_or_b64 exec, exec, s[10:11]
	buffer_load_dword v104, off, s[0:3], 0 offset:96
	v_cmp_lt_u32_e64 s[4:5], 24, v0
	s_waitcnt vmcnt(0)
	ds_write_b32 v90, v104
	s_waitcnt lgkmcnt(0)
	; wave barrier
	s_waitcnt lgkmcnt(0)
	s_and_saveexec_b64 s[10:11], s[4:5]
	s_cbranch_execz .LBB107_186
; %bb.177:
	s_andn2_b64 vcc, exec, s[8:9]
	s_cbranch_vccnz .LBB107_179
; %bb.178:
	buffer_load_dword v104, v91, s[0:3], 0 offen
	ds_read_b32 v105, v90
	s_waitcnt vmcnt(0) lgkmcnt(0)
	v_mul_f32_e32 v104, v104, v105
	s_cbranch_execz .LBB107_180
	s_branch .LBB107_181
.LBB107_179:
                                        ; implicit-def: $vgpr104
.LBB107_180:
	ds_read_b32 v104, v90
.LBB107_181:
	s_and_saveexec_b64 s[12:13], s[6:7]
	s_cbranch_execz .LBB107_185
; %bb.182:
	v_mov_b32_e32 v105, 0
	v_add_u32_e32 v105, 0x64, v105
	v_subrev_u32_e32 v106, 25, v0
	s_movk_i32 s14, 0x114
	s_mov_b64 s[6:7], 0
.LBB107_183:                            ; =>This Inner Loop Header: Depth=1
	buffer_load_dword v107, v105, s[0:3], 0 offen
	v_mov_b32_e32 v108, s14
	ds_read_b32 v108, v108
	v_add_u32_e32 v106, -1, v106
	s_add_i32 s14, s14, 4
	v_cmp_eq_u32_e32 vcc, 0, v106
	v_add_u32_e32 v105, 4, v105
	s_or_b64 s[6:7], vcc, s[6:7]
	s_waitcnt vmcnt(0) lgkmcnt(0)
	v_fmac_f32_e32 v104, v107, v108
	s_andn2_b64 exec, exec, s[6:7]
	s_cbranch_execnz .LBB107_183
; %bb.184:
	s_or_b64 exec, exec, s[6:7]
.LBB107_185:
	s_or_b64 exec, exec, s[12:13]
	v_mov_b32_e32 v105, 0
	ds_read_b32 v105, v105 offset:96
	s_waitcnt lgkmcnt(0)
	v_mul_f32_e32 v104, v104, v105
	buffer_store_dword v104, off, s[0:3], 0 offset:96
.LBB107_186:
	s_or_b64 exec, exec, s[10:11]
	buffer_load_dword v104, off, s[0:3], 0 offset:92
	v_cmp_lt_u32_e64 s[6:7], 23, v0
	s_waitcnt vmcnt(0)
	ds_write_b32 v90, v104
	s_waitcnt lgkmcnt(0)
	; wave barrier
	s_waitcnt lgkmcnt(0)
	s_and_saveexec_b64 s[10:11], s[6:7]
	s_cbranch_execz .LBB107_196
; %bb.187:
	s_andn2_b64 vcc, exec, s[8:9]
	s_cbranch_vccnz .LBB107_189
; %bb.188:
	buffer_load_dword v104, v91, s[0:3], 0 offen
	ds_read_b32 v105, v90
	s_waitcnt vmcnt(0) lgkmcnt(0)
	v_mul_f32_e32 v104, v104, v105
	s_cbranch_execz .LBB107_190
	s_branch .LBB107_191
.LBB107_189:
                                        ; implicit-def: $vgpr104
.LBB107_190:
	ds_read_b32 v104, v90
.LBB107_191:
	s_and_saveexec_b64 s[12:13], s[4:5]
	s_cbranch_execz .LBB107_195
; %bb.192:
	v_subrev_u32_e32 v105, 24, v0
	s_movk_i32 s14, 0x110
	s_mov_b64 s[4:5], 0
.LBB107_193:                            ; =>This Inner Loop Header: Depth=1
	buffer_load_dword v106, v103, s[0:3], 0 offen
	v_mov_b32_e32 v107, s14
	ds_read_b32 v107, v107
	v_add_u32_e32 v105, -1, v105
	s_add_i32 s14, s14, 4
	v_cmp_eq_u32_e32 vcc, 0, v105
	v_add_u32_e32 v103, 4, v103
	s_or_b64 s[4:5], vcc, s[4:5]
	s_waitcnt vmcnt(0) lgkmcnt(0)
	v_fmac_f32_e32 v104, v106, v107
	s_andn2_b64 exec, exec, s[4:5]
	s_cbranch_execnz .LBB107_193
; %bb.194:
	s_or_b64 exec, exec, s[4:5]
.LBB107_195:
	s_or_b64 exec, exec, s[12:13]
	v_mov_b32_e32 v103, 0
	ds_read_b32 v103, v103 offset:92
	s_waitcnt lgkmcnt(0)
	v_mul_f32_e32 v103, v104, v103
	buffer_store_dword v103, off, s[0:3], 0 offset:92
.LBB107_196:
	s_or_b64 exec, exec, s[10:11]
	buffer_load_dword v103, off, s[0:3], 0 offset:88
	v_cmp_lt_u32_e64 s[4:5], 22, v0
	s_waitcnt vmcnt(0)
	ds_write_b32 v90, v103
	s_waitcnt lgkmcnt(0)
	; wave barrier
	s_waitcnt lgkmcnt(0)
	s_and_saveexec_b64 s[10:11], s[4:5]
	s_cbranch_execz .LBB107_206
; %bb.197:
	s_andn2_b64 vcc, exec, s[8:9]
	s_cbranch_vccnz .LBB107_199
; %bb.198:
	buffer_load_dword v103, v91, s[0:3], 0 offen
	ds_read_b32 v104, v90
	s_waitcnt vmcnt(0) lgkmcnt(0)
	v_mul_f32_e32 v103, v103, v104
	s_cbranch_execz .LBB107_200
	s_branch .LBB107_201
.LBB107_199:
                                        ; implicit-def: $vgpr103
.LBB107_200:
	ds_read_b32 v103, v90
.LBB107_201:
	s_and_saveexec_b64 s[12:13], s[6:7]
	s_cbranch_execz .LBB107_205
; %bb.202:
	v_mov_b32_e32 v104, 0
	v_add_u32_e32 v104, 0x5c, v104
	v_subrev_u32_e32 v105, 23, v0
	s_movk_i32 s14, 0x10c
	s_mov_b64 s[6:7], 0
.LBB107_203:                            ; =>This Inner Loop Header: Depth=1
	buffer_load_dword v106, v104, s[0:3], 0 offen
	v_mov_b32_e32 v107, s14
	ds_read_b32 v107, v107
	v_add_u32_e32 v105, -1, v105
	s_add_i32 s14, s14, 4
	v_cmp_eq_u32_e32 vcc, 0, v105
	v_add_u32_e32 v104, 4, v104
	s_or_b64 s[6:7], vcc, s[6:7]
	s_waitcnt vmcnt(0) lgkmcnt(0)
	v_fmac_f32_e32 v103, v106, v107
	s_andn2_b64 exec, exec, s[6:7]
	s_cbranch_execnz .LBB107_203
; %bb.204:
	s_or_b64 exec, exec, s[6:7]
.LBB107_205:
	s_or_b64 exec, exec, s[12:13]
	v_mov_b32_e32 v104, 0
	ds_read_b32 v104, v104 offset:88
	s_waitcnt lgkmcnt(0)
	v_mul_f32_e32 v103, v103, v104
	buffer_store_dword v103, off, s[0:3], 0 offset:88
.LBB107_206:
	s_or_b64 exec, exec, s[10:11]
	buffer_load_dword v103, off, s[0:3], 0 offset:84
	v_cmp_lt_u32_e64 s[6:7], 21, v0
	s_waitcnt vmcnt(0)
	ds_write_b32 v90, v103
	s_waitcnt lgkmcnt(0)
	; wave barrier
	s_waitcnt lgkmcnt(0)
	s_and_saveexec_b64 s[10:11], s[6:7]
	s_cbranch_execz .LBB107_216
; %bb.207:
	s_andn2_b64 vcc, exec, s[8:9]
	s_cbranch_vccnz .LBB107_209
; %bb.208:
	buffer_load_dword v103, v91, s[0:3], 0 offen
	ds_read_b32 v104, v90
	s_waitcnt vmcnt(0) lgkmcnt(0)
	v_mul_f32_e32 v103, v103, v104
	s_cbranch_execz .LBB107_210
	s_branch .LBB107_211
.LBB107_209:
                                        ; implicit-def: $vgpr103
.LBB107_210:
	ds_read_b32 v103, v90
.LBB107_211:
	s_and_saveexec_b64 s[12:13], s[4:5]
	s_cbranch_execz .LBB107_215
; %bb.212:
	v_subrev_u32_e32 v104, 22, v0
	s_movk_i32 s14, 0x108
	s_mov_b64 s[4:5], 0
.LBB107_213:                            ; =>This Inner Loop Header: Depth=1
	buffer_load_dword v105, v102, s[0:3], 0 offen
	v_mov_b32_e32 v106, s14
	ds_read_b32 v106, v106
	v_add_u32_e32 v104, -1, v104
	s_add_i32 s14, s14, 4
	v_cmp_eq_u32_e32 vcc, 0, v104
	v_add_u32_e32 v102, 4, v102
	s_or_b64 s[4:5], vcc, s[4:5]
	s_waitcnt vmcnt(0) lgkmcnt(0)
	v_fmac_f32_e32 v103, v105, v106
	s_andn2_b64 exec, exec, s[4:5]
	s_cbranch_execnz .LBB107_213
; %bb.214:
	s_or_b64 exec, exec, s[4:5]
.LBB107_215:
	s_or_b64 exec, exec, s[12:13]
	v_mov_b32_e32 v102, 0
	ds_read_b32 v102, v102 offset:84
	s_waitcnt lgkmcnt(0)
	v_mul_f32_e32 v102, v103, v102
	buffer_store_dword v102, off, s[0:3], 0 offset:84
.LBB107_216:
	s_or_b64 exec, exec, s[10:11]
	buffer_load_dword v102, off, s[0:3], 0 offset:80
	v_cmp_lt_u32_e64 s[4:5], 20, v0
	s_waitcnt vmcnt(0)
	ds_write_b32 v90, v102
	s_waitcnt lgkmcnt(0)
	; wave barrier
	s_waitcnt lgkmcnt(0)
	s_and_saveexec_b64 s[10:11], s[4:5]
	s_cbranch_execz .LBB107_226
; %bb.217:
	s_andn2_b64 vcc, exec, s[8:9]
	s_cbranch_vccnz .LBB107_219
; %bb.218:
	buffer_load_dword v102, v91, s[0:3], 0 offen
	ds_read_b32 v103, v90
	s_waitcnt vmcnt(0) lgkmcnt(0)
	v_mul_f32_e32 v102, v102, v103
	s_cbranch_execz .LBB107_220
	s_branch .LBB107_221
.LBB107_219:
                                        ; implicit-def: $vgpr102
.LBB107_220:
	ds_read_b32 v102, v90
.LBB107_221:
	s_and_saveexec_b64 s[12:13], s[6:7]
	s_cbranch_execz .LBB107_225
; %bb.222:
	v_mov_b32_e32 v103, 0
	v_add_u32_e32 v103, 0x54, v103
	v_subrev_u32_e32 v104, 21, v0
	s_movk_i32 s14, 0x104
	s_mov_b64 s[6:7], 0
.LBB107_223:                            ; =>This Inner Loop Header: Depth=1
	buffer_load_dword v105, v103, s[0:3], 0 offen
	v_mov_b32_e32 v106, s14
	ds_read_b32 v106, v106
	v_add_u32_e32 v104, -1, v104
	s_add_i32 s14, s14, 4
	v_cmp_eq_u32_e32 vcc, 0, v104
	v_add_u32_e32 v103, 4, v103
	s_or_b64 s[6:7], vcc, s[6:7]
	s_waitcnt vmcnt(0) lgkmcnt(0)
	v_fmac_f32_e32 v102, v105, v106
	s_andn2_b64 exec, exec, s[6:7]
	s_cbranch_execnz .LBB107_223
; %bb.224:
	s_or_b64 exec, exec, s[6:7]
.LBB107_225:
	s_or_b64 exec, exec, s[12:13]
	v_mov_b32_e32 v103, 0
	ds_read_b32 v103, v103 offset:80
	s_waitcnt lgkmcnt(0)
	v_mul_f32_e32 v102, v102, v103
	buffer_store_dword v102, off, s[0:3], 0 offset:80
.LBB107_226:
	s_or_b64 exec, exec, s[10:11]
	buffer_load_dword v102, off, s[0:3], 0 offset:76
	v_cmp_lt_u32_e64 s[6:7], 19, v0
	s_waitcnt vmcnt(0)
	ds_write_b32 v90, v102
	s_waitcnt lgkmcnt(0)
	; wave barrier
	s_waitcnt lgkmcnt(0)
	s_and_saveexec_b64 s[10:11], s[6:7]
	s_cbranch_execz .LBB107_236
; %bb.227:
	s_andn2_b64 vcc, exec, s[8:9]
	s_cbranch_vccnz .LBB107_229
; %bb.228:
	buffer_load_dword v102, v91, s[0:3], 0 offen
	ds_read_b32 v103, v90
	s_waitcnt vmcnt(0) lgkmcnt(0)
	v_mul_f32_e32 v102, v102, v103
	s_cbranch_execz .LBB107_230
	s_branch .LBB107_231
.LBB107_229:
                                        ; implicit-def: $vgpr102
.LBB107_230:
	ds_read_b32 v102, v90
.LBB107_231:
	s_and_saveexec_b64 s[12:13], s[4:5]
	s_cbranch_execz .LBB107_235
; %bb.232:
	v_subrev_u32_e32 v103, 20, v0
	s_movk_i32 s14, 0x100
	s_mov_b64 s[4:5], 0
.LBB107_233:                            ; =>This Inner Loop Header: Depth=1
	buffer_load_dword v104, v101, s[0:3], 0 offen
	v_mov_b32_e32 v105, s14
	ds_read_b32 v105, v105
	v_add_u32_e32 v103, -1, v103
	s_add_i32 s14, s14, 4
	v_cmp_eq_u32_e32 vcc, 0, v103
	v_add_u32_e32 v101, 4, v101
	s_or_b64 s[4:5], vcc, s[4:5]
	s_waitcnt vmcnt(0) lgkmcnt(0)
	v_fmac_f32_e32 v102, v104, v105
	s_andn2_b64 exec, exec, s[4:5]
	s_cbranch_execnz .LBB107_233
; %bb.234:
	s_or_b64 exec, exec, s[4:5]
.LBB107_235:
	s_or_b64 exec, exec, s[12:13]
	v_mov_b32_e32 v101, 0
	ds_read_b32 v101, v101 offset:76
	s_waitcnt lgkmcnt(0)
	v_mul_f32_e32 v101, v102, v101
	buffer_store_dword v101, off, s[0:3], 0 offset:76
.LBB107_236:
	s_or_b64 exec, exec, s[10:11]
	buffer_load_dword v101, off, s[0:3], 0 offset:72
	v_cmp_lt_u32_e64 s[4:5], 18, v0
	s_waitcnt vmcnt(0)
	ds_write_b32 v90, v101
	s_waitcnt lgkmcnt(0)
	; wave barrier
	s_waitcnt lgkmcnt(0)
	s_and_saveexec_b64 s[10:11], s[4:5]
	s_cbranch_execz .LBB107_246
; %bb.237:
	s_andn2_b64 vcc, exec, s[8:9]
	s_cbranch_vccnz .LBB107_239
; %bb.238:
	buffer_load_dword v101, v91, s[0:3], 0 offen
	ds_read_b32 v102, v90
	s_waitcnt vmcnt(0) lgkmcnt(0)
	v_mul_f32_e32 v101, v101, v102
	s_cbranch_execz .LBB107_240
	s_branch .LBB107_241
.LBB107_239:
                                        ; implicit-def: $vgpr101
.LBB107_240:
	ds_read_b32 v101, v90
.LBB107_241:
	s_and_saveexec_b64 s[12:13], s[6:7]
	s_cbranch_execz .LBB107_245
; %bb.242:
	v_mov_b32_e32 v102, 0
	v_add_u32_e32 v102, 0x4c, v102
	v_subrev_u32_e32 v103, 19, v0
	s_movk_i32 s14, 0xfc
	s_mov_b64 s[6:7], 0
.LBB107_243:                            ; =>This Inner Loop Header: Depth=1
	buffer_load_dword v104, v102, s[0:3], 0 offen
	v_mov_b32_e32 v105, s14
	ds_read_b32 v105, v105
	v_add_u32_e32 v103, -1, v103
	s_add_i32 s14, s14, 4
	v_cmp_eq_u32_e32 vcc, 0, v103
	v_add_u32_e32 v102, 4, v102
	s_or_b64 s[6:7], vcc, s[6:7]
	s_waitcnt vmcnt(0) lgkmcnt(0)
	v_fmac_f32_e32 v101, v104, v105
	s_andn2_b64 exec, exec, s[6:7]
	s_cbranch_execnz .LBB107_243
; %bb.244:
	s_or_b64 exec, exec, s[6:7]
.LBB107_245:
	s_or_b64 exec, exec, s[12:13]
	v_mov_b32_e32 v102, 0
	ds_read_b32 v102, v102 offset:72
	s_waitcnt lgkmcnt(0)
	v_mul_f32_e32 v101, v101, v102
	buffer_store_dword v101, off, s[0:3], 0 offset:72
.LBB107_246:
	s_or_b64 exec, exec, s[10:11]
	buffer_load_dword v101, off, s[0:3], 0 offset:68
	v_cmp_lt_u32_e64 s[6:7], 17, v0
	s_waitcnt vmcnt(0)
	ds_write_b32 v90, v101
	s_waitcnt lgkmcnt(0)
	; wave barrier
	s_waitcnt lgkmcnt(0)
	s_and_saveexec_b64 s[10:11], s[6:7]
	s_cbranch_execz .LBB107_256
; %bb.247:
	s_andn2_b64 vcc, exec, s[8:9]
	s_cbranch_vccnz .LBB107_249
; %bb.248:
	buffer_load_dword v101, v91, s[0:3], 0 offen
	ds_read_b32 v102, v90
	s_waitcnt vmcnt(0) lgkmcnt(0)
	v_mul_f32_e32 v101, v101, v102
	s_cbranch_execz .LBB107_250
	s_branch .LBB107_251
.LBB107_249:
                                        ; implicit-def: $vgpr101
.LBB107_250:
	ds_read_b32 v101, v90
.LBB107_251:
	s_and_saveexec_b64 s[12:13], s[4:5]
	s_cbranch_execz .LBB107_255
; %bb.252:
	v_subrev_u32_e32 v102, 18, v0
	s_movk_i32 s14, 0xf8
	s_mov_b64 s[4:5], 0
.LBB107_253:                            ; =>This Inner Loop Header: Depth=1
	buffer_load_dword v103, v100, s[0:3], 0 offen
	v_mov_b32_e32 v104, s14
	ds_read_b32 v104, v104
	v_add_u32_e32 v102, -1, v102
	s_add_i32 s14, s14, 4
	v_cmp_eq_u32_e32 vcc, 0, v102
	v_add_u32_e32 v100, 4, v100
	s_or_b64 s[4:5], vcc, s[4:5]
	s_waitcnt vmcnt(0) lgkmcnt(0)
	v_fmac_f32_e32 v101, v103, v104
	s_andn2_b64 exec, exec, s[4:5]
	s_cbranch_execnz .LBB107_253
; %bb.254:
	s_or_b64 exec, exec, s[4:5]
.LBB107_255:
	s_or_b64 exec, exec, s[12:13]
	v_mov_b32_e32 v100, 0
	ds_read_b32 v100, v100 offset:68
	s_waitcnt lgkmcnt(0)
	v_mul_f32_e32 v100, v101, v100
	buffer_store_dword v100, off, s[0:3], 0 offset:68
.LBB107_256:
	s_or_b64 exec, exec, s[10:11]
	buffer_load_dword v100, off, s[0:3], 0 offset:64
	v_cmp_lt_u32_e64 s[4:5], 16, v0
	s_waitcnt vmcnt(0)
	ds_write_b32 v90, v100
	s_waitcnt lgkmcnt(0)
	; wave barrier
	s_waitcnt lgkmcnt(0)
	s_and_saveexec_b64 s[10:11], s[4:5]
	s_cbranch_execz .LBB107_266
; %bb.257:
	s_andn2_b64 vcc, exec, s[8:9]
	s_cbranch_vccnz .LBB107_259
; %bb.258:
	buffer_load_dword v100, v91, s[0:3], 0 offen
	ds_read_b32 v101, v90
	s_waitcnt vmcnt(0) lgkmcnt(0)
	v_mul_f32_e32 v100, v100, v101
	s_cbranch_execz .LBB107_260
	s_branch .LBB107_261
.LBB107_259:
                                        ; implicit-def: $vgpr100
.LBB107_260:
	ds_read_b32 v100, v90
.LBB107_261:
	s_and_saveexec_b64 s[12:13], s[6:7]
	s_cbranch_execz .LBB107_265
; %bb.262:
	v_mov_b32_e32 v101, 0
	v_add_u32_e32 v101, 0x44, v101
	v_subrev_u32_e32 v102, 17, v0
	s_movk_i32 s14, 0xf4
	s_mov_b64 s[6:7], 0
.LBB107_263:                            ; =>This Inner Loop Header: Depth=1
	buffer_load_dword v103, v101, s[0:3], 0 offen
	v_mov_b32_e32 v104, s14
	ds_read_b32 v104, v104
	v_add_u32_e32 v102, -1, v102
	s_add_i32 s14, s14, 4
	v_cmp_eq_u32_e32 vcc, 0, v102
	v_add_u32_e32 v101, 4, v101
	s_or_b64 s[6:7], vcc, s[6:7]
	s_waitcnt vmcnt(0) lgkmcnt(0)
	v_fmac_f32_e32 v100, v103, v104
	s_andn2_b64 exec, exec, s[6:7]
	s_cbranch_execnz .LBB107_263
; %bb.264:
	s_or_b64 exec, exec, s[6:7]
.LBB107_265:
	s_or_b64 exec, exec, s[12:13]
	v_mov_b32_e32 v101, 0
	ds_read_b32 v101, v101 offset:64
	s_waitcnt lgkmcnt(0)
	v_mul_f32_e32 v100, v100, v101
	buffer_store_dword v100, off, s[0:3], 0 offset:64
.LBB107_266:
	s_or_b64 exec, exec, s[10:11]
	buffer_load_dword v100, off, s[0:3], 0 offset:60
	v_cmp_lt_u32_e64 s[6:7], 15, v0
	s_waitcnt vmcnt(0)
	ds_write_b32 v90, v100
	s_waitcnt lgkmcnt(0)
	; wave barrier
	s_waitcnt lgkmcnt(0)
	s_and_saveexec_b64 s[10:11], s[6:7]
	s_cbranch_execz .LBB107_276
; %bb.267:
	s_andn2_b64 vcc, exec, s[8:9]
	s_cbranch_vccnz .LBB107_269
; %bb.268:
	buffer_load_dword v100, v91, s[0:3], 0 offen
	ds_read_b32 v101, v90
	s_waitcnt vmcnt(0) lgkmcnt(0)
	v_mul_f32_e32 v100, v100, v101
	s_cbranch_execz .LBB107_270
	s_branch .LBB107_271
.LBB107_269:
                                        ; implicit-def: $vgpr100
.LBB107_270:
	ds_read_b32 v100, v90
.LBB107_271:
	s_and_saveexec_b64 s[12:13], s[4:5]
	s_cbranch_execz .LBB107_275
; %bb.272:
	v_add_u32_e32 v101, -16, v0
	s_movk_i32 s14, 0xf0
	s_mov_b64 s[4:5], 0
.LBB107_273:                            ; =>This Inner Loop Header: Depth=1
	buffer_load_dword v102, v99, s[0:3], 0 offen
	v_mov_b32_e32 v103, s14
	ds_read_b32 v103, v103
	v_add_u32_e32 v101, -1, v101
	s_add_i32 s14, s14, 4
	v_cmp_eq_u32_e32 vcc, 0, v101
	v_add_u32_e32 v99, 4, v99
	s_or_b64 s[4:5], vcc, s[4:5]
	s_waitcnt vmcnt(0) lgkmcnt(0)
	v_fmac_f32_e32 v100, v102, v103
	s_andn2_b64 exec, exec, s[4:5]
	s_cbranch_execnz .LBB107_273
; %bb.274:
	s_or_b64 exec, exec, s[4:5]
.LBB107_275:
	s_or_b64 exec, exec, s[12:13]
	v_mov_b32_e32 v99, 0
	ds_read_b32 v99, v99 offset:60
	s_waitcnt lgkmcnt(0)
	v_mul_f32_e32 v99, v100, v99
	buffer_store_dword v99, off, s[0:3], 0 offset:60
.LBB107_276:
	s_or_b64 exec, exec, s[10:11]
	buffer_load_dword v99, off, s[0:3], 0 offset:56
	v_cmp_lt_u32_e64 s[4:5], 14, v0
	s_waitcnt vmcnt(0)
	ds_write_b32 v90, v99
	s_waitcnt lgkmcnt(0)
	; wave barrier
	s_waitcnt lgkmcnt(0)
	s_and_saveexec_b64 s[10:11], s[4:5]
	s_cbranch_execz .LBB107_286
; %bb.277:
	s_andn2_b64 vcc, exec, s[8:9]
	s_cbranch_vccnz .LBB107_279
; %bb.278:
	buffer_load_dword v99, v91, s[0:3], 0 offen
	ds_read_b32 v100, v90
	s_waitcnt vmcnt(0) lgkmcnt(0)
	v_mul_f32_e32 v99, v99, v100
	s_cbranch_execz .LBB107_280
	s_branch .LBB107_281
.LBB107_279:
                                        ; implicit-def: $vgpr99
.LBB107_280:
	ds_read_b32 v99, v90
.LBB107_281:
	s_and_saveexec_b64 s[12:13], s[6:7]
	s_cbranch_execz .LBB107_285
; %bb.282:
	v_mov_b32_e32 v100, 0
	v_add_u32_e32 v100, 60, v100
	v_add_u32_e32 v101, -15, v0
	s_movk_i32 s14, 0xec
	s_mov_b64 s[6:7], 0
.LBB107_283:                            ; =>This Inner Loop Header: Depth=1
	buffer_load_dword v102, v100, s[0:3], 0 offen
	v_mov_b32_e32 v103, s14
	ds_read_b32 v103, v103
	v_add_u32_e32 v101, -1, v101
	s_add_i32 s14, s14, 4
	v_cmp_eq_u32_e32 vcc, 0, v101
	v_add_u32_e32 v100, 4, v100
	s_or_b64 s[6:7], vcc, s[6:7]
	s_waitcnt vmcnt(0) lgkmcnt(0)
	v_fmac_f32_e32 v99, v102, v103
	s_andn2_b64 exec, exec, s[6:7]
	s_cbranch_execnz .LBB107_283
; %bb.284:
	s_or_b64 exec, exec, s[6:7]
.LBB107_285:
	s_or_b64 exec, exec, s[12:13]
	v_mov_b32_e32 v100, 0
	ds_read_b32 v100, v100 offset:56
	s_waitcnt lgkmcnt(0)
	v_mul_f32_e32 v99, v99, v100
	buffer_store_dword v99, off, s[0:3], 0 offset:56
.LBB107_286:
	s_or_b64 exec, exec, s[10:11]
	buffer_load_dword v99, off, s[0:3], 0 offset:52
	v_cmp_lt_u32_e64 s[6:7], 13, v0
	s_waitcnt vmcnt(0)
	ds_write_b32 v90, v99
	s_waitcnt lgkmcnt(0)
	; wave barrier
	s_waitcnt lgkmcnt(0)
	s_and_saveexec_b64 s[10:11], s[6:7]
	s_cbranch_execz .LBB107_296
; %bb.287:
	s_andn2_b64 vcc, exec, s[8:9]
	s_cbranch_vccnz .LBB107_289
; %bb.288:
	buffer_load_dword v99, v91, s[0:3], 0 offen
	ds_read_b32 v100, v90
	s_waitcnt vmcnt(0) lgkmcnt(0)
	v_mul_f32_e32 v99, v99, v100
	s_cbranch_execz .LBB107_290
	s_branch .LBB107_291
.LBB107_289:
                                        ; implicit-def: $vgpr99
.LBB107_290:
	ds_read_b32 v99, v90
.LBB107_291:
	s_and_saveexec_b64 s[12:13], s[4:5]
	s_cbranch_execz .LBB107_295
; %bb.292:
	v_add_u32_e32 v100, -14, v0
	s_movk_i32 s14, 0xe8
	s_mov_b64 s[4:5], 0
.LBB107_293:                            ; =>This Inner Loop Header: Depth=1
	buffer_load_dword v101, v98, s[0:3], 0 offen
	v_mov_b32_e32 v102, s14
	ds_read_b32 v102, v102
	v_add_u32_e32 v100, -1, v100
	s_add_i32 s14, s14, 4
	v_cmp_eq_u32_e32 vcc, 0, v100
	v_add_u32_e32 v98, 4, v98
	s_or_b64 s[4:5], vcc, s[4:5]
	s_waitcnt vmcnt(0) lgkmcnt(0)
	v_fmac_f32_e32 v99, v101, v102
	s_andn2_b64 exec, exec, s[4:5]
	s_cbranch_execnz .LBB107_293
; %bb.294:
	s_or_b64 exec, exec, s[4:5]
.LBB107_295:
	s_or_b64 exec, exec, s[12:13]
	v_mov_b32_e32 v98, 0
	ds_read_b32 v98, v98 offset:52
	s_waitcnt lgkmcnt(0)
	v_mul_f32_e32 v98, v99, v98
	buffer_store_dword v98, off, s[0:3], 0 offset:52
.LBB107_296:
	s_or_b64 exec, exec, s[10:11]
	buffer_load_dword v98, off, s[0:3], 0 offset:48
	v_cmp_lt_u32_e64 s[4:5], 12, v0
	s_waitcnt vmcnt(0)
	ds_write_b32 v90, v98
	s_waitcnt lgkmcnt(0)
	; wave barrier
	s_waitcnt lgkmcnt(0)
	s_and_saveexec_b64 s[10:11], s[4:5]
	s_cbranch_execz .LBB107_306
; %bb.297:
	s_andn2_b64 vcc, exec, s[8:9]
	s_cbranch_vccnz .LBB107_299
; %bb.298:
	buffer_load_dword v98, v91, s[0:3], 0 offen
	ds_read_b32 v99, v90
	s_waitcnt vmcnt(0) lgkmcnt(0)
	v_mul_f32_e32 v98, v98, v99
	s_cbranch_execz .LBB107_300
	s_branch .LBB107_301
.LBB107_299:
                                        ; implicit-def: $vgpr98
.LBB107_300:
	ds_read_b32 v98, v90
.LBB107_301:
	s_and_saveexec_b64 s[12:13], s[6:7]
	s_cbranch_execz .LBB107_305
; %bb.302:
	v_mov_b32_e32 v99, 0
	v_add_u32_e32 v99, 52, v99
	v_add_u32_e32 v100, -13, v0
	s_movk_i32 s14, 0xe4
	s_mov_b64 s[6:7], 0
.LBB107_303:                            ; =>This Inner Loop Header: Depth=1
	buffer_load_dword v101, v99, s[0:3], 0 offen
	v_mov_b32_e32 v102, s14
	ds_read_b32 v102, v102
	v_add_u32_e32 v100, -1, v100
	s_add_i32 s14, s14, 4
	v_cmp_eq_u32_e32 vcc, 0, v100
	v_add_u32_e32 v99, 4, v99
	s_or_b64 s[6:7], vcc, s[6:7]
	s_waitcnt vmcnt(0) lgkmcnt(0)
	v_fmac_f32_e32 v98, v101, v102
	s_andn2_b64 exec, exec, s[6:7]
	s_cbranch_execnz .LBB107_303
; %bb.304:
	s_or_b64 exec, exec, s[6:7]
.LBB107_305:
	s_or_b64 exec, exec, s[12:13]
	v_mov_b32_e32 v99, 0
	ds_read_b32 v99, v99 offset:48
	s_waitcnt lgkmcnt(0)
	v_mul_f32_e32 v98, v98, v99
	buffer_store_dword v98, off, s[0:3], 0 offset:48
.LBB107_306:
	s_or_b64 exec, exec, s[10:11]
	buffer_load_dword v98, off, s[0:3], 0 offset:44
	v_cmp_lt_u32_e64 s[6:7], 11, v0
	s_waitcnt vmcnt(0)
	ds_write_b32 v90, v98
	s_waitcnt lgkmcnt(0)
	; wave barrier
	s_waitcnt lgkmcnt(0)
	s_and_saveexec_b64 s[10:11], s[6:7]
	s_cbranch_execz .LBB107_316
; %bb.307:
	s_andn2_b64 vcc, exec, s[8:9]
	s_cbranch_vccnz .LBB107_309
; %bb.308:
	buffer_load_dword v98, v91, s[0:3], 0 offen
	ds_read_b32 v99, v90
	s_waitcnt vmcnt(0) lgkmcnt(0)
	v_mul_f32_e32 v98, v98, v99
	s_cbranch_execz .LBB107_310
	s_branch .LBB107_311
.LBB107_309:
                                        ; implicit-def: $vgpr98
.LBB107_310:
	ds_read_b32 v98, v90
.LBB107_311:
	s_and_saveexec_b64 s[12:13], s[4:5]
	s_cbranch_execz .LBB107_315
; %bb.312:
	v_add_u32_e32 v99, -12, v0
	s_movk_i32 s14, 0xe0
	s_mov_b64 s[4:5], 0
.LBB107_313:                            ; =>This Inner Loop Header: Depth=1
	buffer_load_dword v100, v97, s[0:3], 0 offen
	v_mov_b32_e32 v101, s14
	ds_read_b32 v101, v101
	v_add_u32_e32 v99, -1, v99
	s_add_i32 s14, s14, 4
	v_cmp_eq_u32_e32 vcc, 0, v99
	v_add_u32_e32 v97, 4, v97
	s_or_b64 s[4:5], vcc, s[4:5]
	s_waitcnt vmcnt(0) lgkmcnt(0)
	v_fmac_f32_e32 v98, v100, v101
	s_andn2_b64 exec, exec, s[4:5]
	s_cbranch_execnz .LBB107_313
; %bb.314:
	s_or_b64 exec, exec, s[4:5]
.LBB107_315:
	s_or_b64 exec, exec, s[12:13]
	v_mov_b32_e32 v97, 0
	ds_read_b32 v97, v97 offset:44
	s_waitcnt lgkmcnt(0)
	v_mul_f32_e32 v97, v98, v97
	buffer_store_dword v97, off, s[0:3], 0 offset:44
.LBB107_316:
	s_or_b64 exec, exec, s[10:11]
	buffer_load_dword v97, off, s[0:3], 0 offset:40
	v_cmp_lt_u32_e64 s[4:5], 10, v0
	s_waitcnt vmcnt(0)
	ds_write_b32 v90, v97
	s_waitcnt lgkmcnt(0)
	; wave barrier
	s_waitcnt lgkmcnt(0)
	s_and_saveexec_b64 s[10:11], s[4:5]
	s_cbranch_execz .LBB107_326
; %bb.317:
	s_andn2_b64 vcc, exec, s[8:9]
	s_cbranch_vccnz .LBB107_319
; %bb.318:
	buffer_load_dword v97, v91, s[0:3], 0 offen
	ds_read_b32 v98, v90
	s_waitcnt vmcnt(0) lgkmcnt(0)
	v_mul_f32_e32 v97, v97, v98
	s_cbranch_execz .LBB107_320
	s_branch .LBB107_321
.LBB107_319:
                                        ; implicit-def: $vgpr97
.LBB107_320:
	ds_read_b32 v97, v90
.LBB107_321:
	s_and_saveexec_b64 s[12:13], s[6:7]
	s_cbranch_execz .LBB107_325
; %bb.322:
	v_mov_b32_e32 v98, 0
	v_add_u32_e32 v98, 44, v98
	v_add_u32_e32 v99, -11, v0
	s_movk_i32 s14, 0xdc
	s_mov_b64 s[6:7], 0
.LBB107_323:                            ; =>This Inner Loop Header: Depth=1
	buffer_load_dword v100, v98, s[0:3], 0 offen
	v_mov_b32_e32 v101, s14
	ds_read_b32 v101, v101
	v_add_u32_e32 v99, -1, v99
	s_add_i32 s14, s14, 4
	v_cmp_eq_u32_e32 vcc, 0, v99
	v_add_u32_e32 v98, 4, v98
	s_or_b64 s[6:7], vcc, s[6:7]
	s_waitcnt vmcnt(0) lgkmcnt(0)
	v_fmac_f32_e32 v97, v100, v101
	s_andn2_b64 exec, exec, s[6:7]
	s_cbranch_execnz .LBB107_323
; %bb.324:
	s_or_b64 exec, exec, s[6:7]
.LBB107_325:
	s_or_b64 exec, exec, s[12:13]
	v_mov_b32_e32 v98, 0
	ds_read_b32 v98, v98 offset:40
	s_waitcnt lgkmcnt(0)
	v_mul_f32_e32 v97, v97, v98
	buffer_store_dword v97, off, s[0:3], 0 offset:40
.LBB107_326:
	s_or_b64 exec, exec, s[10:11]
	buffer_load_dword v97, off, s[0:3], 0 offset:36
	v_cmp_lt_u32_e64 s[6:7], 9, v0
	s_waitcnt vmcnt(0)
	ds_write_b32 v90, v97
	s_waitcnt lgkmcnt(0)
	; wave barrier
	s_waitcnt lgkmcnt(0)
	s_and_saveexec_b64 s[10:11], s[6:7]
	s_cbranch_execz .LBB107_336
; %bb.327:
	s_andn2_b64 vcc, exec, s[8:9]
	s_cbranch_vccnz .LBB107_329
; %bb.328:
	buffer_load_dword v97, v91, s[0:3], 0 offen
	ds_read_b32 v98, v90
	s_waitcnt vmcnt(0) lgkmcnt(0)
	v_mul_f32_e32 v97, v97, v98
	s_cbranch_execz .LBB107_330
	s_branch .LBB107_331
.LBB107_329:
                                        ; implicit-def: $vgpr97
.LBB107_330:
	ds_read_b32 v97, v90
.LBB107_331:
	s_and_saveexec_b64 s[12:13], s[4:5]
	s_cbranch_execz .LBB107_335
; %bb.332:
	v_add_u32_e32 v98, -10, v0
	s_movk_i32 s14, 0xd8
	s_mov_b64 s[4:5], 0
.LBB107_333:                            ; =>This Inner Loop Header: Depth=1
	buffer_load_dword v99, v96, s[0:3], 0 offen
	v_mov_b32_e32 v100, s14
	ds_read_b32 v100, v100
	v_add_u32_e32 v98, -1, v98
	s_add_i32 s14, s14, 4
	v_cmp_eq_u32_e32 vcc, 0, v98
	v_add_u32_e32 v96, 4, v96
	s_or_b64 s[4:5], vcc, s[4:5]
	s_waitcnt vmcnt(0) lgkmcnt(0)
	v_fmac_f32_e32 v97, v99, v100
	s_andn2_b64 exec, exec, s[4:5]
	s_cbranch_execnz .LBB107_333
; %bb.334:
	s_or_b64 exec, exec, s[4:5]
.LBB107_335:
	s_or_b64 exec, exec, s[12:13]
	v_mov_b32_e32 v96, 0
	ds_read_b32 v96, v96 offset:36
	s_waitcnt lgkmcnt(0)
	v_mul_f32_e32 v96, v97, v96
	buffer_store_dword v96, off, s[0:3], 0 offset:36
.LBB107_336:
	s_or_b64 exec, exec, s[10:11]
	buffer_load_dword v96, off, s[0:3], 0 offset:32
	v_cmp_lt_u32_e64 s[4:5], 8, v0
	s_waitcnt vmcnt(0)
	ds_write_b32 v90, v96
	s_waitcnt lgkmcnt(0)
	; wave barrier
	s_waitcnt lgkmcnt(0)
	s_and_saveexec_b64 s[10:11], s[4:5]
	s_cbranch_execz .LBB107_346
; %bb.337:
	s_andn2_b64 vcc, exec, s[8:9]
	s_cbranch_vccnz .LBB107_339
; %bb.338:
	buffer_load_dword v96, v91, s[0:3], 0 offen
	ds_read_b32 v97, v90
	s_waitcnt vmcnt(0) lgkmcnt(0)
	v_mul_f32_e32 v96, v96, v97
	s_cbranch_execz .LBB107_340
	s_branch .LBB107_341
.LBB107_339:
                                        ; implicit-def: $vgpr96
.LBB107_340:
	ds_read_b32 v96, v90
.LBB107_341:
	s_and_saveexec_b64 s[12:13], s[6:7]
	s_cbranch_execz .LBB107_345
; %bb.342:
	v_mov_b32_e32 v97, 0
	v_add_u32_e32 v97, 36, v97
	v_add_u32_e32 v98, -9, v0
	s_movk_i32 s14, 0xd4
	s_mov_b64 s[6:7], 0
.LBB107_343:                            ; =>This Inner Loop Header: Depth=1
	buffer_load_dword v99, v97, s[0:3], 0 offen
	v_mov_b32_e32 v100, s14
	ds_read_b32 v100, v100
	v_add_u32_e32 v98, -1, v98
	s_add_i32 s14, s14, 4
	v_cmp_eq_u32_e32 vcc, 0, v98
	v_add_u32_e32 v97, 4, v97
	s_or_b64 s[6:7], vcc, s[6:7]
	s_waitcnt vmcnt(0) lgkmcnt(0)
	v_fmac_f32_e32 v96, v99, v100
	s_andn2_b64 exec, exec, s[6:7]
	s_cbranch_execnz .LBB107_343
; %bb.344:
	s_or_b64 exec, exec, s[6:7]
.LBB107_345:
	s_or_b64 exec, exec, s[12:13]
	v_mov_b32_e32 v97, 0
	ds_read_b32 v97, v97 offset:32
	s_waitcnt lgkmcnt(0)
	v_mul_f32_e32 v96, v96, v97
	buffer_store_dword v96, off, s[0:3], 0 offset:32
.LBB107_346:
	s_or_b64 exec, exec, s[10:11]
	buffer_load_dword v96, off, s[0:3], 0 offset:28
	v_cmp_lt_u32_e64 s[6:7], 7, v0
	s_waitcnt vmcnt(0)
	ds_write_b32 v90, v96
	s_waitcnt lgkmcnt(0)
	; wave barrier
	s_waitcnt lgkmcnt(0)
	s_and_saveexec_b64 s[10:11], s[6:7]
	s_cbranch_execz .LBB107_356
; %bb.347:
	s_andn2_b64 vcc, exec, s[8:9]
	s_cbranch_vccnz .LBB107_349
; %bb.348:
	buffer_load_dword v96, v91, s[0:3], 0 offen
	ds_read_b32 v97, v90
	s_waitcnt vmcnt(0) lgkmcnt(0)
	v_mul_f32_e32 v96, v96, v97
	s_cbranch_execz .LBB107_350
	s_branch .LBB107_351
.LBB107_349:
                                        ; implicit-def: $vgpr96
.LBB107_350:
	ds_read_b32 v96, v90
.LBB107_351:
	s_and_saveexec_b64 s[12:13], s[4:5]
	s_cbranch_execz .LBB107_355
; %bb.352:
	v_add_u32_e32 v97, -8, v0
	s_movk_i32 s14, 0xd0
	s_mov_b64 s[4:5], 0
.LBB107_353:                            ; =>This Inner Loop Header: Depth=1
	buffer_load_dword v98, v95, s[0:3], 0 offen
	v_mov_b32_e32 v99, s14
	ds_read_b32 v99, v99
	v_add_u32_e32 v97, -1, v97
	s_add_i32 s14, s14, 4
	v_cmp_eq_u32_e32 vcc, 0, v97
	v_add_u32_e32 v95, 4, v95
	s_or_b64 s[4:5], vcc, s[4:5]
	s_waitcnt vmcnt(0) lgkmcnt(0)
	v_fmac_f32_e32 v96, v98, v99
	s_andn2_b64 exec, exec, s[4:5]
	s_cbranch_execnz .LBB107_353
; %bb.354:
	s_or_b64 exec, exec, s[4:5]
.LBB107_355:
	s_or_b64 exec, exec, s[12:13]
	v_mov_b32_e32 v95, 0
	ds_read_b32 v95, v95 offset:28
	s_waitcnt lgkmcnt(0)
	v_mul_f32_e32 v95, v96, v95
	buffer_store_dword v95, off, s[0:3], 0 offset:28
.LBB107_356:
	s_or_b64 exec, exec, s[10:11]
	buffer_load_dword v95, off, s[0:3], 0 offset:24
	v_cmp_lt_u32_e64 s[4:5], 6, v0
	s_waitcnt vmcnt(0)
	ds_write_b32 v90, v95
	s_waitcnt lgkmcnt(0)
	; wave barrier
	s_waitcnt lgkmcnt(0)
	s_and_saveexec_b64 s[10:11], s[4:5]
	s_cbranch_execz .LBB107_366
; %bb.357:
	s_andn2_b64 vcc, exec, s[8:9]
	s_cbranch_vccnz .LBB107_359
; %bb.358:
	buffer_load_dword v95, v91, s[0:3], 0 offen
	ds_read_b32 v96, v90
	s_waitcnt vmcnt(0) lgkmcnt(0)
	v_mul_f32_e32 v95, v95, v96
	s_cbranch_execz .LBB107_360
	s_branch .LBB107_361
.LBB107_359:
                                        ; implicit-def: $vgpr95
.LBB107_360:
	ds_read_b32 v95, v90
.LBB107_361:
	s_and_saveexec_b64 s[12:13], s[6:7]
	s_cbranch_execz .LBB107_365
; %bb.362:
	v_mov_b32_e32 v96, 0
	v_add_u32_e32 v96, 28, v96
	v_add_u32_e32 v97, -7, v0
	s_movk_i32 s14, 0xcc
	s_mov_b64 s[6:7], 0
.LBB107_363:                            ; =>This Inner Loop Header: Depth=1
	buffer_load_dword v98, v96, s[0:3], 0 offen
	v_mov_b32_e32 v99, s14
	ds_read_b32 v99, v99
	v_add_u32_e32 v97, -1, v97
	s_add_i32 s14, s14, 4
	v_cmp_eq_u32_e32 vcc, 0, v97
	v_add_u32_e32 v96, 4, v96
	s_or_b64 s[6:7], vcc, s[6:7]
	s_waitcnt vmcnt(0) lgkmcnt(0)
	v_fmac_f32_e32 v95, v98, v99
	s_andn2_b64 exec, exec, s[6:7]
	s_cbranch_execnz .LBB107_363
; %bb.364:
	s_or_b64 exec, exec, s[6:7]
.LBB107_365:
	s_or_b64 exec, exec, s[12:13]
	v_mov_b32_e32 v96, 0
	ds_read_b32 v96, v96 offset:24
	s_waitcnt lgkmcnt(0)
	v_mul_f32_e32 v95, v95, v96
	buffer_store_dword v95, off, s[0:3], 0 offset:24
.LBB107_366:
	s_or_b64 exec, exec, s[10:11]
	buffer_load_dword v95, off, s[0:3], 0 offset:20
	v_cmp_lt_u32_e64 s[6:7], 5, v0
	s_waitcnt vmcnt(0)
	ds_write_b32 v90, v95
	s_waitcnt lgkmcnt(0)
	; wave barrier
	s_waitcnt lgkmcnt(0)
	s_and_saveexec_b64 s[10:11], s[6:7]
	s_cbranch_execz .LBB107_376
; %bb.367:
	s_andn2_b64 vcc, exec, s[8:9]
	s_cbranch_vccnz .LBB107_369
; %bb.368:
	buffer_load_dword v95, v91, s[0:3], 0 offen
	ds_read_b32 v96, v90
	s_waitcnt vmcnt(0) lgkmcnt(0)
	v_mul_f32_e32 v95, v95, v96
	s_cbranch_execz .LBB107_370
	s_branch .LBB107_371
.LBB107_369:
                                        ; implicit-def: $vgpr95
.LBB107_370:
	ds_read_b32 v95, v90
.LBB107_371:
	s_and_saveexec_b64 s[12:13], s[4:5]
	s_cbranch_execz .LBB107_375
; %bb.372:
	v_add_u32_e32 v96, -6, v0
	s_movk_i32 s14, 0xc8
	s_mov_b64 s[4:5], 0
.LBB107_373:                            ; =>This Inner Loop Header: Depth=1
	buffer_load_dword v97, v94, s[0:3], 0 offen
	v_mov_b32_e32 v98, s14
	ds_read_b32 v98, v98
	v_add_u32_e32 v96, -1, v96
	s_add_i32 s14, s14, 4
	v_cmp_eq_u32_e32 vcc, 0, v96
	v_add_u32_e32 v94, 4, v94
	s_or_b64 s[4:5], vcc, s[4:5]
	s_waitcnt vmcnt(0) lgkmcnt(0)
	v_fmac_f32_e32 v95, v97, v98
	s_andn2_b64 exec, exec, s[4:5]
	s_cbranch_execnz .LBB107_373
; %bb.374:
	s_or_b64 exec, exec, s[4:5]
.LBB107_375:
	s_or_b64 exec, exec, s[12:13]
	v_mov_b32_e32 v94, 0
	ds_read_b32 v94, v94 offset:20
	s_waitcnt lgkmcnt(0)
	v_mul_f32_e32 v94, v95, v94
	buffer_store_dword v94, off, s[0:3], 0 offset:20
.LBB107_376:
	s_or_b64 exec, exec, s[10:11]
	buffer_load_dword v94, off, s[0:3], 0 offset:16
	v_cmp_lt_u32_e64 s[4:5], 4, v0
	s_waitcnt vmcnt(0)
	ds_write_b32 v90, v94
	s_waitcnt lgkmcnt(0)
	; wave barrier
	s_waitcnt lgkmcnt(0)
	s_and_saveexec_b64 s[10:11], s[4:5]
	s_cbranch_execz .LBB107_386
; %bb.377:
	s_andn2_b64 vcc, exec, s[8:9]
	s_cbranch_vccnz .LBB107_379
; %bb.378:
	buffer_load_dword v94, v91, s[0:3], 0 offen
	ds_read_b32 v95, v90
	s_waitcnt vmcnt(0) lgkmcnt(0)
	v_mul_f32_e32 v94, v94, v95
	s_cbranch_execz .LBB107_380
	s_branch .LBB107_381
.LBB107_379:
                                        ; implicit-def: $vgpr94
.LBB107_380:
	ds_read_b32 v94, v90
.LBB107_381:
	s_and_saveexec_b64 s[12:13], s[6:7]
	s_cbranch_execz .LBB107_385
; %bb.382:
	v_mov_b32_e32 v95, 0
	v_add_u32_e32 v95, 20, v95
	v_add_u32_e32 v96, -5, v0
	s_movk_i32 s14, 0xc4
	s_mov_b64 s[6:7], 0
.LBB107_383:                            ; =>This Inner Loop Header: Depth=1
	buffer_load_dword v97, v95, s[0:3], 0 offen
	v_mov_b32_e32 v98, s14
	ds_read_b32 v98, v98
	v_add_u32_e32 v96, -1, v96
	s_add_i32 s14, s14, 4
	v_cmp_eq_u32_e32 vcc, 0, v96
	v_add_u32_e32 v95, 4, v95
	s_or_b64 s[6:7], vcc, s[6:7]
	s_waitcnt vmcnt(0) lgkmcnt(0)
	v_fmac_f32_e32 v94, v97, v98
	s_andn2_b64 exec, exec, s[6:7]
	s_cbranch_execnz .LBB107_383
; %bb.384:
	s_or_b64 exec, exec, s[6:7]
.LBB107_385:
	s_or_b64 exec, exec, s[12:13]
	v_mov_b32_e32 v95, 0
	ds_read_b32 v95, v95 offset:16
	s_waitcnt lgkmcnt(0)
	v_mul_f32_e32 v94, v94, v95
	buffer_store_dword v94, off, s[0:3], 0 offset:16
.LBB107_386:
	s_or_b64 exec, exec, s[10:11]
	buffer_load_dword v94, off, s[0:3], 0 offset:12
	v_cmp_lt_u32_e64 s[6:7], 3, v0
	s_waitcnt vmcnt(0)
	ds_write_b32 v90, v94
	s_waitcnt lgkmcnt(0)
	; wave barrier
	s_waitcnt lgkmcnt(0)
	s_and_saveexec_b64 s[10:11], s[6:7]
	s_cbranch_execz .LBB107_396
; %bb.387:
	s_andn2_b64 vcc, exec, s[8:9]
	s_cbranch_vccnz .LBB107_389
; %bb.388:
	buffer_load_dword v94, v91, s[0:3], 0 offen
	ds_read_b32 v95, v90
	s_waitcnt vmcnt(0) lgkmcnt(0)
	v_mul_f32_e32 v94, v94, v95
	s_cbranch_execz .LBB107_390
	s_branch .LBB107_391
.LBB107_389:
                                        ; implicit-def: $vgpr94
.LBB107_390:
	ds_read_b32 v94, v90
.LBB107_391:
	s_and_saveexec_b64 s[12:13], s[4:5]
	s_cbranch_execz .LBB107_395
; %bb.392:
	v_add_u32_e32 v95, -4, v0
	s_movk_i32 s14, 0xc0
	s_mov_b64 s[4:5], 0
.LBB107_393:                            ; =>This Inner Loop Header: Depth=1
	buffer_load_dword v96, v93, s[0:3], 0 offen
	v_mov_b32_e32 v97, s14
	ds_read_b32 v97, v97
	v_add_u32_e32 v95, -1, v95
	s_add_i32 s14, s14, 4
	v_cmp_eq_u32_e32 vcc, 0, v95
	v_add_u32_e32 v93, 4, v93
	s_or_b64 s[4:5], vcc, s[4:5]
	s_waitcnt vmcnt(0) lgkmcnt(0)
	v_fmac_f32_e32 v94, v96, v97
	s_andn2_b64 exec, exec, s[4:5]
	s_cbranch_execnz .LBB107_393
; %bb.394:
	s_or_b64 exec, exec, s[4:5]
.LBB107_395:
	s_or_b64 exec, exec, s[12:13]
	v_mov_b32_e32 v93, 0
	ds_read_b32 v93, v93 offset:12
	s_waitcnt lgkmcnt(0)
	v_mul_f32_e32 v93, v94, v93
	buffer_store_dword v93, off, s[0:3], 0 offset:12
.LBB107_396:
	s_or_b64 exec, exec, s[10:11]
	buffer_load_dword v93, off, s[0:3], 0 offset:8
	v_cmp_lt_u32_e64 s[4:5], 2, v0
	s_waitcnt vmcnt(0)
	ds_write_b32 v90, v93
	s_waitcnt lgkmcnt(0)
	; wave barrier
	s_waitcnt lgkmcnt(0)
	s_and_saveexec_b64 s[10:11], s[4:5]
	s_cbranch_execz .LBB107_406
; %bb.397:
	s_andn2_b64 vcc, exec, s[8:9]
	s_cbranch_vccnz .LBB107_399
; %bb.398:
	buffer_load_dword v93, v91, s[0:3], 0 offen
	ds_read_b32 v94, v90
	s_waitcnt vmcnt(0) lgkmcnt(0)
	v_mul_f32_e32 v93, v93, v94
	s_cbranch_execz .LBB107_400
	s_branch .LBB107_401
.LBB107_399:
                                        ; implicit-def: $vgpr93
.LBB107_400:
	ds_read_b32 v93, v90
.LBB107_401:
	s_and_saveexec_b64 s[12:13], s[6:7]
	s_cbranch_execz .LBB107_405
; %bb.402:
	v_mov_b32_e32 v94, 0
	v_or_b32_e32 v94, 12, v94
	v_add_u32_e32 v95, -3, v0
	s_movk_i32 s14, 0xbc
	s_mov_b64 s[6:7], 0
.LBB107_403:                            ; =>This Inner Loop Header: Depth=1
	buffer_load_dword v96, v94, s[0:3], 0 offen
	v_mov_b32_e32 v97, s14
	ds_read_b32 v97, v97
	v_add_u32_e32 v95, -1, v95
	s_add_i32 s14, s14, 4
	v_cmp_eq_u32_e32 vcc, 0, v95
	v_add_u32_e32 v94, 4, v94
	s_or_b64 s[6:7], vcc, s[6:7]
	s_waitcnt vmcnt(0) lgkmcnt(0)
	v_fmac_f32_e32 v93, v96, v97
	s_andn2_b64 exec, exec, s[6:7]
	s_cbranch_execnz .LBB107_403
; %bb.404:
	s_or_b64 exec, exec, s[6:7]
.LBB107_405:
	s_or_b64 exec, exec, s[12:13]
	v_mov_b32_e32 v94, 0
	ds_read_b32 v94, v94 offset:8
	s_waitcnt lgkmcnt(0)
	v_mul_f32_e32 v93, v93, v94
	buffer_store_dword v93, off, s[0:3], 0 offset:8
.LBB107_406:
	s_or_b64 exec, exec, s[10:11]
	buffer_load_dword v93, off, s[0:3], 0 offset:4
	v_cmp_lt_u32_e64 s[6:7], 1, v0
	s_waitcnt vmcnt(0)
	ds_write_b32 v90, v93
	s_waitcnt lgkmcnt(0)
	; wave barrier
	s_waitcnt lgkmcnt(0)
	s_and_saveexec_b64 s[10:11], s[6:7]
	s_cbranch_execz .LBB107_416
; %bb.407:
	s_andn2_b64 vcc, exec, s[8:9]
	s_cbranch_vccnz .LBB107_409
; %bb.408:
	buffer_load_dword v93, v91, s[0:3], 0 offen
	ds_read_b32 v94, v90
	s_waitcnt vmcnt(0) lgkmcnt(0)
	v_mul_f32_e32 v93, v93, v94
	s_cbranch_execz .LBB107_410
	s_branch .LBB107_411
.LBB107_409:
                                        ; implicit-def: $vgpr93
.LBB107_410:
	ds_read_b32 v93, v90
.LBB107_411:
	s_and_saveexec_b64 s[12:13], s[4:5]
	s_cbranch_execz .LBB107_415
; %bb.412:
	v_add_u32_e32 v94, -2, v0
	s_movk_i32 s14, 0xb8
	s_mov_b64 s[4:5], 0
.LBB107_413:                            ; =>This Inner Loop Header: Depth=1
	buffer_load_dword v95, v92, s[0:3], 0 offen
	v_mov_b32_e32 v96, s14
	ds_read_b32 v96, v96
	v_add_u32_e32 v94, -1, v94
	s_add_i32 s14, s14, 4
	v_cmp_eq_u32_e32 vcc, 0, v94
	v_add_u32_e32 v92, 4, v92
	s_or_b64 s[4:5], vcc, s[4:5]
	s_waitcnt vmcnt(0) lgkmcnt(0)
	v_fmac_f32_e32 v93, v95, v96
	s_andn2_b64 exec, exec, s[4:5]
	s_cbranch_execnz .LBB107_413
; %bb.414:
	s_or_b64 exec, exec, s[4:5]
.LBB107_415:
	s_or_b64 exec, exec, s[12:13]
	v_mov_b32_e32 v92, 0
	ds_read_b32 v92, v92 offset:4
	s_waitcnt lgkmcnt(0)
	v_mul_f32_e32 v92, v93, v92
	buffer_store_dword v92, off, s[0:3], 0 offset:4
.LBB107_416:
	s_or_b64 exec, exec, s[10:11]
	buffer_load_dword v92, off, s[0:3], 0
	v_cmp_ne_u32_e32 vcc, 0, v0
	s_waitcnt vmcnt(0)
	ds_write_b32 v90, v92
	s_waitcnt lgkmcnt(0)
	; wave barrier
	s_waitcnt lgkmcnt(0)
	s_and_saveexec_b64 s[4:5], vcc
	s_cbranch_execz .LBB107_426
; %bb.417:
	s_andn2_b64 vcc, exec, s[8:9]
	s_cbranch_vccnz .LBB107_419
; %bb.418:
	buffer_load_dword v92, v91, s[0:3], 0 offen
	ds_read_b32 v93, v90
	s_waitcnt vmcnt(0) lgkmcnt(0)
	v_mul_f32_e32 v92, v92, v93
	s_cbranch_execz .LBB107_420
	s_branch .LBB107_421
.LBB107_419:
                                        ; implicit-def: $vgpr92
.LBB107_420:
	ds_read_b32 v92, v90
.LBB107_421:
	s_and_saveexec_b64 s[10:11], s[6:7]
	s_cbranch_execz .LBB107_425
; %bb.422:
	v_mov_b32_e32 v93, 0
	v_or_b32_e32 v93, 4, v93
	v_add_u32_e32 v94, -1, v0
	s_movk_i32 s12, 0xb4
	s_mov_b64 s[6:7], 0
.LBB107_423:                            ; =>This Inner Loop Header: Depth=1
	buffer_load_dword v95, v93, s[0:3], 0 offen
	v_mov_b32_e32 v96, s12
	ds_read_b32 v96, v96
	v_add_u32_e32 v94, -1, v94
	s_add_i32 s12, s12, 4
	v_cmp_eq_u32_e32 vcc, 0, v94
	v_add_u32_e32 v93, 4, v93
	s_or_b64 s[6:7], vcc, s[6:7]
	s_waitcnt vmcnt(0) lgkmcnt(0)
	v_fmac_f32_e32 v92, v95, v96
	s_andn2_b64 exec, exec, s[6:7]
	s_cbranch_execnz .LBB107_423
; %bb.424:
	s_or_b64 exec, exec, s[6:7]
.LBB107_425:
	s_or_b64 exec, exec, s[10:11]
	v_mov_b32_e32 v93, 0
	ds_read_b32 v93, v93
	s_waitcnt lgkmcnt(0)
	v_mul_f32_e32 v92, v92, v93
	buffer_store_dword v92, off, s[0:3], 0
.LBB107_426:
	s_or_b64 exec, exec, s[4:5]
	s_mov_b64 s[4:5], 0
.LBB107_427:
	s_and_b64 vcc, exec, s[4:5]
	s_cbranch_vccz .LBB107_851
; %bb.428:
	buffer_load_dword v92, off, s[0:3], 0 offset:4
	v_cmp_eq_u32_e64 s[6:7], 0, v0
	s_waitcnt vmcnt(0)
	ds_write_b32 v90, v92
	s_waitcnt lgkmcnt(0)
	; wave barrier
	s_waitcnt lgkmcnt(0)
	s_and_saveexec_b64 s[4:5], s[6:7]
	s_cbranch_execz .LBB107_434
; %bb.429:
	s_and_b64 vcc, exec, s[8:9]
	s_cbranch_vccz .LBB107_431
; %bb.430:
	buffer_load_dword v92, v91, s[0:3], 0 offen
	ds_read_b32 v93, v90
	s_waitcnt vmcnt(0) lgkmcnt(0)
	v_mul_f32_e32 v92, v92, v93
	s_cbranch_execz .LBB107_432
	s_branch .LBB107_433
.LBB107_431:
                                        ; implicit-def: $vgpr92
.LBB107_432:
	ds_read_b32 v92, v90
.LBB107_433:
	v_mov_b32_e32 v93, 0
	ds_read_b32 v93, v93 offset:4
	s_waitcnt lgkmcnt(0)
	v_mul_f32_e32 v92, v92, v93
	buffer_store_dword v92, off, s[0:3], 0 offset:4
.LBB107_434:
	s_or_b64 exec, exec, s[4:5]
	buffer_load_dword v92, off, s[0:3], 0 offset:8
	v_cndmask_b32_e64 v93, 0, 1, s[8:9]
	v_cmp_gt_u32_e32 vcc, 2, v0
	v_cmp_ne_u32_e64 s[4:5], 1, v93
	s_waitcnt vmcnt(0)
	ds_write_b32 v90, v92
	s_waitcnt lgkmcnt(0)
	; wave barrier
	s_waitcnt lgkmcnt(0)
	s_and_saveexec_b64 s[8:9], vcc
	s_cbranch_execz .LBB107_442
; %bb.435:
	s_and_b64 vcc, exec, s[4:5]
	s_cbranch_vccnz .LBB107_437
; %bb.436:
	buffer_load_dword v92, v91, s[0:3], 0 offen
	ds_read_b32 v93, v90
	s_waitcnt vmcnt(0) lgkmcnt(0)
	v_mul_f32_e32 v92, v92, v93
	s_cbranch_execz .LBB107_438
	s_branch .LBB107_439
.LBB107_437:
                                        ; implicit-def: $vgpr92
.LBB107_438:
	ds_read_b32 v92, v90
.LBB107_439:
	s_and_saveexec_b64 s[10:11], s[6:7]
	s_cbranch_execz .LBB107_441
; %bb.440:
	buffer_load_dword v93, v91, s[0:3], 0 offen offset:4
	ds_read_b32 v94, v90 offset:4
	s_waitcnt vmcnt(0) lgkmcnt(0)
	v_fmac_f32_e32 v92, v93, v94
.LBB107_441:
	s_or_b64 exec, exec, s[10:11]
	v_mov_b32_e32 v93, 0
	ds_read_b32 v93, v93 offset:8
	s_waitcnt lgkmcnt(0)
	v_mul_f32_e32 v92, v92, v93
	buffer_store_dword v92, off, s[0:3], 0 offset:8
.LBB107_442:
	s_or_b64 exec, exec, s[8:9]
	buffer_load_dword v92, off, s[0:3], 0 offset:12
	v_cmp_gt_u32_e32 vcc, 3, v0
	s_waitcnt vmcnt(0)
	ds_write_b32 v90, v92
	s_waitcnt lgkmcnt(0)
	; wave barrier
	s_waitcnt lgkmcnt(0)
	s_and_saveexec_b64 s[8:9], vcc
	s_cbranch_execz .LBB107_450
; %bb.443:
	s_and_b64 vcc, exec, s[4:5]
	s_cbranch_vccnz .LBB107_445
; %bb.444:
	buffer_load_dword v92, v91, s[0:3], 0 offen
	ds_read_b32 v93, v90
	s_waitcnt vmcnt(0) lgkmcnt(0)
	v_mul_f32_e32 v92, v92, v93
	s_cbranch_execz .LBB107_446
	s_branch .LBB107_447
.LBB107_445:
                                        ; implicit-def: $vgpr92
.LBB107_446:
	ds_read_b32 v92, v90
.LBB107_447:
	v_cmp_ne_u32_e32 vcc, 2, v0
	s_and_saveexec_b64 s[10:11], vcc
	s_cbranch_execz .LBB107_449
; %bb.448:
	buffer_load_dword v93, v91, s[0:3], 0 offen offset:4
	buffer_load_dword v94, off, s[0:3], 0 offset:8
	v_mov_b32_e32 v95, 0
	ds_read_b32 v96, v90 offset:4
	ds_read_b32 v95, v95 offset:184
	s_waitcnt vmcnt(1) lgkmcnt(1)
	v_fmac_f32_e32 v92, v93, v96
	s_waitcnt vmcnt(0) lgkmcnt(0)
	v_fma_f32 v93, v94, v95, v92
	v_cndmask_b32_e64 v92, v92, v93, s[6:7]
.LBB107_449:
	s_or_b64 exec, exec, s[10:11]
	v_mov_b32_e32 v93, 0
	ds_read_b32 v93, v93 offset:12
	s_waitcnt lgkmcnt(0)
	v_mul_f32_e32 v92, v92, v93
	buffer_store_dword v92, off, s[0:3], 0 offset:12
.LBB107_450:
	s_or_b64 exec, exec, s[8:9]
	buffer_load_dword v92, off, s[0:3], 0 offset:16
	v_cmp_gt_u32_e32 vcc, 4, v0
	s_waitcnt vmcnt(0)
	ds_write_b32 v90, v92
	s_waitcnt lgkmcnt(0)
	; wave barrier
	s_waitcnt lgkmcnt(0)
	s_and_saveexec_b64 s[6:7], vcc
	s_cbranch_execz .LBB107_460
; %bb.451:
	s_and_b64 vcc, exec, s[4:5]
	s_cbranch_vccnz .LBB107_453
; %bb.452:
	buffer_load_dword v92, v91, s[0:3], 0 offen
	ds_read_b32 v93, v90
	s_waitcnt vmcnt(0) lgkmcnt(0)
	v_mul_f32_e32 v92, v92, v93
	s_cbranch_execz .LBB107_454
	s_branch .LBB107_455
.LBB107_453:
                                        ; implicit-def: $vgpr92
.LBB107_454:
	ds_read_b32 v92, v90
.LBB107_455:
	v_cmp_ne_u32_e32 vcc, 3, v0
	s_and_saveexec_b64 s[8:9], vcc
	s_cbranch_execz .LBB107_459
; %bb.456:
	v_mov_b32_e32 v94, 0
	v_add_u32_e32 v93, 0xb4, v1
	v_add3_u32 v94, v1, v94, 4
	s_mov_b64 s[10:11], 0
	v_mov_b32_e32 v95, v0
.LBB107_457:                            ; =>This Inner Loop Header: Depth=1
	buffer_load_dword v96, v94, s[0:3], 0 offen
	ds_read_b32 v97, v93
	v_add_u32_e32 v95, 1, v95
	v_cmp_lt_u32_e32 vcc, 2, v95
	v_add_u32_e32 v93, 4, v93
	v_add_u32_e32 v94, 4, v94
	s_or_b64 s[10:11], vcc, s[10:11]
	s_waitcnt vmcnt(0) lgkmcnt(0)
	v_fmac_f32_e32 v92, v96, v97
	s_andn2_b64 exec, exec, s[10:11]
	s_cbranch_execnz .LBB107_457
; %bb.458:
	s_or_b64 exec, exec, s[10:11]
.LBB107_459:
	s_or_b64 exec, exec, s[8:9]
	v_mov_b32_e32 v93, 0
	ds_read_b32 v93, v93 offset:16
	s_waitcnt lgkmcnt(0)
	v_mul_f32_e32 v92, v92, v93
	buffer_store_dword v92, off, s[0:3], 0 offset:16
.LBB107_460:
	s_or_b64 exec, exec, s[6:7]
	buffer_load_dword v92, off, s[0:3], 0 offset:20
	v_cmp_gt_u32_e32 vcc, 5, v0
	s_waitcnt vmcnt(0)
	ds_write_b32 v90, v92
	s_waitcnt lgkmcnt(0)
	; wave barrier
	s_waitcnt lgkmcnt(0)
	s_and_saveexec_b64 s[6:7], vcc
	s_cbranch_execz .LBB107_470
; %bb.461:
	s_and_b64 vcc, exec, s[4:5]
	s_cbranch_vccnz .LBB107_463
; %bb.462:
	buffer_load_dword v92, v91, s[0:3], 0 offen
	ds_read_b32 v93, v90
	s_waitcnt vmcnt(0) lgkmcnt(0)
	v_mul_f32_e32 v92, v92, v93
	s_cbranch_execz .LBB107_464
	s_branch .LBB107_465
.LBB107_463:
                                        ; implicit-def: $vgpr92
.LBB107_464:
	ds_read_b32 v92, v90
.LBB107_465:
	v_cmp_ne_u32_e32 vcc, 4, v0
	s_and_saveexec_b64 s[8:9], vcc
	s_cbranch_execz .LBB107_469
; %bb.466:
	v_mov_b32_e32 v94, 0
	v_add_u32_e32 v93, 0xb4, v1
	v_add3_u32 v94, v1, v94, 4
	s_mov_b64 s[10:11], 0
	v_mov_b32_e32 v95, v0
.LBB107_467:                            ; =>This Inner Loop Header: Depth=1
	buffer_load_dword v96, v94, s[0:3], 0 offen
	ds_read_b32 v97, v93
	v_add_u32_e32 v95, 1, v95
	v_cmp_lt_u32_e32 vcc, 3, v95
	v_add_u32_e32 v93, 4, v93
	v_add_u32_e32 v94, 4, v94
	s_or_b64 s[10:11], vcc, s[10:11]
	s_waitcnt vmcnt(0) lgkmcnt(0)
	v_fmac_f32_e32 v92, v96, v97
	s_andn2_b64 exec, exec, s[10:11]
	s_cbranch_execnz .LBB107_467
; %bb.468:
	s_or_b64 exec, exec, s[10:11]
.LBB107_469:
	s_or_b64 exec, exec, s[8:9]
	v_mov_b32_e32 v93, 0
	ds_read_b32 v93, v93 offset:20
	s_waitcnt lgkmcnt(0)
	v_mul_f32_e32 v92, v92, v93
	buffer_store_dword v92, off, s[0:3], 0 offset:20
.LBB107_470:
	;; [unrolled: 56-line block ×38, first 2 shown]
	s_or_b64 exec, exec, s[6:7]
	buffer_load_dword v92, off, s[0:3], 0 offset:168
	v_cmp_gt_u32_e64 s[6:7], 42, v0
	s_waitcnt vmcnt(0)
	ds_write_b32 v90, v92
	s_waitcnt lgkmcnt(0)
	; wave barrier
	s_waitcnt lgkmcnt(0)
	s_and_saveexec_b64 s[8:9], s[6:7]
	s_cbranch_execz .LBB107_840
; %bb.831:
	s_and_b64 vcc, exec, s[4:5]
	s_cbranch_vccnz .LBB107_833
; %bb.832:
	buffer_load_dword v92, v91, s[0:3], 0 offen
	ds_read_b32 v93, v90
	s_waitcnt vmcnt(0) lgkmcnt(0)
	v_mul_f32_e32 v92, v92, v93
	s_cbranch_execz .LBB107_834
	s_branch .LBB107_835
.LBB107_833:
                                        ; implicit-def: $vgpr92
.LBB107_834:
	ds_read_b32 v92, v90
.LBB107_835:
	v_cmp_ne_u32_e32 vcc, 41, v0
	s_and_saveexec_b64 s[10:11], vcc
	s_cbranch_execz .LBB107_839
; %bb.836:
	v_mov_b32_e32 v94, 0
	v_add_u32_e32 v93, 0xb4, v1
	v_add3_u32 v94, v1, v94, 4
	s_mov_b64 s[12:13], 0
	v_mov_b32_e32 v95, v0
.LBB107_837:                            ; =>This Inner Loop Header: Depth=1
	buffer_load_dword v96, v94, s[0:3], 0 offen
	ds_read_b32 v97, v93
	v_add_u32_e32 v95, 1, v95
	v_cmp_lt_u32_e32 vcc, 40, v95
	v_add_u32_e32 v93, 4, v93
	v_add_u32_e32 v94, 4, v94
	s_or_b64 s[12:13], vcc, s[12:13]
	s_waitcnt vmcnt(0) lgkmcnt(0)
	v_fmac_f32_e32 v92, v96, v97
	s_andn2_b64 exec, exec, s[12:13]
	s_cbranch_execnz .LBB107_837
; %bb.838:
	s_or_b64 exec, exec, s[12:13]
.LBB107_839:
	s_or_b64 exec, exec, s[10:11]
	v_mov_b32_e32 v93, 0
	ds_read_b32 v93, v93 offset:168
	s_waitcnt lgkmcnt(0)
	v_mul_f32_e32 v92, v92, v93
	buffer_store_dword v92, off, s[0:3], 0 offset:168
.LBB107_840:
	s_or_b64 exec, exec, s[8:9]
	buffer_load_dword v92, off, s[0:3], 0 offset:172
	v_cmp_ne_u32_e32 vcc, 43, v0
	s_waitcnt vmcnt(0)
	ds_write_b32 v90, v92
	s_waitcnt lgkmcnt(0)
	; wave barrier
	s_waitcnt lgkmcnt(0)
	s_and_saveexec_b64 s[8:9], vcc
	s_cbranch_execz .LBB107_850
; %bb.841:
	s_and_b64 vcc, exec, s[4:5]
	s_cbranch_vccnz .LBB107_843
; %bb.842:
	buffer_load_dword v91, v91, s[0:3], 0 offen
	ds_read_b32 v92, v90
	s_waitcnt vmcnt(0) lgkmcnt(0)
	v_mul_f32_e32 v91, v91, v92
	s_cbranch_execz .LBB107_844
	s_branch .LBB107_845
.LBB107_843:
                                        ; implicit-def: $vgpr91
.LBB107_844:
	ds_read_b32 v91, v90
.LBB107_845:
	s_and_saveexec_b64 s[4:5], s[6:7]
	s_cbranch_execz .LBB107_849
; %bb.846:
	v_mov_b32_e32 v92, 0
	v_add_u32_e32 v90, 0xb4, v1
	v_add3_u32 v1, v1, v92, 4
	s_mov_b64 s[6:7], 0
.LBB107_847:                            ; =>This Inner Loop Header: Depth=1
	buffer_load_dword v92, v1, s[0:3], 0 offen
	ds_read_b32 v93, v90
	v_add_u32_e32 v0, 1, v0
	v_cmp_lt_u32_e32 vcc, 41, v0
	v_add_u32_e32 v90, 4, v90
	v_add_u32_e32 v1, 4, v1
	s_or_b64 s[6:7], vcc, s[6:7]
	s_waitcnt vmcnt(0) lgkmcnt(0)
	v_fmac_f32_e32 v91, v92, v93
	s_andn2_b64 exec, exec, s[6:7]
	s_cbranch_execnz .LBB107_847
; %bb.848:
	s_or_b64 exec, exec, s[6:7]
.LBB107_849:
	s_or_b64 exec, exec, s[4:5]
	v_mov_b32_e32 v0, 0
	ds_read_b32 v0, v0 offset:172
	s_waitcnt lgkmcnt(0)
	v_mul_f32_e32 v0, v91, v0
	buffer_store_dword v0, off, s[0:3], 0 offset:172
.LBB107_850:
	s_or_b64 exec, exec, s[8:9]
.LBB107_851:
	buffer_load_dword v0, off, s[0:3], 0
	buffer_load_dword v1, off, s[0:3], 0 offset:4
	buffer_load_dword v90, off, s[0:3], 0 offset:8
	;; [unrolled: 1-line block ×31, first 2 shown]
	s_waitcnt vmcnt(31)
	global_store_dword v[76:77], v0, off
	s_waitcnt vmcnt(31)
	global_store_dword v[78:79], v1, off
	buffer_load_dword v0, off, s[0:3], 0 offset:128
	s_nop 0
	buffer_load_dword v1, off, s[0:3], 0 offset:132
	buffer_load_dword v76, off, s[0:3], 0 offset:136
	;; [unrolled: 1-line block ×7, first 2 shown]
	s_waitcnt vmcnt(39)
	global_store_dword v[2:3], v90, off
	buffer_load_dword v2, off, s[0:3], 0 offset:160
	s_nop 0
	buffer_load_dword v3, off, s[0:3], 0 offset:164
	buffer_load_dword v90, off, s[0:3], 0 offset:168
	;; [unrolled: 1-line block ×3, first 2 shown]
	s_waitcnt vmcnt(43)
	global_store_dword v[4:5], v91, off
	s_waitcnt vmcnt(43)
	global_store_dword v[6:7], v92, off
	;; [unrolled: 2-line block ×41, first 2 shown]
.LBB107_852:
	s_endpgm
	.section	.rodata,"a",@progbits
	.p2align	6, 0x0
	.amdhsa_kernel _ZN9rocsolver6v33100L18trti2_kernel_smallILi44EfPKPfEEv13rocblas_fill_17rocblas_diagonal_T1_iil
		.amdhsa_group_segment_fixed_size 352
		.amdhsa_private_segment_fixed_size 192
		.amdhsa_kernarg_size 32
		.amdhsa_user_sgpr_count 8
		.amdhsa_user_sgpr_private_segment_buffer 1
		.amdhsa_user_sgpr_dispatch_ptr 0
		.amdhsa_user_sgpr_queue_ptr 0
		.amdhsa_user_sgpr_kernarg_segment_ptr 1
		.amdhsa_user_sgpr_dispatch_id 0
		.amdhsa_user_sgpr_flat_scratch_init 1
		.amdhsa_user_sgpr_kernarg_preload_length 0
		.amdhsa_user_sgpr_kernarg_preload_offset 0
		.amdhsa_user_sgpr_private_segment_size 0
		.amdhsa_uses_dynamic_stack 0
		.amdhsa_system_sgpr_private_segment_wavefront_offset 1
		.amdhsa_system_sgpr_workgroup_id_x 1
		.amdhsa_system_sgpr_workgroup_id_y 0
		.amdhsa_system_sgpr_workgroup_id_z 0
		.amdhsa_system_sgpr_workgroup_info 0
		.amdhsa_system_vgpr_workitem_id 0
		.amdhsa_next_free_vgpr 124
		.amdhsa_next_free_sgpr 16
		.amdhsa_accum_offset 124
		.amdhsa_reserve_vcc 1
		.amdhsa_reserve_flat_scratch 0
		.amdhsa_float_round_mode_32 0
		.amdhsa_float_round_mode_16_64 0
		.amdhsa_float_denorm_mode_32 3
		.amdhsa_float_denorm_mode_16_64 3
		.amdhsa_dx10_clamp 1
		.amdhsa_ieee_mode 1
		.amdhsa_fp16_overflow 0
		.amdhsa_tg_split 0
		.amdhsa_exception_fp_ieee_invalid_op 0
		.amdhsa_exception_fp_denorm_src 0
		.amdhsa_exception_fp_ieee_div_zero 0
		.amdhsa_exception_fp_ieee_overflow 0
		.amdhsa_exception_fp_ieee_underflow 0
		.amdhsa_exception_fp_ieee_inexact 0
		.amdhsa_exception_int_div_zero 0
	.end_amdhsa_kernel
	.section	.text._ZN9rocsolver6v33100L18trti2_kernel_smallILi44EfPKPfEEv13rocblas_fill_17rocblas_diagonal_T1_iil,"axG",@progbits,_ZN9rocsolver6v33100L18trti2_kernel_smallILi44EfPKPfEEv13rocblas_fill_17rocblas_diagonal_T1_iil,comdat
.Lfunc_end107:
	.size	_ZN9rocsolver6v33100L18trti2_kernel_smallILi44EfPKPfEEv13rocblas_fill_17rocblas_diagonal_T1_iil, .Lfunc_end107-_ZN9rocsolver6v33100L18trti2_kernel_smallILi44EfPKPfEEv13rocblas_fill_17rocblas_diagonal_T1_iil
                                        ; -- End function
	.section	.AMDGPU.csdata,"",@progbits
; Kernel info:
; codeLenInByte = 21500
; NumSgprs: 20
; NumVgprs: 124
; NumAgprs: 0
; TotalNumVgprs: 124
; ScratchSize: 192
; MemoryBound: 0
; FloatMode: 240
; IeeeMode: 1
; LDSByteSize: 352 bytes/workgroup (compile time only)
; SGPRBlocks: 2
; VGPRBlocks: 15
; NumSGPRsForWavesPerEU: 20
; NumVGPRsForWavesPerEU: 124
; AccumOffset: 124
; Occupancy: 4
; WaveLimiterHint : 1
; COMPUTE_PGM_RSRC2:SCRATCH_EN: 1
; COMPUTE_PGM_RSRC2:USER_SGPR: 8
; COMPUTE_PGM_RSRC2:TRAP_HANDLER: 0
; COMPUTE_PGM_RSRC2:TGID_X_EN: 1
; COMPUTE_PGM_RSRC2:TGID_Y_EN: 0
; COMPUTE_PGM_RSRC2:TGID_Z_EN: 0
; COMPUTE_PGM_RSRC2:TIDIG_COMP_CNT: 0
; COMPUTE_PGM_RSRC3_GFX90A:ACCUM_OFFSET: 30
; COMPUTE_PGM_RSRC3_GFX90A:TG_SPLIT: 0
	.section	.text._ZN9rocsolver6v33100L18trti2_kernel_smallILi45EfPKPfEEv13rocblas_fill_17rocblas_diagonal_T1_iil,"axG",@progbits,_ZN9rocsolver6v33100L18trti2_kernel_smallILi45EfPKPfEEv13rocblas_fill_17rocblas_diagonal_T1_iil,comdat
	.globl	_ZN9rocsolver6v33100L18trti2_kernel_smallILi45EfPKPfEEv13rocblas_fill_17rocblas_diagonal_T1_iil ; -- Begin function _ZN9rocsolver6v33100L18trti2_kernel_smallILi45EfPKPfEEv13rocblas_fill_17rocblas_diagonal_T1_iil
	.p2align	8
	.type	_ZN9rocsolver6v33100L18trti2_kernel_smallILi45EfPKPfEEv13rocblas_fill_17rocblas_diagonal_T1_iil,@function
_ZN9rocsolver6v33100L18trti2_kernel_smallILi45EfPKPfEEv13rocblas_fill_17rocblas_diagonal_T1_iil: ; @_ZN9rocsolver6v33100L18trti2_kernel_smallILi45EfPKPfEEv13rocblas_fill_17rocblas_diagonal_T1_iil
; %bb.0:
	s_add_u32 s0, s0, s9
	s_addc_u32 s1, s1, 0
	v_cmp_gt_u32_e32 vcc, 45, v0
	s_and_saveexec_b64 s[6:7], vcc
	s_cbranch_execz .LBB108_872
; %bb.1:
	s_load_dwordx2 s[6:7], s[4:5], 0x10
	s_load_dwordx4 s[12:15], s[4:5], 0x0
	s_ashr_i32 s9, s8, 31
	s_lshl_b64 s[4:5], s[8:9], 3
	s_waitcnt lgkmcnt(0)
	s_ashr_i32 s9, s6, 31
	s_add_u32 s4, s14, s4
	s_addc_u32 s5, s15, s5
	s_load_dwordx2 s[4:5], s[4:5], 0x0
	s_mov_b32 s8, s6
	s_lshl_b64 s[8:9], s[8:9], 2
	s_waitcnt lgkmcnt(0)
	s_add_u32 s4, s4, s8
	s_addc_u32 s5, s5, s9
	s_add_i32 s6, s7, s7
	v_add_u32_e32 v4, s6, v0
	v_ashrrev_i32_e32 v5, 31, v4
	v_lshlrev_b64 v[2:3], 2, v[4:5]
	v_add_u32_e32 v6, s7, v4
	v_mov_b32_e32 v1, s5
	v_add_co_u32_e32 v2, vcc, s4, v2
	v_ashrrev_i32_e32 v7, 31, v6
	v_addc_co_u32_e32 v3, vcc, v1, v3, vcc
	v_lshlrev_b64 v[4:5], 2, v[6:7]
	v_add_u32_e32 v8, s7, v6
	v_add_co_u32_e32 v4, vcc, s4, v4
	v_ashrrev_i32_e32 v9, 31, v8
	v_addc_co_u32_e32 v5, vcc, v1, v5, vcc
	v_lshlrev_b64 v[6:7], 2, v[8:9]
	v_add_u32_e32 v10, s7, v8
	v_add_co_u32_e32 v6, vcc, s4, v6
	v_ashrrev_i32_e32 v11, 31, v10
	v_addc_co_u32_e32 v7, vcc, v1, v7, vcc
	v_lshlrev_b64 v[8:9], 2, v[10:11]
	v_add_u32_e32 v12, s7, v10
	v_add_co_u32_e32 v8, vcc, s4, v8
	v_ashrrev_i32_e32 v13, 31, v12
	v_addc_co_u32_e32 v9, vcc, v1, v9, vcc
	v_lshlrev_b64 v[10:11], 2, v[12:13]
	v_add_u32_e32 v14, s7, v12
	v_add_co_u32_e32 v10, vcc, s4, v10
	v_ashrrev_i32_e32 v15, 31, v14
	v_addc_co_u32_e32 v11, vcc, v1, v11, vcc
	v_lshlrev_b64 v[12:13], 2, v[14:15]
	v_add_u32_e32 v16, s7, v14
	v_add_co_u32_e32 v12, vcc, s4, v12
	v_ashrrev_i32_e32 v17, 31, v16
	v_addc_co_u32_e32 v13, vcc, v1, v13, vcc
	v_lshlrev_b64 v[14:15], 2, v[16:17]
	v_add_u32_e32 v18, s7, v16
	v_add_co_u32_e32 v14, vcc, s4, v14
	v_ashrrev_i32_e32 v19, 31, v18
	v_addc_co_u32_e32 v15, vcc, v1, v15, vcc
	v_lshlrev_b64 v[16:17], 2, v[18:19]
	v_add_u32_e32 v20, s7, v18
	v_add_co_u32_e32 v16, vcc, s4, v16
	v_ashrrev_i32_e32 v21, 31, v20
	v_addc_co_u32_e32 v17, vcc, v1, v17, vcc
	v_lshlrev_b64 v[18:19], 2, v[20:21]
	v_add_u32_e32 v22, s7, v20
	v_add_co_u32_e32 v18, vcc, s4, v18
	v_ashrrev_i32_e32 v23, 31, v22
	v_addc_co_u32_e32 v19, vcc, v1, v19, vcc
	v_lshlrev_b64 v[20:21], 2, v[22:23]
	v_add_u32_e32 v24, s7, v22
	v_add_co_u32_e32 v20, vcc, s4, v20
	v_ashrrev_i32_e32 v25, 31, v24
	v_addc_co_u32_e32 v21, vcc, v1, v21, vcc
	v_lshlrev_b64 v[22:23], 2, v[24:25]
	v_add_u32_e32 v26, s7, v24
	v_add_co_u32_e32 v22, vcc, s4, v22
	v_ashrrev_i32_e32 v27, 31, v26
	v_addc_co_u32_e32 v23, vcc, v1, v23, vcc
	v_lshlrev_b64 v[24:25], 2, v[26:27]
	v_add_u32_e32 v28, s7, v26
	v_add_co_u32_e32 v24, vcc, s4, v24
	v_ashrrev_i32_e32 v29, 31, v28
	v_addc_co_u32_e32 v25, vcc, v1, v25, vcc
	v_lshlrev_b64 v[26:27], 2, v[28:29]
	v_add_u32_e32 v30, s7, v28
	v_add_co_u32_e32 v26, vcc, s4, v26
	v_ashrrev_i32_e32 v31, 31, v30
	v_addc_co_u32_e32 v27, vcc, v1, v27, vcc
	v_lshlrev_b64 v[28:29], 2, v[30:31]
	v_add_u32_e32 v32, s7, v30
	v_add_co_u32_e32 v28, vcc, s4, v28
	v_ashrrev_i32_e32 v33, 31, v32
	v_addc_co_u32_e32 v29, vcc, v1, v29, vcc
	v_lshlrev_b64 v[30:31], 2, v[32:33]
	v_add_u32_e32 v34, s7, v32
	v_add_co_u32_e32 v30, vcc, s4, v30
	v_ashrrev_i32_e32 v35, 31, v34
	v_addc_co_u32_e32 v31, vcc, v1, v31, vcc
	v_lshlrev_b64 v[32:33], 2, v[34:35]
	v_add_u32_e32 v36, s7, v34
	v_add_co_u32_e32 v32, vcc, s4, v32
	v_ashrrev_i32_e32 v37, 31, v36
	v_addc_co_u32_e32 v33, vcc, v1, v33, vcc
	v_lshlrev_b64 v[34:35], 2, v[36:37]
	v_add_u32_e32 v38, s7, v36
	v_add_co_u32_e32 v34, vcc, s4, v34
	v_ashrrev_i32_e32 v39, 31, v38
	v_addc_co_u32_e32 v35, vcc, v1, v35, vcc
	v_lshlrev_b64 v[36:37], 2, v[38:39]
	v_add_u32_e32 v40, s7, v38
	v_add_co_u32_e32 v36, vcc, s4, v36
	v_ashrrev_i32_e32 v41, 31, v40
	v_addc_co_u32_e32 v37, vcc, v1, v37, vcc
	v_lshlrev_b64 v[38:39], 2, v[40:41]
	v_add_u32_e32 v42, s7, v40
	v_add_co_u32_e32 v38, vcc, s4, v38
	v_ashrrev_i32_e32 v43, 31, v42
	v_addc_co_u32_e32 v39, vcc, v1, v39, vcc
	v_lshlrev_b64 v[40:41], 2, v[42:43]
	v_add_u32_e32 v44, s7, v42
	v_add_co_u32_e32 v40, vcc, s4, v40
	v_ashrrev_i32_e32 v45, 31, v44
	v_addc_co_u32_e32 v41, vcc, v1, v41, vcc
	v_lshlrev_b64 v[42:43], 2, v[44:45]
	v_add_u32_e32 v46, s7, v44
	v_add_co_u32_e32 v42, vcc, s4, v42
	v_ashrrev_i32_e32 v47, 31, v46
	v_addc_co_u32_e32 v43, vcc, v1, v43, vcc
	v_lshlrev_b64 v[44:45], 2, v[46:47]
	v_add_u32_e32 v48, s7, v46
	v_add_co_u32_e32 v44, vcc, s4, v44
	v_ashrrev_i32_e32 v49, 31, v48
	v_addc_co_u32_e32 v45, vcc, v1, v45, vcc
	v_lshlrev_b64 v[46:47], 2, v[48:49]
	v_add_u32_e32 v50, s7, v48
	v_add_co_u32_e32 v46, vcc, s4, v46
	v_ashrrev_i32_e32 v51, 31, v50
	v_addc_co_u32_e32 v47, vcc, v1, v47, vcc
	v_lshlrev_b64 v[48:49], 2, v[50:51]
	v_add_u32_e32 v52, s7, v50
	v_add_co_u32_e32 v48, vcc, s4, v48
	v_ashrrev_i32_e32 v53, 31, v52
	v_addc_co_u32_e32 v49, vcc, v1, v49, vcc
	v_lshlrev_b64 v[50:51], 2, v[52:53]
	v_add_u32_e32 v54, s7, v52
	v_add_co_u32_e32 v50, vcc, s4, v50
	v_ashrrev_i32_e32 v55, 31, v54
	v_addc_co_u32_e32 v51, vcc, v1, v51, vcc
	v_lshlrev_b64 v[52:53], 2, v[54:55]
	v_add_u32_e32 v56, s7, v54
	v_add_co_u32_e32 v52, vcc, s4, v52
	v_ashrrev_i32_e32 v57, 31, v56
	v_addc_co_u32_e32 v53, vcc, v1, v53, vcc
	v_lshlrev_b64 v[54:55], 2, v[56:57]
	v_add_u32_e32 v58, s7, v56
	v_add_co_u32_e32 v54, vcc, s4, v54
	v_ashrrev_i32_e32 v59, 31, v58
	v_addc_co_u32_e32 v55, vcc, v1, v55, vcc
	v_lshlrev_b64 v[56:57], 2, v[58:59]
	v_add_u32_e32 v60, s7, v58
	v_add_co_u32_e32 v56, vcc, s4, v56
	v_ashrrev_i32_e32 v61, 31, v60
	v_addc_co_u32_e32 v57, vcc, v1, v57, vcc
	v_lshlrev_b64 v[58:59], 2, v[60:61]
	v_add_u32_e32 v62, s7, v60
	v_add_co_u32_e32 v58, vcc, s4, v58
	v_ashrrev_i32_e32 v63, 31, v62
	v_addc_co_u32_e32 v59, vcc, v1, v59, vcc
	v_lshlrev_b64 v[60:61], 2, v[62:63]
	v_add_u32_e32 v64, s7, v62
	v_add_co_u32_e32 v60, vcc, s4, v60
	v_ashrrev_i32_e32 v65, 31, v64
	v_addc_co_u32_e32 v61, vcc, v1, v61, vcc
	v_lshlrev_b64 v[62:63], 2, v[64:65]
	v_add_u32_e32 v66, s7, v64
	v_add_co_u32_e32 v62, vcc, s4, v62
	v_ashrrev_i32_e32 v67, 31, v66
	v_addc_co_u32_e32 v63, vcc, v1, v63, vcc
	v_lshlrev_b64 v[64:65], 2, v[66:67]
	v_add_u32_e32 v68, s7, v66
	v_add_co_u32_e32 v64, vcc, s4, v64
	v_ashrrev_i32_e32 v69, 31, v68
	v_addc_co_u32_e32 v65, vcc, v1, v65, vcc
	v_lshlrev_b64 v[66:67], 2, v[68:69]
	v_add_u32_e32 v70, s7, v68
	v_add_co_u32_e32 v66, vcc, s4, v66
	v_ashrrev_i32_e32 v71, 31, v70
	v_addc_co_u32_e32 v67, vcc, v1, v67, vcc
	v_lshlrev_b64 v[68:69], 2, v[70:71]
	v_add_u32_e32 v72, s7, v70
	v_add_co_u32_e32 v68, vcc, s4, v68
	v_ashrrev_i32_e32 v73, 31, v72
	v_addc_co_u32_e32 v69, vcc, v1, v69, vcc
	v_lshlrev_b64 v[70:71], 2, v[72:73]
	v_add_co_u32_e32 v70, vcc, s4, v70
	v_addc_co_u32_e32 v71, vcc, v1, v71, vcc
	v_lshlrev_b32_e32 v1, 2, v0
	v_add_u32_e32 v74, s7, v72
	v_mov_b32_e32 v72, s5
	v_add_co_u32_e32 v76, vcc, s4, v1
	s_ashr_i32 s9, s7, 31
	s_mov_b32 s8, s7
	v_addc_co_u32_e32 v77, vcc, 0, v72, vcc
	s_lshl_b64 s[8:9], s[8:9], 2
	v_mov_b32_e32 v72, s9
	v_add_co_u32_e32 v80, vcc, s8, v76
	v_addc_co_u32_e32 v81, vcc, v77, v72, vcc
	global_load_dword v92, v1, s[4:5]
	global_load_dword v93, v[80:81], off
	global_load_dword v94, v[2:3], off
	;; [unrolled: 1-line block ×16, first 2 shown]
	v_ashrrev_i32_e32 v75, 31, v74
	v_lshlrev_b64 v[72:73], 2, v[74:75]
	v_mov_b32_e32 v78, s5
	v_add_co_u32_e32 v72, vcc, s4, v72
	v_addc_co_u32_e32 v73, vcc, v78, v73, vcc
	v_add_u32_e32 v78, s7, v74
	v_ashrrev_i32_e32 v79, 31, v78
	v_lshlrev_b64 v[74:75], 2, v[78:79]
	v_mov_b32_e32 v82, s5
	v_add_co_u32_e32 v74, vcc, s4, v74
	v_addc_co_u32_e32 v75, vcc, v82, v75, vcc
	v_add_u32_e32 v82, s7, v78
	;; [unrolled: 6-line block ×6, first 2 shown]
	v_ashrrev_i32_e32 v91, 31, v90
	v_lshlrev_b64 v[88:89], 2, v[90:91]
	v_add_u32_e32 v90, s7, v90
	v_mov_b32_e32 v109, s5
	v_add_co_u32_e32 v88, vcc, s4, v88
	v_ashrrev_i32_e32 v91, 31, v90
	v_addc_co_u32_e32 v89, vcc, v109, v89, vcc
	v_lshlrev_b64 v[90:91], 2, v[90:91]
	v_add_co_u32_e32 v90, vcc, s4, v90
	v_addc_co_u32_e32 v91, vcc, v109, v91, vcc
	global_load_dword v109, v[90:91], off
	s_waitcnt vmcnt(17)
	buffer_store_dword v92, off, s[0:3], 0
	s_waitcnt vmcnt(17)
	buffer_store_dword v93, off, s[0:3], 0 offset:4
	s_waitcnt vmcnt(17)
	buffer_store_dword v94, off, s[0:3], 0 offset:8
	;; [unrolled: 2-line block ×7, first 2 shown]
	global_load_dword v92, v[32:33], off
	global_load_dword v93, v[34:35], off
	;; [unrolled: 1-line block ×16, first 2 shown]
	s_cmpk_lg_i32 s13, 0x84
	s_waitcnt vmcnt(33)
	buffer_store_dword v100, off, s[0:3], 0 offset:32
	global_load_dword v100, v[64:65], off
	s_nop 0
	global_load_dword v118, v[82:83], off
	global_load_dword v119, v[74:75], off
	global_load_dword v120, v[72:73], off
	global_load_dword v121, v[70:71], off
	global_load_dword v122, v[68:69], off
	global_load_dword v123, v[66:67], off
	s_cselect_b64 s[10:11], -1, 0
	s_waitcnt vmcnt(40)
	buffer_store_dword v101, off, s[0:3], 0 offset:36
	global_load_dword v101, v[78:79], off
	s_waitcnt vmcnt(36)
	buffer_store_dword v107, off, s[0:3], 0 offset:44
	s_waitcnt vmcnt(36)
	buffer_store_dword v108, off, s[0:3], 0 offset:40
	buffer_store_dword v102, off, s[0:3], 0 offset:48
	global_load_dword v107, v[84:85], off
	s_nop 0
	global_load_dword v102, v[88:89], off
	global_load_dword v108, v[86:87], off
	s_nop 0
	buffer_store_dword v103, off, s[0:3], 0 offset:52
	buffer_store_dword v104, off, s[0:3], 0 offset:56
	buffer_store_dword v105, off, s[0:3], 0 offset:60
	buffer_store_dword v106, off, s[0:3], 0 offset:64
	s_waitcnt vmcnt(35)
	buffer_store_dword v92, off, s[0:3], 0 offset:68
	s_waitcnt vmcnt(35)
	buffer_store_dword v93, off, s[0:3], 0 offset:72
	;; [unrolled: 2-line block ×5, first 2 shown]
	buffer_store_dword v96, off, s[0:3], 0 offset:92
	buffer_store_dword v97, off, s[0:3], 0 offset:88
	s_waitcnt vmcnt(34)
	buffer_store_dword v110, off, s[0:3], 0 offset:100
	buffer_store_dword v95, off, s[0:3], 0 offset:96
	s_waitcnt vmcnt(30)
	buffer_store_dword v116, off, s[0:3], 0 offset:108
	s_waitcnt vmcnt(30)
	buffer_store_dword v117, off, s[0:3], 0 offset:104
	buffer_store_dword v114, off, s[0:3], 0 offset:116
	;; [unrolled: 1-line block ×5, first 2 shown]
	s_waitcnt vmcnt(33)
	buffer_store_dword v100, off, s[0:3], 0 offset:132
	buffer_store_dword v111, off, s[0:3], 0 offset:128
	s_waitcnt vmcnt(30)
	buffer_store_dword v122, off, s[0:3], 0 offset:140
	s_waitcnt vmcnt(30)
	buffer_store_dword v123, off, s[0:3], 0 offset:136
	buffer_store_dword v120, off, s[0:3], 0 offset:148
	;; [unrolled: 1-line block ×3, first 2 shown]
	s_waitcnt vmcnt(31)
	buffer_store_dword v101, off, s[0:3], 0 offset:156
	buffer_store_dword v119, off, s[0:3], 0 offset:152
	s_waitcnt vmcnt(29)
	buffer_store_dword v107, off, s[0:3], 0 offset:164
	buffer_store_dword v118, off, s[0:3], 0 offset:160
	s_waitcnt vmcnt(30)
	buffer_store_dword v102, off, s[0:3], 0 offset:172
	s_waitcnt vmcnt(30)
	buffer_store_dword v108, off, s[0:3], 0 offset:168
	buffer_store_dword v109, off, s[0:3], 0 offset:176
	s_cmpk_eq_i32 s13, 0x84
	v_mov_b32_e32 v114, 0
	v_mov_b32_e32 v92, -1.0
	s_cbranch_scc1 .LBB108_3
; %bb.2:
	v_lshl_add_u32 v92, v0, 2, v114
	buffer_load_dword v93, v92, s[0:3], 0 offen
	s_waitcnt vmcnt(0)
	v_div_scale_f32 v94, s[4:5], v93, v93, 1.0
	v_rcp_f32_e32 v95, v94
	v_div_scale_f32 v96, vcc, 1.0, v93, 1.0
	v_fma_f32 v97, -v94, v95, 1.0
	v_fmac_f32_e32 v95, v97, v95
	v_mul_f32_e32 v97, v96, v95
	v_fma_f32 v98, -v94, v97, v96
	v_fmac_f32_e32 v97, v98, v95
	v_fma_f32 v94, -v94, v97, v96
	v_div_fmas_f32 v94, v94, v95, v97
	v_div_fixup_f32 v93, v94, v93, 1.0
	buffer_store_dword v93, v92, s[0:3], 0 offen
	v_xor_b32_e32 v92, 0x80000000, v93
.LBB108_3:
	ds_write_b32 v1, v92
	s_cmpk_eq_i32 s12, 0x79
	v_add_u32_e32 v92, 0xc0, v1
	v_add_u32_e32 v93, 0, v1
	s_mov_b64 s[4:5], -1
	s_cbranch_scc1 .LBB108_437
; %bb.4:
	buffer_load_dword v94, off, s[0:3], 0 offset:172
	v_cmp_eq_u32_e64 s[4:5], 44, v0
	s_waitcnt vmcnt(0)
	ds_write_b32 v92, v94
	s_waitcnt lgkmcnt(0)
	; wave barrier
	s_waitcnt lgkmcnt(0)
	s_and_saveexec_b64 s[6:7], s[4:5]
	s_cbranch_execz .LBB108_10
; %bb.5:
	s_and_b64 vcc, exec, s[10:11]
	s_cbranch_vccz .LBB108_7
; %bb.6:
	buffer_load_dword v94, v93, s[0:3], 0 offen
	ds_read_b32 v95, v92
	s_waitcnt vmcnt(0) lgkmcnt(0)
	v_mul_f32_e32 v94, v94, v95
	s_cbranch_execz .LBB108_8
	s_branch .LBB108_9
.LBB108_7:
                                        ; implicit-def: $vgpr94
.LBB108_8:
	ds_read_b32 v94, v92
.LBB108_9:
	v_mov_b32_e32 v95, 0
	ds_read_b32 v95, v95 offset:172
	s_waitcnt lgkmcnt(0)
	v_mul_f32_e32 v94, v94, v95
	buffer_store_dword v94, off, s[0:3], 0 offset:172
.LBB108_10:
	s_or_b64 exec, exec, s[6:7]
	buffer_load_dword v115, off, s[0:3], 0 offset:168
	v_or_b32_e32 v94, 8, v114
	v_add_u32_e32 v95, 16, v114
	v_add_u32_e32 v96, 24, v114
	;; [unrolled: 1-line block ×20, first 2 shown]
	v_cmp_lt_u32_e64 s[8:9], 42, v0
	s_waitcnt vmcnt(0)
	ds_write_b32 v92, v115
	s_waitcnt lgkmcnt(0)
	; wave barrier
	s_waitcnt lgkmcnt(0)
	s_and_saveexec_b64 s[6:7], s[8:9]
	s_cbranch_execz .LBB108_16
; %bb.11:
	s_andn2_b64 vcc, exec, s[10:11]
	s_cbranch_vccnz .LBB108_13
; %bb.12:
	buffer_load_dword v115, v93, s[0:3], 0 offen
	ds_read_b32 v116, v92
	s_waitcnt vmcnt(0) lgkmcnt(0)
	v_mul_f32_e32 v115, v115, v116
	s_cbranch_execz .LBB108_14
	s_branch .LBB108_15
.LBB108_13:
                                        ; implicit-def: $vgpr115
.LBB108_14:
	ds_read_b32 v115, v92
.LBB108_15:
	buffer_load_dword v118, off, s[0:3], 0 offset:172
	v_mov_b32_e32 v116, 0
	ds_read2_b32 v[116:117], v116 offset0:42 offset1:91
	s_waitcnt vmcnt(0) lgkmcnt(0)
	v_fma_f32 v117, v118, v117, v115
	v_cndmask_b32_e64 v115, v115, v117, s[4:5]
	v_mul_f32_e32 v115, v115, v116
	buffer_store_dword v115, off, s[0:3], 0 offset:168
.LBB108_16:
	s_or_b64 exec, exec, s[6:7]
	buffer_load_dword v115, off, s[0:3], 0 offset:164
	v_cmp_lt_u32_e64 s[6:7], 41, v0
	s_waitcnt vmcnt(0)
	ds_write_b32 v92, v115
	s_waitcnt lgkmcnt(0)
	; wave barrier
	s_waitcnt lgkmcnt(0)
	s_and_saveexec_b64 s[4:5], s[6:7]
	s_cbranch_execz .LBB108_26
; %bb.17:
	s_andn2_b64 vcc, exec, s[10:11]
	s_cbranch_vccnz .LBB108_19
; %bb.18:
	buffer_load_dword v115, v93, s[0:3], 0 offen
	ds_read_b32 v116, v92
	s_waitcnt vmcnt(0) lgkmcnt(0)
	v_mul_f32_e32 v115, v115, v116
	s_cbranch_execz .LBB108_20
	s_branch .LBB108_21
.LBB108_19:
                                        ; implicit-def: $vgpr115
.LBB108_20:
	ds_read_b32 v115, v92
.LBB108_21:
	s_and_saveexec_b64 s[12:13], s[8:9]
	s_cbranch_execz .LBB108_25
; %bb.22:
	v_subrev_u32_e32 v116, 42, v0
	s_movk_i32 s14, 0x168
	s_mov_b64 s[8:9], 0
.LBB108_23:                             ; =>This Inner Loop Header: Depth=1
	buffer_load_dword v117, v114, s[0:3], 0 offen
	v_mov_b32_e32 v118, s14
	ds_read_b32 v118, v118
	v_add_u32_e32 v116, -1, v116
	s_add_i32 s14, s14, 4
	v_cmp_eq_u32_e32 vcc, 0, v116
	v_add_u32_e32 v114, 4, v114
	s_or_b64 s[8:9], vcc, s[8:9]
	s_waitcnt vmcnt(0) lgkmcnt(0)
	v_fmac_f32_e32 v115, v117, v118
	s_andn2_b64 exec, exec, s[8:9]
	s_cbranch_execnz .LBB108_23
; %bb.24:
	s_or_b64 exec, exec, s[8:9]
.LBB108_25:
	s_or_b64 exec, exec, s[12:13]
	v_mov_b32_e32 v114, 0
	ds_read_b32 v114, v114 offset:164
	s_waitcnt lgkmcnt(0)
	v_mul_f32_e32 v114, v115, v114
	buffer_store_dword v114, off, s[0:3], 0 offset:164
.LBB108_26:
	s_or_b64 exec, exec, s[4:5]
	buffer_load_dword v114, off, s[0:3], 0 offset:160
	v_cmp_lt_u32_e64 s[4:5], 40, v0
	s_waitcnt vmcnt(0)
	ds_write_b32 v92, v114
	s_waitcnt lgkmcnt(0)
	; wave barrier
	s_waitcnt lgkmcnt(0)
	s_and_saveexec_b64 s[8:9], s[4:5]
	s_cbranch_execz .LBB108_36
; %bb.27:
	s_andn2_b64 vcc, exec, s[10:11]
	s_cbranch_vccnz .LBB108_29
; %bb.28:
	buffer_load_dword v114, v93, s[0:3], 0 offen
	ds_read_b32 v115, v92
	s_waitcnt vmcnt(0) lgkmcnt(0)
	v_mul_f32_e32 v114, v114, v115
	s_cbranch_execz .LBB108_30
	s_branch .LBB108_31
.LBB108_29:
                                        ; implicit-def: $vgpr114
.LBB108_30:
	ds_read_b32 v114, v92
.LBB108_31:
	s_and_saveexec_b64 s[12:13], s[6:7]
	s_cbranch_execz .LBB108_35
; %bb.32:
	v_mov_b32_e32 v115, 0
	v_add_u32_e32 v115, 0xa4, v115
	v_subrev_u32_e32 v116, 41, v0
	s_movk_i32 s14, 0x164
	s_mov_b64 s[6:7], 0
.LBB108_33:                             ; =>This Inner Loop Header: Depth=1
	buffer_load_dword v117, v115, s[0:3], 0 offen
	v_mov_b32_e32 v118, s14
	ds_read_b32 v118, v118
	v_add_u32_e32 v116, -1, v116
	s_add_i32 s14, s14, 4
	v_cmp_eq_u32_e32 vcc, 0, v116
	v_add_u32_e32 v115, 4, v115
	s_or_b64 s[6:7], vcc, s[6:7]
	s_waitcnt vmcnt(0) lgkmcnt(0)
	v_fmac_f32_e32 v114, v117, v118
	s_andn2_b64 exec, exec, s[6:7]
	s_cbranch_execnz .LBB108_33
; %bb.34:
	s_or_b64 exec, exec, s[6:7]
.LBB108_35:
	s_or_b64 exec, exec, s[12:13]
	v_mov_b32_e32 v115, 0
	ds_read_b32 v115, v115 offset:160
	s_waitcnt lgkmcnt(0)
	v_mul_f32_e32 v114, v114, v115
	buffer_store_dword v114, off, s[0:3], 0 offset:160
.LBB108_36:
	s_or_b64 exec, exec, s[8:9]
	buffer_load_dword v114, off, s[0:3], 0 offset:156
	v_cmp_lt_u32_e64 s[6:7], 39, v0
	s_waitcnt vmcnt(0)
	ds_write_b32 v92, v114
	s_waitcnt lgkmcnt(0)
	; wave barrier
	s_waitcnt lgkmcnt(0)
	s_and_saveexec_b64 s[8:9], s[6:7]
	s_cbranch_execz .LBB108_46
; %bb.37:
	s_andn2_b64 vcc, exec, s[10:11]
	s_cbranch_vccnz .LBB108_39
; %bb.38:
	buffer_load_dword v114, v93, s[0:3], 0 offen
	ds_read_b32 v115, v92
	s_waitcnt vmcnt(0) lgkmcnt(0)
	v_mul_f32_e32 v114, v114, v115
	s_cbranch_execz .LBB108_40
	s_branch .LBB108_41
.LBB108_39:
                                        ; implicit-def: $vgpr114
.LBB108_40:
	ds_read_b32 v114, v92
.LBB108_41:
	s_and_saveexec_b64 s[12:13], s[4:5]
	s_cbranch_execz .LBB108_45
; %bb.42:
	v_subrev_u32_e32 v115, 40, v0
	s_movk_i32 s14, 0x160
	s_mov_b64 s[4:5], 0
.LBB108_43:                             ; =>This Inner Loop Header: Depth=1
	buffer_load_dword v116, v113, s[0:3], 0 offen
	v_mov_b32_e32 v117, s14
	ds_read_b32 v117, v117
	v_add_u32_e32 v115, -1, v115
	s_add_i32 s14, s14, 4
	v_cmp_eq_u32_e32 vcc, 0, v115
	v_add_u32_e32 v113, 4, v113
	s_or_b64 s[4:5], vcc, s[4:5]
	s_waitcnt vmcnt(0) lgkmcnt(0)
	v_fmac_f32_e32 v114, v116, v117
	s_andn2_b64 exec, exec, s[4:5]
	s_cbranch_execnz .LBB108_43
; %bb.44:
	s_or_b64 exec, exec, s[4:5]
.LBB108_45:
	s_or_b64 exec, exec, s[12:13]
	v_mov_b32_e32 v113, 0
	ds_read_b32 v113, v113 offset:156
	s_waitcnt lgkmcnt(0)
	v_mul_f32_e32 v113, v114, v113
	buffer_store_dword v113, off, s[0:3], 0 offset:156
.LBB108_46:
	s_or_b64 exec, exec, s[8:9]
	buffer_load_dword v113, off, s[0:3], 0 offset:152
	v_cmp_lt_u32_e64 s[4:5], 38, v0
	s_waitcnt vmcnt(0)
	ds_write_b32 v92, v113
	s_waitcnt lgkmcnt(0)
	; wave barrier
	s_waitcnt lgkmcnt(0)
	s_and_saveexec_b64 s[8:9], s[4:5]
	s_cbranch_execz .LBB108_56
; %bb.47:
	s_andn2_b64 vcc, exec, s[10:11]
	s_cbranch_vccnz .LBB108_49
; %bb.48:
	buffer_load_dword v113, v93, s[0:3], 0 offen
	ds_read_b32 v114, v92
	s_waitcnt vmcnt(0) lgkmcnt(0)
	v_mul_f32_e32 v113, v113, v114
	s_cbranch_execz .LBB108_50
	s_branch .LBB108_51
.LBB108_49:
                                        ; implicit-def: $vgpr113
.LBB108_50:
	ds_read_b32 v113, v92
.LBB108_51:
	s_and_saveexec_b64 s[12:13], s[6:7]
	s_cbranch_execz .LBB108_55
; %bb.52:
	v_mov_b32_e32 v114, 0
	v_add_u32_e32 v114, 0x9c, v114
	v_subrev_u32_e32 v115, 39, v0
	s_movk_i32 s14, 0x15c
	s_mov_b64 s[6:7], 0
.LBB108_53:                             ; =>This Inner Loop Header: Depth=1
	buffer_load_dword v116, v114, s[0:3], 0 offen
	v_mov_b32_e32 v117, s14
	ds_read_b32 v117, v117
	v_add_u32_e32 v115, -1, v115
	s_add_i32 s14, s14, 4
	v_cmp_eq_u32_e32 vcc, 0, v115
	v_add_u32_e32 v114, 4, v114
	s_or_b64 s[6:7], vcc, s[6:7]
	s_waitcnt vmcnt(0) lgkmcnt(0)
	v_fmac_f32_e32 v113, v116, v117
	s_andn2_b64 exec, exec, s[6:7]
	s_cbranch_execnz .LBB108_53
; %bb.54:
	s_or_b64 exec, exec, s[6:7]
.LBB108_55:
	s_or_b64 exec, exec, s[12:13]
	v_mov_b32_e32 v114, 0
	ds_read_b32 v114, v114 offset:152
	s_waitcnt lgkmcnt(0)
	v_mul_f32_e32 v113, v113, v114
	buffer_store_dword v113, off, s[0:3], 0 offset:152
.LBB108_56:
	s_or_b64 exec, exec, s[8:9]
	buffer_load_dword v113, off, s[0:3], 0 offset:148
	v_cmp_lt_u32_e64 s[6:7], 37, v0
	s_waitcnt vmcnt(0)
	ds_write_b32 v92, v113
	s_waitcnt lgkmcnt(0)
	; wave barrier
	s_waitcnt lgkmcnt(0)
	s_and_saveexec_b64 s[8:9], s[6:7]
	s_cbranch_execz .LBB108_66
; %bb.57:
	s_andn2_b64 vcc, exec, s[10:11]
	s_cbranch_vccnz .LBB108_59
; %bb.58:
	buffer_load_dword v113, v93, s[0:3], 0 offen
	ds_read_b32 v114, v92
	s_waitcnt vmcnt(0) lgkmcnt(0)
	v_mul_f32_e32 v113, v113, v114
	s_cbranch_execz .LBB108_60
	s_branch .LBB108_61
.LBB108_59:
                                        ; implicit-def: $vgpr113
.LBB108_60:
	ds_read_b32 v113, v92
.LBB108_61:
	s_and_saveexec_b64 s[12:13], s[4:5]
	s_cbranch_execz .LBB108_65
; %bb.62:
	v_subrev_u32_e32 v114, 38, v0
	s_movk_i32 s14, 0x158
	s_mov_b64 s[4:5], 0
.LBB108_63:                             ; =>This Inner Loop Header: Depth=1
	buffer_load_dword v115, v112, s[0:3], 0 offen
	v_mov_b32_e32 v116, s14
	ds_read_b32 v116, v116
	v_add_u32_e32 v114, -1, v114
	s_add_i32 s14, s14, 4
	v_cmp_eq_u32_e32 vcc, 0, v114
	v_add_u32_e32 v112, 4, v112
	s_or_b64 s[4:5], vcc, s[4:5]
	s_waitcnt vmcnt(0) lgkmcnt(0)
	v_fmac_f32_e32 v113, v115, v116
	s_andn2_b64 exec, exec, s[4:5]
	s_cbranch_execnz .LBB108_63
; %bb.64:
	s_or_b64 exec, exec, s[4:5]
.LBB108_65:
	s_or_b64 exec, exec, s[12:13]
	v_mov_b32_e32 v112, 0
	ds_read_b32 v112, v112 offset:148
	s_waitcnt lgkmcnt(0)
	v_mul_f32_e32 v112, v113, v112
	buffer_store_dword v112, off, s[0:3], 0 offset:148
.LBB108_66:
	s_or_b64 exec, exec, s[8:9]
	buffer_load_dword v112, off, s[0:3], 0 offset:144
	v_cmp_lt_u32_e64 s[4:5], 36, v0
	s_waitcnt vmcnt(0)
	ds_write_b32 v92, v112
	s_waitcnt lgkmcnt(0)
	; wave barrier
	s_waitcnt lgkmcnt(0)
	s_and_saveexec_b64 s[8:9], s[4:5]
	s_cbranch_execz .LBB108_76
; %bb.67:
	s_andn2_b64 vcc, exec, s[10:11]
	s_cbranch_vccnz .LBB108_69
; %bb.68:
	buffer_load_dword v112, v93, s[0:3], 0 offen
	ds_read_b32 v113, v92
	s_waitcnt vmcnt(0) lgkmcnt(0)
	v_mul_f32_e32 v112, v112, v113
	s_cbranch_execz .LBB108_70
	s_branch .LBB108_71
.LBB108_69:
                                        ; implicit-def: $vgpr112
.LBB108_70:
	ds_read_b32 v112, v92
.LBB108_71:
	s_and_saveexec_b64 s[12:13], s[6:7]
	s_cbranch_execz .LBB108_75
; %bb.72:
	v_mov_b32_e32 v113, 0
	v_add_u32_e32 v113, 0x94, v113
	v_subrev_u32_e32 v114, 37, v0
	s_movk_i32 s14, 0x154
	s_mov_b64 s[6:7], 0
.LBB108_73:                             ; =>This Inner Loop Header: Depth=1
	buffer_load_dword v115, v113, s[0:3], 0 offen
	v_mov_b32_e32 v116, s14
	ds_read_b32 v116, v116
	v_add_u32_e32 v114, -1, v114
	s_add_i32 s14, s14, 4
	v_cmp_eq_u32_e32 vcc, 0, v114
	v_add_u32_e32 v113, 4, v113
	s_or_b64 s[6:7], vcc, s[6:7]
	s_waitcnt vmcnt(0) lgkmcnt(0)
	v_fmac_f32_e32 v112, v115, v116
	s_andn2_b64 exec, exec, s[6:7]
	s_cbranch_execnz .LBB108_73
; %bb.74:
	s_or_b64 exec, exec, s[6:7]
.LBB108_75:
	s_or_b64 exec, exec, s[12:13]
	v_mov_b32_e32 v113, 0
	ds_read_b32 v113, v113 offset:144
	s_waitcnt lgkmcnt(0)
	v_mul_f32_e32 v112, v112, v113
	buffer_store_dword v112, off, s[0:3], 0 offset:144
.LBB108_76:
	s_or_b64 exec, exec, s[8:9]
	buffer_load_dword v112, off, s[0:3], 0 offset:140
	v_cmp_lt_u32_e64 s[6:7], 35, v0
	s_waitcnt vmcnt(0)
	ds_write_b32 v92, v112
	s_waitcnt lgkmcnt(0)
	; wave barrier
	s_waitcnt lgkmcnt(0)
	s_and_saveexec_b64 s[8:9], s[6:7]
	s_cbranch_execz .LBB108_86
; %bb.77:
	s_andn2_b64 vcc, exec, s[10:11]
	s_cbranch_vccnz .LBB108_79
; %bb.78:
	buffer_load_dword v112, v93, s[0:3], 0 offen
	ds_read_b32 v113, v92
	s_waitcnt vmcnt(0) lgkmcnt(0)
	v_mul_f32_e32 v112, v112, v113
	s_cbranch_execz .LBB108_80
	s_branch .LBB108_81
.LBB108_79:
                                        ; implicit-def: $vgpr112
.LBB108_80:
	ds_read_b32 v112, v92
.LBB108_81:
	s_and_saveexec_b64 s[12:13], s[4:5]
	s_cbranch_execz .LBB108_85
; %bb.82:
	v_subrev_u32_e32 v113, 36, v0
	s_movk_i32 s14, 0x150
	s_mov_b64 s[4:5], 0
.LBB108_83:                             ; =>This Inner Loop Header: Depth=1
	buffer_load_dword v114, v111, s[0:3], 0 offen
	v_mov_b32_e32 v115, s14
	ds_read_b32 v115, v115
	v_add_u32_e32 v113, -1, v113
	s_add_i32 s14, s14, 4
	v_cmp_eq_u32_e32 vcc, 0, v113
	v_add_u32_e32 v111, 4, v111
	s_or_b64 s[4:5], vcc, s[4:5]
	s_waitcnt vmcnt(0) lgkmcnt(0)
	v_fmac_f32_e32 v112, v114, v115
	s_andn2_b64 exec, exec, s[4:5]
	s_cbranch_execnz .LBB108_83
; %bb.84:
	s_or_b64 exec, exec, s[4:5]
.LBB108_85:
	s_or_b64 exec, exec, s[12:13]
	v_mov_b32_e32 v111, 0
	ds_read_b32 v111, v111 offset:140
	s_waitcnt lgkmcnt(0)
	v_mul_f32_e32 v111, v112, v111
	buffer_store_dword v111, off, s[0:3], 0 offset:140
.LBB108_86:
	s_or_b64 exec, exec, s[8:9]
	buffer_load_dword v111, off, s[0:3], 0 offset:136
	v_cmp_lt_u32_e64 s[4:5], 34, v0
	s_waitcnt vmcnt(0)
	ds_write_b32 v92, v111
	s_waitcnt lgkmcnt(0)
	; wave barrier
	s_waitcnt lgkmcnt(0)
	s_and_saveexec_b64 s[8:9], s[4:5]
	s_cbranch_execz .LBB108_96
; %bb.87:
	s_andn2_b64 vcc, exec, s[10:11]
	s_cbranch_vccnz .LBB108_89
; %bb.88:
	buffer_load_dword v111, v93, s[0:3], 0 offen
	ds_read_b32 v112, v92
	s_waitcnt vmcnt(0) lgkmcnt(0)
	v_mul_f32_e32 v111, v111, v112
	s_cbranch_execz .LBB108_90
	s_branch .LBB108_91
.LBB108_89:
                                        ; implicit-def: $vgpr111
.LBB108_90:
	ds_read_b32 v111, v92
.LBB108_91:
	s_and_saveexec_b64 s[12:13], s[6:7]
	s_cbranch_execz .LBB108_95
; %bb.92:
	v_mov_b32_e32 v112, 0
	v_add_u32_e32 v112, 0x8c, v112
	v_subrev_u32_e32 v113, 35, v0
	s_movk_i32 s14, 0x14c
	s_mov_b64 s[6:7], 0
.LBB108_93:                             ; =>This Inner Loop Header: Depth=1
	buffer_load_dword v114, v112, s[0:3], 0 offen
	v_mov_b32_e32 v115, s14
	ds_read_b32 v115, v115
	v_add_u32_e32 v113, -1, v113
	s_add_i32 s14, s14, 4
	v_cmp_eq_u32_e32 vcc, 0, v113
	v_add_u32_e32 v112, 4, v112
	s_or_b64 s[6:7], vcc, s[6:7]
	s_waitcnt vmcnt(0) lgkmcnt(0)
	v_fmac_f32_e32 v111, v114, v115
	s_andn2_b64 exec, exec, s[6:7]
	s_cbranch_execnz .LBB108_93
; %bb.94:
	s_or_b64 exec, exec, s[6:7]
.LBB108_95:
	s_or_b64 exec, exec, s[12:13]
	v_mov_b32_e32 v112, 0
	ds_read_b32 v112, v112 offset:136
	s_waitcnt lgkmcnt(0)
	v_mul_f32_e32 v111, v111, v112
	buffer_store_dword v111, off, s[0:3], 0 offset:136
.LBB108_96:
	s_or_b64 exec, exec, s[8:9]
	buffer_load_dword v111, off, s[0:3], 0 offset:132
	v_cmp_lt_u32_e64 s[6:7], 33, v0
	s_waitcnt vmcnt(0)
	ds_write_b32 v92, v111
	s_waitcnt lgkmcnt(0)
	; wave barrier
	s_waitcnt lgkmcnt(0)
	s_and_saveexec_b64 s[8:9], s[6:7]
	s_cbranch_execz .LBB108_106
; %bb.97:
	s_andn2_b64 vcc, exec, s[10:11]
	s_cbranch_vccnz .LBB108_99
; %bb.98:
	buffer_load_dword v111, v93, s[0:3], 0 offen
	ds_read_b32 v112, v92
	s_waitcnt vmcnt(0) lgkmcnt(0)
	v_mul_f32_e32 v111, v111, v112
	s_cbranch_execz .LBB108_100
	s_branch .LBB108_101
.LBB108_99:
                                        ; implicit-def: $vgpr111
.LBB108_100:
	ds_read_b32 v111, v92
.LBB108_101:
	s_and_saveexec_b64 s[12:13], s[4:5]
	s_cbranch_execz .LBB108_105
; %bb.102:
	v_subrev_u32_e32 v112, 34, v0
	s_movk_i32 s14, 0x148
	s_mov_b64 s[4:5], 0
.LBB108_103:                            ; =>This Inner Loop Header: Depth=1
	buffer_load_dword v113, v110, s[0:3], 0 offen
	v_mov_b32_e32 v114, s14
	ds_read_b32 v114, v114
	v_add_u32_e32 v112, -1, v112
	s_add_i32 s14, s14, 4
	v_cmp_eq_u32_e32 vcc, 0, v112
	v_add_u32_e32 v110, 4, v110
	s_or_b64 s[4:5], vcc, s[4:5]
	s_waitcnt vmcnt(0) lgkmcnt(0)
	v_fmac_f32_e32 v111, v113, v114
	s_andn2_b64 exec, exec, s[4:5]
	s_cbranch_execnz .LBB108_103
; %bb.104:
	s_or_b64 exec, exec, s[4:5]
.LBB108_105:
	s_or_b64 exec, exec, s[12:13]
	v_mov_b32_e32 v110, 0
	ds_read_b32 v110, v110 offset:132
	s_waitcnt lgkmcnt(0)
	v_mul_f32_e32 v110, v111, v110
	buffer_store_dword v110, off, s[0:3], 0 offset:132
.LBB108_106:
	s_or_b64 exec, exec, s[8:9]
	buffer_load_dword v110, off, s[0:3], 0 offset:128
	v_cmp_lt_u32_e64 s[4:5], 32, v0
	s_waitcnt vmcnt(0)
	ds_write_b32 v92, v110
	s_waitcnt lgkmcnt(0)
	; wave barrier
	s_waitcnt lgkmcnt(0)
	s_and_saveexec_b64 s[8:9], s[4:5]
	s_cbranch_execz .LBB108_116
; %bb.107:
	s_andn2_b64 vcc, exec, s[10:11]
	s_cbranch_vccnz .LBB108_109
; %bb.108:
	buffer_load_dword v110, v93, s[0:3], 0 offen
	ds_read_b32 v111, v92
	s_waitcnt vmcnt(0) lgkmcnt(0)
	v_mul_f32_e32 v110, v110, v111
	s_cbranch_execz .LBB108_110
	s_branch .LBB108_111
.LBB108_109:
                                        ; implicit-def: $vgpr110
.LBB108_110:
	ds_read_b32 v110, v92
.LBB108_111:
	s_and_saveexec_b64 s[12:13], s[6:7]
	s_cbranch_execz .LBB108_115
; %bb.112:
	v_mov_b32_e32 v111, 0
	v_add_u32_e32 v111, 0x84, v111
	v_subrev_u32_e32 v112, 33, v0
	s_movk_i32 s14, 0x144
	s_mov_b64 s[6:7], 0
.LBB108_113:                            ; =>This Inner Loop Header: Depth=1
	buffer_load_dword v113, v111, s[0:3], 0 offen
	v_mov_b32_e32 v114, s14
	ds_read_b32 v114, v114
	v_add_u32_e32 v112, -1, v112
	s_add_i32 s14, s14, 4
	v_cmp_eq_u32_e32 vcc, 0, v112
	v_add_u32_e32 v111, 4, v111
	s_or_b64 s[6:7], vcc, s[6:7]
	s_waitcnt vmcnt(0) lgkmcnt(0)
	v_fmac_f32_e32 v110, v113, v114
	s_andn2_b64 exec, exec, s[6:7]
	s_cbranch_execnz .LBB108_113
; %bb.114:
	s_or_b64 exec, exec, s[6:7]
.LBB108_115:
	s_or_b64 exec, exec, s[12:13]
	v_mov_b32_e32 v111, 0
	ds_read_b32 v111, v111 offset:128
	s_waitcnt lgkmcnt(0)
	v_mul_f32_e32 v110, v110, v111
	buffer_store_dword v110, off, s[0:3], 0 offset:128
.LBB108_116:
	s_or_b64 exec, exec, s[8:9]
	buffer_load_dword v110, off, s[0:3], 0 offset:124
	v_cmp_lt_u32_e64 s[6:7], 31, v0
	s_waitcnt vmcnt(0)
	ds_write_b32 v92, v110
	s_waitcnt lgkmcnt(0)
	; wave barrier
	s_waitcnt lgkmcnt(0)
	s_and_saveexec_b64 s[8:9], s[6:7]
	s_cbranch_execz .LBB108_126
; %bb.117:
	s_andn2_b64 vcc, exec, s[10:11]
	s_cbranch_vccnz .LBB108_119
; %bb.118:
	buffer_load_dword v110, v93, s[0:3], 0 offen
	ds_read_b32 v111, v92
	s_waitcnt vmcnt(0) lgkmcnt(0)
	v_mul_f32_e32 v110, v110, v111
	s_cbranch_execz .LBB108_120
	s_branch .LBB108_121
.LBB108_119:
                                        ; implicit-def: $vgpr110
.LBB108_120:
	ds_read_b32 v110, v92
.LBB108_121:
	s_and_saveexec_b64 s[12:13], s[4:5]
	s_cbranch_execz .LBB108_125
; %bb.122:
	v_subrev_u32_e32 v111, 32, v0
	s_movk_i32 s14, 0x140
	s_mov_b64 s[4:5], 0
.LBB108_123:                            ; =>This Inner Loop Header: Depth=1
	buffer_load_dword v112, v109, s[0:3], 0 offen
	v_mov_b32_e32 v113, s14
	ds_read_b32 v113, v113
	v_add_u32_e32 v111, -1, v111
	s_add_i32 s14, s14, 4
	v_cmp_eq_u32_e32 vcc, 0, v111
	v_add_u32_e32 v109, 4, v109
	s_or_b64 s[4:5], vcc, s[4:5]
	s_waitcnt vmcnt(0) lgkmcnt(0)
	v_fmac_f32_e32 v110, v112, v113
	s_andn2_b64 exec, exec, s[4:5]
	s_cbranch_execnz .LBB108_123
; %bb.124:
	s_or_b64 exec, exec, s[4:5]
.LBB108_125:
	s_or_b64 exec, exec, s[12:13]
	v_mov_b32_e32 v109, 0
	ds_read_b32 v109, v109 offset:124
	s_waitcnt lgkmcnt(0)
	v_mul_f32_e32 v109, v110, v109
	buffer_store_dword v109, off, s[0:3], 0 offset:124
.LBB108_126:
	s_or_b64 exec, exec, s[8:9]
	buffer_load_dword v109, off, s[0:3], 0 offset:120
	v_cmp_lt_u32_e64 s[4:5], 30, v0
	s_waitcnt vmcnt(0)
	ds_write_b32 v92, v109
	s_waitcnt lgkmcnt(0)
	; wave barrier
	s_waitcnt lgkmcnt(0)
	s_and_saveexec_b64 s[8:9], s[4:5]
	s_cbranch_execz .LBB108_136
; %bb.127:
	s_andn2_b64 vcc, exec, s[10:11]
	s_cbranch_vccnz .LBB108_129
; %bb.128:
	buffer_load_dword v109, v93, s[0:3], 0 offen
	ds_read_b32 v110, v92
	s_waitcnt vmcnt(0) lgkmcnt(0)
	v_mul_f32_e32 v109, v109, v110
	s_cbranch_execz .LBB108_130
	s_branch .LBB108_131
.LBB108_129:
                                        ; implicit-def: $vgpr109
.LBB108_130:
	ds_read_b32 v109, v92
.LBB108_131:
	s_and_saveexec_b64 s[12:13], s[6:7]
	s_cbranch_execz .LBB108_135
; %bb.132:
	v_mov_b32_e32 v110, 0
	v_add_u32_e32 v110, 0x7c, v110
	v_subrev_u32_e32 v111, 31, v0
	s_movk_i32 s14, 0x13c
	s_mov_b64 s[6:7], 0
.LBB108_133:                            ; =>This Inner Loop Header: Depth=1
	buffer_load_dword v112, v110, s[0:3], 0 offen
	v_mov_b32_e32 v113, s14
	ds_read_b32 v113, v113
	v_add_u32_e32 v111, -1, v111
	s_add_i32 s14, s14, 4
	v_cmp_eq_u32_e32 vcc, 0, v111
	v_add_u32_e32 v110, 4, v110
	s_or_b64 s[6:7], vcc, s[6:7]
	s_waitcnt vmcnt(0) lgkmcnt(0)
	v_fmac_f32_e32 v109, v112, v113
	s_andn2_b64 exec, exec, s[6:7]
	s_cbranch_execnz .LBB108_133
; %bb.134:
	s_or_b64 exec, exec, s[6:7]
.LBB108_135:
	s_or_b64 exec, exec, s[12:13]
	v_mov_b32_e32 v110, 0
	ds_read_b32 v110, v110 offset:120
	s_waitcnt lgkmcnt(0)
	v_mul_f32_e32 v109, v109, v110
	buffer_store_dword v109, off, s[0:3], 0 offset:120
.LBB108_136:
	s_or_b64 exec, exec, s[8:9]
	buffer_load_dword v109, off, s[0:3], 0 offset:116
	v_cmp_lt_u32_e64 s[6:7], 29, v0
	s_waitcnt vmcnt(0)
	ds_write_b32 v92, v109
	s_waitcnt lgkmcnt(0)
	; wave barrier
	s_waitcnt lgkmcnt(0)
	s_and_saveexec_b64 s[8:9], s[6:7]
	s_cbranch_execz .LBB108_146
; %bb.137:
	s_andn2_b64 vcc, exec, s[10:11]
	s_cbranch_vccnz .LBB108_139
; %bb.138:
	buffer_load_dword v109, v93, s[0:3], 0 offen
	ds_read_b32 v110, v92
	s_waitcnt vmcnt(0) lgkmcnt(0)
	v_mul_f32_e32 v109, v109, v110
	s_cbranch_execz .LBB108_140
	s_branch .LBB108_141
.LBB108_139:
                                        ; implicit-def: $vgpr109
.LBB108_140:
	ds_read_b32 v109, v92
.LBB108_141:
	s_and_saveexec_b64 s[12:13], s[4:5]
	s_cbranch_execz .LBB108_145
; %bb.142:
	v_subrev_u32_e32 v110, 30, v0
	s_movk_i32 s14, 0x138
	s_mov_b64 s[4:5], 0
.LBB108_143:                            ; =>This Inner Loop Header: Depth=1
	buffer_load_dword v111, v108, s[0:3], 0 offen
	v_mov_b32_e32 v112, s14
	ds_read_b32 v112, v112
	v_add_u32_e32 v110, -1, v110
	s_add_i32 s14, s14, 4
	v_cmp_eq_u32_e32 vcc, 0, v110
	v_add_u32_e32 v108, 4, v108
	s_or_b64 s[4:5], vcc, s[4:5]
	s_waitcnt vmcnt(0) lgkmcnt(0)
	v_fmac_f32_e32 v109, v111, v112
	s_andn2_b64 exec, exec, s[4:5]
	s_cbranch_execnz .LBB108_143
; %bb.144:
	s_or_b64 exec, exec, s[4:5]
.LBB108_145:
	s_or_b64 exec, exec, s[12:13]
	v_mov_b32_e32 v108, 0
	ds_read_b32 v108, v108 offset:116
	s_waitcnt lgkmcnt(0)
	v_mul_f32_e32 v108, v109, v108
	buffer_store_dword v108, off, s[0:3], 0 offset:116
.LBB108_146:
	s_or_b64 exec, exec, s[8:9]
	buffer_load_dword v108, off, s[0:3], 0 offset:112
	v_cmp_lt_u32_e64 s[4:5], 28, v0
	s_waitcnt vmcnt(0)
	ds_write_b32 v92, v108
	s_waitcnt lgkmcnt(0)
	; wave barrier
	s_waitcnt lgkmcnt(0)
	s_and_saveexec_b64 s[8:9], s[4:5]
	s_cbranch_execz .LBB108_156
; %bb.147:
	s_andn2_b64 vcc, exec, s[10:11]
	s_cbranch_vccnz .LBB108_149
; %bb.148:
	buffer_load_dword v108, v93, s[0:3], 0 offen
	ds_read_b32 v109, v92
	s_waitcnt vmcnt(0) lgkmcnt(0)
	v_mul_f32_e32 v108, v108, v109
	s_cbranch_execz .LBB108_150
	s_branch .LBB108_151
.LBB108_149:
                                        ; implicit-def: $vgpr108
.LBB108_150:
	ds_read_b32 v108, v92
.LBB108_151:
	s_and_saveexec_b64 s[12:13], s[6:7]
	s_cbranch_execz .LBB108_155
; %bb.152:
	v_mov_b32_e32 v109, 0
	v_add_u32_e32 v109, 0x74, v109
	v_subrev_u32_e32 v110, 29, v0
	s_movk_i32 s14, 0x134
	s_mov_b64 s[6:7], 0
.LBB108_153:                            ; =>This Inner Loop Header: Depth=1
	buffer_load_dword v111, v109, s[0:3], 0 offen
	v_mov_b32_e32 v112, s14
	ds_read_b32 v112, v112
	v_add_u32_e32 v110, -1, v110
	s_add_i32 s14, s14, 4
	v_cmp_eq_u32_e32 vcc, 0, v110
	v_add_u32_e32 v109, 4, v109
	s_or_b64 s[6:7], vcc, s[6:7]
	s_waitcnt vmcnt(0) lgkmcnt(0)
	v_fmac_f32_e32 v108, v111, v112
	s_andn2_b64 exec, exec, s[6:7]
	s_cbranch_execnz .LBB108_153
; %bb.154:
	s_or_b64 exec, exec, s[6:7]
.LBB108_155:
	s_or_b64 exec, exec, s[12:13]
	v_mov_b32_e32 v109, 0
	ds_read_b32 v109, v109 offset:112
	s_waitcnt lgkmcnt(0)
	v_mul_f32_e32 v108, v108, v109
	buffer_store_dword v108, off, s[0:3], 0 offset:112
.LBB108_156:
	s_or_b64 exec, exec, s[8:9]
	buffer_load_dword v108, off, s[0:3], 0 offset:108
	v_cmp_lt_u32_e64 s[6:7], 27, v0
	s_waitcnt vmcnt(0)
	ds_write_b32 v92, v108
	s_waitcnt lgkmcnt(0)
	; wave barrier
	s_waitcnt lgkmcnt(0)
	s_and_saveexec_b64 s[8:9], s[6:7]
	s_cbranch_execz .LBB108_166
; %bb.157:
	s_andn2_b64 vcc, exec, s[10:11]
	s_cbranch_vccnz .LBB108_159
; %bb.158:
	buffer_load_dword v108, v93, s[0:3], 0 offen
	ds_read_b32 v109, v92
	s_waitcnt vmcnt(0) lgkmcnt(0)
	v_mul_f32_e32 v108, v108, v109
	s_cbranch_execz .LBB108_160
	s_branch .LBB108_161
.LBB108_159:
                                        ; implicit-def: $vgpr108
.LBB108_160:
	ds_read_b32 v108, v92
.LBB108_161:
	s_and_saveexec_b64 s[12:13], s[4:5]
	s_cbranch_execz .LBB108_165
; %bb.162:
	v_subrev_u32_e32 v109, 28, v0
	s_movk_i32 s14, 0x130
	s_mov_b64 s[4:5], 0
.LBB108_163:                            ; =>This Inner Loop Header: Depth=1
	buffer_load_dword v110, v107, s[0:3], 0 offen
	v_mov_b32_e32 v111, s14
	ds_read_b32 v111, v111
	v_add_u32_e32 v109, -1, v109
	s_add_i32 s14, s14, 4
	v_cmp_eq_u32_e32 vcc, 0, v109
	v_add_u32_e32 v107, 4, v107
	s_or_b64 s[4:5], vcc, s[4:5]
	s_waitcnt vmcnt(0) lgkmcnt(0)
	v_fmac_f32_e32 v108, v110, v111
	s_andn2_b64 exec, exec, s[4:5]
	s_cbranch_execnz .LBB108_163
; %bb.164:
	s_or_b64 exec, exec, s[4:5]
.LBB108_165:
	s_or_b64 exec, exec, s[12:13]
	v_mov_b32_e32 v107, 0
	ds_read_b32 v107, v107 offset:108
	s_waitcnt lgkmcnt(0)
	v_mul_f32_e32 v107, v108, v107
	buffer_store_dword v107, off, s[0:3], 0 offset:108
.LBB108_166:
	s_or_b64 exec, exec, s[8:9]
	buffer_load_dword v107, off, s[0:3], 0 offset:104
	v_cmp_lt_u32_e64 s[4:5], 26, v0
	s_waitcnt vmcnt(0)
	ds_write_b32 v92, v107
	s_waitcnt lgkmcnt(0)
	; wave barrier
	s_waitcnt lgkmcnt(0)
	s_and_saveexec_b64 s[8:9], s[4:5]
	s_cbranch_execz .LBB108_176
; %bb.167:
	s_andn2_b64 vcc, exec, s[10:11]
	s_cbranch_vccnz .LBB108_169
; %bb.168:
	buffer_load_dword v107, v93, s[0:3], 0 offen
	ds_read_b32 v108, v92
	s_waitcnt vmcnt(0) lgkmcnt(0)
	v_mul_f32_e32 v107, v107, v108
	s_cbranch_execz .LBB108_170
	s_branch .LBB108_171
.LBB108_169:
                                        ; implicit-def: $vgpr107
.LBB108_170:
	ds_read_b32 v107, v92
.LBB108_171:
	s_and_saveexec_b64 s[12:13], s[6:7]
	s_cbranch_execz .LBB108_175
; %bb.172:
	v_mov_b32_e32 v108, 0
	v_add_u32_e32 v108, 0x6c, v108
	v_subrev_u32_e32 v109, 27, v0
	s_movk_i32 s14, 0x12c
	s_mov_b64 s[6:7], 0
.LBB108_173:                            ; =>This Inner Loop Header: Depth=1
	buffer_load_dword v110, v108, s[0:3], 0 offen
	v_mov_b32_e32 v111, s14
	ds_read_b32 v111, v111
	v_add_u32_e32 v109, -1, v109
	s_add_i32 s14, s14, 4
	v_cmp_eq_u32_e32 vcc, 0, v109
	v_add_u32_e32 v108, 4, v108
	s_or_b64 s[6:7], vcc, s[6:7]
	s_waitcnt vmcnt(0) lgkmcnt(0)
	v_fmac_f32_e32 v107, v110, v111
	s_andn2_b64 exec, exec, s[6:7]
	s_cbranch_execnz .LBB108_173
; %bb.174:
	s_or_b64 exec, exec, s[6:7]
.LBB108_175:
	s_or_b64 exec, exec, s[12:13]
	v_mov_b32_e32 v108, 0
	ds_read_b32 v108, v108 offset:104
	s_waitcnt lgkmcnt(0)
	v_mul_f32_e32 v107, v107, v108
	buffer_store_dword v107, off, s[0:3], 0 offset:104
.LBB108_176:
	s_or_b64 exec, exec, s[8:9]
	buffer_load_dword v107, off, s[0:3], 0 offset:100
	v_cmp_lt_u32_e64 s[6:7], 25, v0
	s_waitcnt vmcnt(0)
	ds_write_b32 v92, v107
	s_waitcnt lgkmcnt(0)
	; wave barrier
	s_waitcnt lgkmcnt(0)
	s_and_saveexec_b64 s[8:9], s[6:7]
	s_cbranch_execz .LBB108_186
; %bb.177:
	s_andn2_b64 vcc, exec, s[10:11]
	s_cbranch_vccnz .LBB108_179
; %bb.178:
	buffer_load_dword v107, v93, s[0:3], 0 offen
	ds_read_b32 v108, v92
	s_waitcnt vmcnt(0) lgkmcnt(0)
	v_mul_f32_e32 v107, v107, v108
	s_cbranch_execz .LBB108_180
	s_branch .LBB108_181
.LBB108_179:
                                        ; implicit-def: $vgpr107
.LBB108_180:
	ds_read_b32 v107, v92
.LBB108_181:
	s_and_saveexec_b64 s[12:13], s[4:5]
	s_cbranch_execz .LBB108_185
; %bb.182:
	v_subrev_u32_e32 v108, 26, v0
	s_movk_i32 s14, 0x128
	s_mov_b64 s[4:5], 0
.LBB108_183:                            ; =>This Inner Loop Header: Depth=1
	buffer_load_dword v109, v106, s[0:3], 0 offen
	v_mov_b32_e32 v110, s14
	ds_read_b32 v110, v110
	v_add_u32_e32 v108, -1, v108
	s_add_i32 s14, s14, 4
	v_cmp_eq_u32_e32 vcc, 0, v108
	v_add_u32_e32 v106, 4, v106
	s_or_b64 s[4:5], vcc, s[4:5]
	s_waitcnt vmcnt(0) lgkmcnt(0)
	v_fmac_f32_e32 v107, v109, v110
	s_andn2_b64 exec, exec, s[4:5]
	s_cbranch_execnz .LBB108_183
; %bb.184:
	s_or_b64 exec, exec, s[4:5]
.LBB108_185:
	s_or_b64 exec, exec, s[12:13]
	v_mov_b32_e32 v106, 0
	ds_read_b32 v106, v106 offset:100
	s_waitcnt lgkmcnt(0)
	v_mul_f32_e32 v106, v107, v106
	buffer_store_dword v106, off, s[0:3], 0 offset:100
.LBB108_186:
	s_or_b64 exec, exec, s[8:9]
	buffer_load_dword v106, off, s[0:3], 0 offset:96
	v_cmp_lt_u32_e64 s[4:5], 24, v0
	s_waitcnt vmcnt(0)
	ds_write_b32 v92, v106
	s_waitcnt lgkmcnt(0)
	; wave barrier
	s_waitcnt lgkmcnt(0)
	s_and_saveexec_b64 s[8:9], s[4:5]
	s_cbranch_execz .LBB108_196
; %bb.187:
	s_andn2_b64 vcc, exec, s[10:11]
	s_cbranch_vccnz .LBB108_189
; %bb.188:
	buffer_load_dword v106, v93, s[0:3], 0 offen
	ds_read_b32 v107, v92
	s_waitcnt vmcnt(0) lgkmcnt(0)
	v_mul_f32_e32 v106, v106, v107
	s_cbranch_execz .LBB108_190
	s_branch .LBB108_191
.LBB108_189:
                                        ; implicit-def: $vgpr106
.LBB108_190:
	ds_read_b32 v106, v92
.LBB108_191:
	s_and_saveexec_b64 s[12:13], s[6:7]
	s_cbranch_execz .LBB108_195
; %bb.192:
	v_mov_b32_e32 v107, 0
	v_add_u32_e32 v107, 0x64, v107
	v_subrev_u32_e32 v108, 25, v0
	s_movk_i32 s14, 0x124
	s_mov_b64 s[6:7], 0
.LBB108_193:                            ; =>This Inner Loop Header: Depth=1
	buffer_load_dword v109, v107, s[0:3], 0 offen
	v_mov_b32_e32 v110, s14
	ds_read_b32 v110, v110
	v_add_u32_e32 v108, -1, v108
	s_add_i32 s14, s14, 4
	v_cmp_eq_u32_e32 vcc, 0, v108
	v_add_u32_e32 v107, 4, v107
	s_or_b64 s[6:7], vcc, s[6:7]
	s_waitcnt vmcnt(0) lgkmcnt(0)
	v_fmac_f32_e32 v106, v109, v110
	s_andn2_b64 exec, exec, s[6:7]
	s_cbranch_execnz .LBB108_193
; %bb.194:
	s_or_b64 exec, exec, s[6:7]
.LBB108_195:
	s_or_b64 exec, exec, s[12:13]
	v_mov_b32_e32 v107, 0
	ds_read_b32 v107, v107 offset:96
	s_waitcnt lgkmcnt(0)
	v_mul_f32_e32 v106, v106, v107
	buffer_store_dword v106, off, s[0:3], 0 offset:96
.LBB108_196:
	s_or_b64 exec, exec, s[8:9]
	buffer_load_dword v106, off, s[0:3], 0 offset:92
	v_cmp_lt_u32_e64 s[6:7], 23, v0
	s_waitcnt vmcnt(0)
	ds_write_b32 v92, v106
	s_waitcnt lgkmcnt(0)
	; wave barrier
	s_waitcnt lgkmcnt(0)
	s_and_saveexec_b64 s[8:9], s[6:7]
	s_cbranch_execz .LBB108_206
; %bb.197:
	s_andn2_b64 vcc, exec, s[10:11]
	s_cbranch_vccnz .LBB108_199
; %bb.198:
	buffer_load_dword v106, v93, s[0:3], 0 offen
	ds_read_b32 v107, v92
	s_waitcnt vmcnt(0) lgkmcnt(0)
	v_mul_f32_e32 v106, v106, v107
	s_cbranch_execz .LBB108_200
	s_branch .LBB108_201
.LBB108_199:
                                        ; implicit-def: $vgpr106
.LBB108_200:
	ds_read_b32 v106, v92
.LBB108_201:
	s_and_saveexec_b64 s[12:13], s[4:5]
	s_cbranch_execz .LBB108_205
; %bb.202:
	v_subrev_u32_e32 v107, 24, v0
	s_movk_i32 s14, 0x120
	s_mov_b64 s[4:5], 0
.LBB108_203:                            ; =>This Inner Loop Header: Depth=1
	buffer_load_dword v108, v105, s[0:3], 0 offen
	v_mov_b32_e32 v109, s14
	ds_read_b32 v109, v109
	v_add_u32_e32 v107, -1, v107
	s_add_i32 s14, s14, 4
	v_cmp_eq_u32_e32 vcc, 0, v107
	v_add_u32_e32 v105, 4, v105
	s_or_b64 s[4:5], vcc, s[4:5]
	s_waitcnt vmcnt(0) lgkmcnt(0)
	v_fmac_f32_e32 v106, v108, v109
	s_andn2_b64 exec, exec, s[4:5]
	s_cbranch_execnz .LBB108_203
; %bb.204:
	s_or_b64 exec, exec, s[4:5]
.LBB108_205:
	s_or_b64 exec, exec, s[12:13]
	v_mov_b32_e32 v105, 0
	ds_read_b32 v105, v105 offset:92
	s_waitcnt lgkmcnt(0)
	v_mul_f32_e32 v105, v106, v105
	buffer_store_dword v105, off, s[0:3], 0 offset:92
.LBB108_206:
	s_or_b64 exec, exec, s[8:9]
	buffer_load_dword v105, off, s[0:3], 0 offset:88
	v_cmp_lt_u32_e64 s[4:5], 22, v0
	s_waitcnt vmcnt(0)
	ds_write_b32 v92, v105
	s_waitcnt lgkmcnt(0)
	; wave barrier
	s_waitcnt lgkmcnt(0)
	s_and_saveexec_b64 s[8:9], s[4:5]
	s_cbranch_execz .LBB108_216
; %bb.207:
	s_andn2_b64 vcc, exec, s[10:11]
	s_cbranch_vccnz .LBB108_209
; %bb.208:
	buffer_load_dword v105, v93, s[0:3], 0 offen
	ds_read_b32 v106, v92
	s_waitcnt vmcnt(0) lgkmcnt(0)
	v_mul_f32_e32 v105, v105, v106
	s_cbranch_execz .LBB108_210
	s_branch .LBB108_211
.LBB108_209:
                                        ; implicit-def: $vgpr105
.LBB108_210:
	ds_read_b32 v105, v92
.LBB108_211:
	s_and_saveexec_b64 s[12:13], s[6:7]
	s_cbranch_execz .LBB108_215
; %bb.212:
	v_mov_b32_e32 v106, 0
	v_add_u32_e32 v106, 0x5c, v106
	v_subrev_u32_e32 v107, 23, v0
	s_movk_i32 s14, 0x11c
	s_mov_b64 s[6:7], 0
.LBB108_213:                            ; =>This Inner Loop Header: Depth=1
	buffer_load_dword v108, v106, s[0:3], 0 offen
	v_mov_b32_e32 v109, s14
	ds_read_b32 v109, v109
	v_add_u32_e32 v107, -1, v107
	s_add_i32 s14, s14, 4
	v_cmp_eq_u32_e32 vcc, 0, v107
	v_add_u32_e32 v106, 4, v106
	s_or_b64 s[6:7], vcc, s[6:7]
	s_waitcnt vmcnt(0) lgkmcnt(0)
	v_fmac_f32_e32 v105, v108, v109
	s_andn2_b64 exec, exec, s[6:7]
	s_cbranch_execnz .LBB108_213
; %bb.214:
	s_or_b64 exec, exec, s[6:7]
.LBB108_215:
	s_or_b64 exec, exec, s[12:13]
	v_mov_b32_e32 v106, 0
	ds_read_b32 v106, v106 offset:88
	s_waitcnt lgkmcnt(0)
	v_mul_f32_e32 v105, v105, v106
	buffer_store_dword v105, off, s[0:3], 0 offset:88
.LBB108_216:
	s_or_b64 exec, exec, s[8:9]
	buffer_load_dword v105, off, s[0:3], 0 offset:84
	v_cmp_lt_u32_e64 s[6:7], 21, v0
	s_waitcnt vmcnt(0)
	ds_write_b32 v92, v105
	s_waitcnt lgkmcnt(0)
	; wave barrier
	s_waitcnt lgkmcnt(0)
	s_and_saveexec_b64 s[8:9], s[6:7]
	s_cbranch_execz .LBB108_226
; %bb.217:
	s_andn2_b64 vcc, exec, s[10:11]
	s_cbranch_vccnz .LBB108_219
; %bb.218:
	buffer_load_dword v105, v93, s[0:3], 0 offen
	ds_read_b32 v106, v92
	s_waitcnt vmcnt(0) lgkmcnt(0)
	v_mul_f32_e32 v105, v105, v106
	s_cbranch_execz .LBB108_220
	s_branch .LBB108_221
.LBB108_219:
                                        ; implicit-def: $vgpr105
.LBB108_220:
	ds_read_b32 v105, v92
.LBB108_221:
	s_and_saveexec_b64 s[12:13], s[4:5]
	s_cbranch_execz .LBB108_225
; %bb.222:
	v_subrev_u32_e32 v106, 22, v0
	s_movk_i32 s14, 0x118
	s_mov_b64 s[4:5], 0
.LBB108_223:                            ; =>This Inner Loop Header: Depth=1
	buffer_load_dword v107, v104, s[0:3], 0 offen
	v_mov_b32_e32 v108, s14
	ds_read_b32 v108, v108
	v_add_u32_e32 v106, -1, v106
	s_add_i32 s14, s14, 4
	v_cmp_eq_u32_e32 vcc, 0, v106
	v_add_u32_e32 v104, 4, v104
	s_or_b64 s[4:5], vcc, s[4:5]
	s_waitcnt vmcnt(0) lgkmcnt(0)
	v_fmac_f32_e32 v105, v107, v108
	s_andn2_b64 exec, exec, s[4:5]
	s_cbranch_execnz .LBB108_223
; %bb.224:
	s_or_b64 exec, exec, s[4:5]
.LBB108_225:
	s_or_b64 exec, exec, s[12:13]
	v_mov_b32_e32 v104, 0
	ds_read_b32 v104, v104 offset:84
	s_waitcnt lgkmcnt(0)
	v_mul_f32_e32 v104, v105, v104
	buffer_store_dword v104, off, s[0:3], 0 offset:84
.LBB108_226:
	s_or_b64 exec, exec, s[8:9]
	buffer_load_dword v104, off, s[0:3], 0 offset:80
	v_cmp_lt_u32_e64 s[4:5], 20, v0
	s_waitcnt vmcnt(0)
	ds_write_b32 v92, v104
	s_waitcnt lgkmcnt(0)
	; wave barrier
	s_waitcnt lgkmcnt(0)
	s_and_saveexec_b64 s[8:9], s[4:5]
	s_cbranch_execz .LBB108_236
; %bb.227:
	s_andn2_b64 vcc, exec, s[10:11]
	s_cbranch_vccnz .LBB108_229
; %bb.228:
	buffer_load_dword v104, v93, s[0:3], 0 offen
	ds_read_b32 v105, v92
	s_waitcnt vmcnt(0) lgkmcnt(0)
	v_mul_f32_e32 v104, v104, v105
	s_cbranch_execz .LBB108_230
	s_branch .LBB108_231
.LBB108_229:
                                        ; implicit-def: $vgpr104
.LBB108_230:
	ds_read_b32 v104, v92
.LBB108_231:
	s_and_saveexec_b64 s[12:13], s[6:7]
	s_cbranch_execz .LBB108_235
; %bb.232:
	v_mov_b32_e32 v105, 0
	v_add_u32_e32 v105, 0x54, v105
	v_subrev_u32_e32 v106, 21, v0
	s_movk_i32 s14, 0x114
	s_mov_b64 s[6:7], 0
.LBB108_233:                            ; =>This Inner Loop Header: Depth=1
	buffer_load_dword v107, v105, s[0:3], 0 offen
	v_mov_b32_e32 v108, s14
	ds_read_b32 v108, v108
	v_add_u32_e32 v106, -1, v106
	s_add_i32 s14, s14, 4
	v_cmp_eq_u32_e32 vcc, 0, v106
	v_add_u32_e32 v105, 4, v105
	s_or_b64 s[6:7], vcc, s[6:7]
	s_waitcnt vmcnt(0) lgkmcnt(0)
	v_fmac_f32_e32 v104, v107, v108
	s_andn2_b64 exec, exec, s[6:7]
	s_cbranch_execnz .LBB108_233
; %bb.234:
	s_or_b64 exec, exec, s[6:7]
.LBB108_235:
	s_or_b64 exec, exec, s[12:13]
	v_mov_b32_e32 v105, 0
	ds_read_b32 v105, v105 offset:80
	s_waitcnt lgkmcnt(0)
	v_mul_f32_e32 v104, v104, v105
	buffer_store_dword v104, off, s[0:3], 0 offset:80
.LBB108_236:
	s_or_b64 exec, exec, s[8:9]
	buffer_load_dword v104, off, s[0:3], 0 offset:76
	v_cmp_lt_u32_e64 s[6:7], 19, v0
	s_waitcnt vmcnt(0)
	ds_write_b32 v92, v104
	s_waitcnt lgkmcnt(0)
	; wave barrier
	s_waitcnt lgkmcnt(0)
	s_and_saveexec_b64 s[8:9], s[6:7]
	s_cbranch_execz .LBB108_246
; %bb.237:
	s_andn2_b64 vcc, exec, s[10:11]
	s_cbranch_vccnz .LBB108_239
; %bb.238:
	buffer_load_dword v104, v93, s[0:3], 0 offen
	ds_read_b32 v105, v92
	s_waitcnt vmcnt(0) lgkmcnt(0)
	v_mul_f32_e32 v104, v104, v105
	s_cbranch_execz .LBB108_240
	s_branch .LBB108_241
.LBB108_239:
                                        ; implicit-def: $vgpr104
.LBB108_240:
	ds_read_b32 v104, v92
.LBB108_241:
	s_and_saveexec_b64 s[12:13], s[4:5]
	s_cbranch_execz .LBB108_245
; %bb.242:
	v_subrev_u32_e32 v105, 20, v0
	s_movk_i32 s14, 0x110
	s_mov_b64 s[4:5], 0
.LBB108_243:                            ; =>This Inner Loop Header: Depth=1
	buffer_load_dword v106, v103, s[0:3], 0 offen
	v_mov_b32_e32 v107, s14
	ds_read_b32 v107, v107
	v_add_u32_e32 v105, -1, v105
	s_add_i32 s14, s14, 4
	v_cmp_eq_u32_e32 vcc, 0, v105
	v_add_u32_e32 v103, 4, v103
	s_or_b64 s[4:5], vcc, s[4:5]
	s_waitcnt vmcnt(0) lgkmcnt(0)
	v_fmac_f32_e32 v104, v106, v107
	s_andn2_b64 exec, exec, s[4:5]
	s_cbranch_execnz .LBB108_243
; %bb.244:
	s_or_b64 exec, exec, s[4:5]
.LBB108_245:
	s_or_b64 exec, exec, s[12:13]
	v_mov_b32_e32 v103, 0
	ds_read_b32 v103, v103 offset:76
	s_waitcnt lgkmcnt(0)
	v_mul_f32_e32 v103, v104, v103
	buffer_store_dword v103, off, s[0:3], 0 offset:76
.LBB108_246:
	s_or_b64 exec, exec, s[8:9]
	buffer_load_dword v103, off, s[0:3], 0 offset:72
	v_cmp_lt_u32_e64 s[4:5], 18, v0
	s_waitcnt vmcnt(0)
	ds_write_b32 v92, v103
	s_waitcnt lgkmcnt(0)
	; wave barrier
	s_waitcnt lgkmcnt(0)
	s_and_saveexec_b64 s[8:9], s[4:5]
	s_cbranch_execz .LBB108_256
; %bb.247:
	s_andn2_b64 vcc, exec, s[10:11]
	s_cbranch_vccnz .LBB108_249
; %bb.248:
	buffer_load_dword v103, v93, s[0:3], 0 offen
	ds_read_b32 v104, v92
	s_waitcnt vmcnt(0) lgkmcnt(0)
	v_mul_f32_e32 v103, v103, v104
	s_cbranch_execz .LBB108_250
	s_branch .LBB108_251
.LBB108_249:
                                        ; implicit-def: $vgpr103
.LBB108_250:
	ds_read_b32 v103, v92
.LBB108_251:
	s_and_saveexec_b64 s[12:13], s[6:7]
	s_cbranch_execz .LBB108_255
; %bb.252:
	v_mov_b32_e32 v104, 0
	v_add_u32_e32 v104, 0x4c, v104
	v_subrev_u32_e32 v105, 19, v0
	s_movk_i32 s14, 0x10c
	s_mov_b64 s[6:7], 0
.LBB108_253:                            ; =>This Inner Loop Header: Depth=1
	buffer_load_dword v106, v104, s[0:3], 0 offen
	v_mov_b32_e32 v107, s14
	ds_read_b32 v107, v107
	v_add_u32_e32 v105, -1, v105
	s_add_i32 s14, s14, 4
	v_cmp_eq_u32_e32 vcc, 0, v105
	v_add_u32_e32 v104, 4, v104
	s_or_b64 s[6:7], vcc, s[6:7]
	s_waitcnt vmcnt(0) lgkmcnt(0)
	v_fmac_f32_e32 v103, v106, v107
	s_andn2_b64 exec, exec, s[6:7]
	s_cbranch_execnz .LBB108_253
; %bb.254:
	s_or_b64 exec, exec, s[6:7]
.LBB108_255:
	s_or_b64 exec, exec, s[12:13]
	v_mov_b32_e32 v104, 0
	ds_read_b32 v104, v104 offset:72
	s_waitcnt lgkmcnt(0)
	v_mul_f32_e32 v103, v103, v104
	buffer_store_dword v103, off, s[0:3], 0 offset:72
.LBB108_256:
	s_or_b64 exec, exec, s[8:9]
	buffer_load_dword v103, off, s[0:3], 0 offset:68
	v_cmp_lt_u32_e64 s[6:7], 17, v0
	s_waitcnt vmcnt(0)
	ds_write_b32 v92, v103
	s_waitcnt lgkmcnt(0)
	; wave barrier
	s_waitcnt lgkmcnt(0)
	s_and_saveexec_b64 s[8:9], s[6:7]
	s_cbranch_execz .LBB108_266
; %bb.257:
	s_andn2_b64 vcc, exec, s[10:11]
	s_cbranch_vccnz .LBB108_259
; %bb.258:
	buffer_load_dword v103, v93, s[0:3], 0 offen
	ds_read_b32 v104, v92
	s_waitcnt vmcnt(0) lgkmcnt(0)
	v_mul_f32_e32 v103, v103, v104
	s_cbranch_execz .LBB108_260
	s_branch .LBB108_261
.LBB108_259:
                                        ; implicit-def: $vgpr103
.LBB108_260:
	ds_read_b32 v103, v92
.LBB108_261:
	s_and_saveexec_b64 s[12:13], s[4:5]
	s_cbranch_execz .LBB108_265
; %bb.262:
	v_subrev_u32_e32 v104, 18, v0
	s_movk_i32 s14, 0x108
	s_mov_b64 s[4:5], 0
.LBB108_263:                            ; =>This Inner Loop Header: Depth=1
	buffer_load_dword v105, v102, s[0:3], 0 offen
	v_mov_b32_e32 v106, s14
	ds_read_b32 v106, v106
	v_add_u32_e32 v104, -1, v104
	s_add_i32 s14, s14, 4
	v_cmp_eq_u32_e32 vcc, 0, v104
	v_add_u32_e32 v102, 4, v102
	s_or_b64 s[4:5], vcc, s[4:5]
	s_waitcnt vmcnt(0) lgkmcnt(0)
	v_fmac_f32_e32 v103, v105, v106
	s_andn2_b64 exec, exec, s[4:5]
	s_cbranch_execnz .LBB108_263
; %bb.264:
	s_or_b64 exec, exec, s[4:5]
.LBB108_265:
	s_or_b64 exec, exec, s[12:13]
	v_mov_b32_e32 v102, 0
	ds_read_b32 v102, v102 offset:68
	s_waitcnt lgkmcnt(0)
	v_mul_f32_e32 v102, v103, v102
	buffer_store_dword v102, off, s[0:3], 0 offset:68
.LBB108_266:
	s_or_b64 exec, exec, s[8:9]
	buffer_load_dword v102, off, s[0:3], 0 offset:64
	v_cmp_lt_u32_e64 s[4:5], 16, v0
	s_waitcnt vmcnt(0)
	ds_write_b32 v92, v102
	s_waitcnt lgkmcnt(0)
	; wave barrier
	s_waitcnt lgkmcnt(0)
	s_and_saveexec_b64 s[8:9], s[4:5]
	s_cbranch_execz .LBB108_276
; %bb.267:
	s_andn2_b64 vcc, exec, s[10:11]
	s_cbranch_vccnz .LBB108_269
; %bb.268:
	buffer_load_dword v102, v93, s[0:3], 0 offen
	ds_read_b32 v103, v92
	s_waitcnt vmcnt(0) lgkmcnt(0)
	v_mul_f32_e32 v102, v102, v103
	s_cbranch_execz .LBB108_270
	s_branch .LBB108_271
.LBB108_269:
                                        ; implicit-def: $vgpr102
.LBB108_270:
	ds_read_b32 v102, v92
.LBB108_271:
	s_and_saveexec_b64 s[12:13], s[6:7]
	s_cbranch_execz .LBB108_275
; %bb.272:
	v_mov_b32_e32 v103, 0
	v_add_u32_e32 v103, 0x44, v103
	v_subrev_u32_e32 v104, 17, v0
	s_movk_i32 s14, 0x104
	s_mov_b64 s[6:7], 0
.LBB108_273:                            ; =>This Inner Loop Header: Depth=1
	buffer_load_dword v105, v103, s[0:3], 0 offen
	v_mov_b32_e32 v106, s14
	ds_read_b32 v106, v106
	v_add_u32_e32 v104, -1, v104
	s_add_i32 s14, s14, 4
	v_cmp_eq_u32_e32 vcc, 0, v104
	v_add_u32_e32 v103, 4, v103
	s_or_b64 s[6:7], vcc, s[6:7]
	s_waitcnt vmcnt(0) lgkmcnt(0)
	v_fmac_f32_e32 v102, v105, v106
	s_andn2_b64 exec, exec, s[6:7]
	s_cbranch_execnz .LBB108_273
; %bb.274:
	s_or_b64 exec, exec, s[6:7]
.LBB108_275:
	s_or_b64 exec, exec, s[12:13]
	v_mov_b32_e32 v103, 0
	ds_read_b32 v103, v103 offset:64
	s_waitcnt lgkmcnt(0)
	v_mul_f32_e32 v102, v102, v103
	buffer_store_dword v102, off, s[0:3], 0 offset:64
.LBB108_276:
	s_or_b64 exec, exec, s[8:9]
	buffer_load_dword v102, off, s[0:3], 0 offset:60
	v_cmp_lt_u32_e64 s[6:7], 15, v0
	s_waitcnt vmcnt(0)
	ds_write_b32 v92, v102
	s_waitcnt lgkmcnt(0)
	; wave barrier
	s_waitcnt lgkmcnt(0)
	s_and_saveexec_b64 s[8:9], s[6:7]
	s_cbranch_execz .LBB108_286
; %bb.277:
	s_andn2_b64 vcc, exec, s[10:11]
	s_cbranch_vccnz .LBB108_279
; %bb.278:
	buffer_load_dword v102, v93, s[0:3], 0 offen
	ds_read_b32 v103, v92
	s_waitcnt vmcnt(0) lgkmcnt(0)
	v_mul_f32_e32 v102, v102, v103
	s_cbranch_execz .LBB108_280
	s_branch .LBB108_281
.LBB108_279:
                                        ; implicit-def: $vgpr102
.LBB108_280:
	ds_read_b32 v102, v92
.LBB108_281:
	s_and_saveexec_b64 s[12:13], s[4:5]
	s_cbranch_execz .LBB108_285
; %bb.282:
	v_add_u32_e32 v103, -16, v0
	s_movk_i32 s14, 0x100
	s_mov_b64 s[4:5], 0
.LBB108_283:                            ; =>This Inner Loop Header: Depth=1
	buffer_load_dword v104, v101, s[0:3], 0 offen
	v_mov_b32_e32 v105, s14
	ds_read_b32 v105, v105
	v_add_u32_e32 v103, -1, v103
	s_add_i32 s14, s14, 4
	v_cmp_eq_u32_e32 vcc, 0, v103
	v_add_u32_e32 v101, 4, v101
	s_or_b64 s[4:5], vcc, s[4:5]
	s_waitcnt vmcnt(0) lgkmcnt(0)
	v_fmac_f32_e32 v102, v104, v105
	s_andn2_b64 exec, exec, s[4:5]
	s_cbranch_execnz .LBB108_283
; %bb.284:
	s_or_b64 exec, exec, s[4:5]
.LBB108_285:
	s_or_b64 exec, exec, s[12:13]
	v_mov_b32_e32 v101, 0
	ds_read_b32 v101, v101 offset:60
	s_waitcnt lgkmcnt(0)
	v_mul_f32_e32 v101, v102, v101
	buffer_store_dword v101, off, s[0:3], 0 offset:60
.LBB108_286:
	s_or_b64 exec, exec, s[8:9]
	buffer_load_dword v101, off, s[0:3], 0 offset:56
	v_cmp_lt_u32_e64 s[4:5], 14, v0
	s_waitcnt vmcnt(0)
	ds_write_b32 v92, v101
	s_waitcnt lgkmcnt(0)
	; wave barrier
	s_waitcnt lgkmcnt(0)
	s_and_saveexec_b64 s[8:9], s[4:5]
	s_cbranch_execz .LBB108_296
; %bb.287:
	s_andn2_b64 vcc, exec, s[10:11]
	s_cbranch_vccnz .LBB108_289
; %bb.288:
	buffer_load_dword v101, v93, s[0:3], 0 offen
	ds_read_b32 v102, v92
	s_waitcnt vmcnt(0) lgkmcnt(0)
	v_mul_f32_e32 v101, v101, v102
	s_cbranch_execz .LBB108_290
	s_branch .LBB108_291
.LBB108_289:
                                        ; implicit-def: $vgpr101
.LBB108_290:
	ds_read_b32 v101, v92
.LBB108_291:
	s_and_saveexec_b64 s[12:13], s[6:7]
	s_cbranch_execz .LBB108_295
; %bb.292:
	v_mov_b32_e32 v102, 0
	v_add_u32_e32 v102, 60, v102
	v_add_u32_e32 v103, -15, v0
	s_movk_i32 s14, 0xfc
	s_mov_b64 s[6:7], 0
.LBB108_293:                            ; =>This Inner Loop Header: Depth=1
	buffer_load_dword v104, v102, s[0:3], 0 offen
	v_mov_b32_e32 v105, s14
	ds_read_b32 v105, v105
	v_add_u32_e32 v103, -1, v103
	s_add_i32 s14, s14, 4
	v_cmp_eq_u32_e32 vcc, 0, v103
	v_add_u32_e32 v102, 4, v102
	s_or_b64 s[6:7], vcc, s[6:7]
	s_waitcnt vmcnt(0) lgkmcnt(0)
	v_fmac_f32_e32 v101, v104, v105
	s_andn2_b64 exec, exec, s[6:7]
	s_cbranch_execnz .LBB108_293
; %bb.294:
	s_or_b64 exec, exec, s[6:7]
.LBB108_295:
	s_or_b64 exec, exec, s[12:13]
	v_mov_b32_e32 v102, 0
	ds_read_b32 v102, v102 offset:56
	s_waitcnt lgkmcnt(0)
	v_mul_f32_e32 v101, v101, v102
	buffer_store_dword v101, off, s[0:3], 0 offset:56
.LBB108_296:
	s_or_b64 exec, exec, s[8:9]
	buffer_load_dword v101, off, s[0:3], 0 offset:52
	v_cmp_lt_u32_e64 s[6:7], 13, v0
	s_waitcnt vmcnt(0)
	ds_write_b32 v92, v101
	s_waitcnt lgkmcnt(0)
	; wave barrier
	s_waitcnt lgkmcnt(0)
	s_and_saveexec_b64 s[8:9], s[6:7]
	s_cbranch_execz .LBB108_306
; %bb.297:
	s_andn2_b64 vcc, exec, s[10:11]
	s_cbranch_vccnz .LBB108_299
; %bb.298:
	buffer_load_dword v101, v93, s[0:3], 0 offen
	ds_read_b32 v102, v92
	s_waitcnt vmcnt(0) lgkmcnt(0)
	v_mul_f32_e32 v101, v101, v102
	s_cbranch_execz .LBB108_300
	s_branch .LBB108_301
.LBB108_299:
                                        ; implicit-def: $vgpr101
.LBB108_300:
	ds_read_b32 v101, v92
.LBB108_301:
	s_and_saveexec_b64 s[12:13], s[4:5]
	s_cbranch_execz .LBB108_305
; %bb.302:
	v_add_u32_e32 v102, -14, v0
	s_movk_i32 s14, 0xf8
	s_mov_b64 s[4:5], 0
.LBB108_303:                            ; =>This Inner Loop Header: Depth=1
	buffer_load_dword v103, v100, s[0:3], 0 offen
	v_mov_b32_e32 v104, s14
	ds_read_b32 v104, v104
	v_add_u32_e32 v102, -1, v102
	s_add_i32 s14, s14, 4
	v_cmp_eq_u32_e32 vcc, 0, v102
	v_add_u32_e32 v100, 4, v100
	s_or_b64 s[4:5], vcc, s[4:5]
	s_waitcnt vmcnt(0) lgkmcnt(0)
	v_fmac_f32_e32 v101, v103, v104
	s_andn2_b64 exec, exec, s[4:5]
	s_cbranch_execnz .LBB108_303
; %bb.304:
	s_or_b64 exec, exec, s[4:5]
.LBB108_305:
	s_or_b64 exec, exec, s[12:13]
	v_mov_b32_e32 v100, 0
	ds_read_b32 v100, v100 offset:52
	s_waitcnt lgkmcnt(0)
	v_mul_f32_e32 v100, v101, v100
	buffer_store_dword v100, off, s[0:3], 0 offset:52
.LBB108_306:
	s_or_b64 exec, exec, s[8:9]
	buffer_load_dword v100, off, s[0:3], 0 offset:48
	v_cmp_lt_u32_e64 s[4:5], 12, v0
	s_waitcnt vmcnt(0)
	ds_write_b32 v92, v100
	s_waitcnt lgkmcnt(0)
	; wave barrier
	s_waitcnt lgkmcnt(0)
	s_and_saveexec_b64 s[8:9], s[4:5]
	s_cbranch_execz .LBB108_316
; %bb.307:
	s_andn2_b64 vcc, exec, s[10:11]
	s_cbranch_vccnz .LBB108_309
; %bb.308:
	buffer_load_dword v100, v93, s[0:3], 0 offen
	ds_read_b32 v101, v92
	s_waitcnt vmcnt(0) lgkmcnt(0)
	v_mul_f32_e32 v100, v100, v101
	s_cbranch_execz .LBB108_310
	s_branch .LBB108_311
.LBB108_309:
                                        ; implicit-def: $vgpr100
.LBB108_310:
	ds_read_b32 v100, v92
.LBB108_311:
	s_and_saveexec_b64 s[12:13], s[6:7]
	s_cbranch_execz .LBB108_315
; %bb.312:
	v_mov_b32_e32 v101, 0
	v_add_u32_e32 v101, 52, v101
	v_add_u32_e32 v102, -13, v0
	s_movk_i32 s14, 0xf4
	s_mov_b64 s[6:7], 0
.LBB108_313:                            ; =>This Inner Loop Header: Depth=1
	buffer_load_dword v103, v101, s[0:3], 0 offen
	v_mov_b32_e32 v104, s14
	ds_read_b32 v104, v104
	v_add_u32_e32 v102, -1, v102
	s_add_i32 s14, s14, 4
	v_cmp_eq_u32_e32 vcc, 0, v102
	v_add_u32_e32 v101, 4, v101
	s_or_b64 s[6:7], vcc, s[6:7]
	s_waitcnt vmcnt(0) lgkmcnt(0)
	v_fmac_f32_e32 v100, v103, v104
	s_andn2_b64 exec, exec, s[6:7]
	s_cbranch_execnz .LBB108_313
; %bb.314:
	s_or_b64 exec, exec, s[6:7]
.LBB108_315:
	s_or_b64 exec, exec, s[12:13]
	v_mov_b32_e32 v101, 0
	ds_read_b32 v101, v101 offset:48
	s_waitcnt lgkmcnt(0)
	v_mul_f32_e32 v100, v100, v101
	buffer_store_dword v100, off, s[0:3], 0 offset:48
.LBB108_316:
	s_or_b64 exec, exec, s[8:9]
	buffer_load_dword v100, off, s[0:3], 0 offset:44
	v_cmp_lt_u32_e64 s[6:7], 11, v0
	s_waitcnt vmcnt(0)
	ds_write_b32 v92, v100
	s_waitcnt lgkmcnt(0)
	; wave barrier
	s_waitcnt lgkmcnt(0)
	s_and_saveexec_b64 s[8:9], s[6:7]
	s_cbranch_execz .LBB108_326
; %bb.317:
	s_andn2_b64 vcc, exec, s[10:11]
	s_cbranch_vccnz .LBB108_319
; %bb.318:
	buffer_load_dword v100, v93, s[0:3], 0 offen
	ds_read_b32 v101, v92
	s_waitcnt vmcnt(0) lgkmcnt(0)
	v_mul_f32_e32 v100, v100, v101
	s_cbranch_execz .LBB108_320
	s_branch .LBB108_321
.LBB108_319:
                                        ; implicit-def: $vgpr100
.LBB108_320:
	ds_read_b32 v100, v92
.LBB108_321:
	s_and_saveexec_b64 s[12:13], s[4:5]
	s_cbranch_execz .LBB108_325
; %bb.322:
	v_add_u32_e32 v101, -12, v0
	s_movk_i32 s14, 0xf0
	s_mov_b64 s[4:5], 0
.LBB108_323:                            ; =>This Inner Loop Header: Depth=1
	buffer_load_dword v102, v99, s[0:3], 0 offen
	v_mov_b32_e32 v103, s14
	ds_read_b32 v103, v103
	v_add_u32_e32 v101, -1, v101
	s_add_i32 s14, s14, 4
	v_cmp_eq_u32_e32 vcc, 0, v101
	v_add_u32_e32 v99, 4, v99
	s_or_b64 s[4:5], vcc, s[4:5]
	s_waitcnt vmcnt(0) lgkmcnt(0)
	v_fmac_f32_e32 v100, v102, v103
	s_andn2_b64 exec, exec, s[4:5]
	s_cbranch_execnz .LBB108_323
; %bb.324:
	s_or_b64 exec, exec, s[4:5]
.LBB108_325:
	s_or_b64 exec, exec, s[12:13]
	v_mov_b32_e32 v99, 0
	ds_read_b32 v99, v99 offset:44
	s_waitcnt lgkmcnt(0)
	v_mul_f32_e32 v99, v100, v99
	buffer_store_dword v99, off, s[0:3], 0 offset:44
.LBB108_326:
	s_or_b64 exec, exec, s[8:9]
	buffer_load_dword v99, off, s[0:3], 0 offset:40
	v_cmp_lt_u32_e64 s[4:5], 10, v0
	s_waitcnt vmcnt(0)
	ds_write_b32 v92, v99
	s_waitcnt lgkmcnt(0)
	; wave barrier
	s_waitcnt lgkmcnt(0)
	s_and_saveexec_b64 s[8:9], s[4:5]
	s_cbranch_execz .LBB108_336
; %bb.327:
	s_andn2_b64 vcc, exec, s[10:11]
	s_cbranch_vccnz .LBB108_329
; %bb.328:
	buffer_load_dword v99, v93, s[0:3], 0 offen
	ds_read_b32 v100, v92
	s_waitcnt vmcnt(0) lgkmcnt(0)
	v_mul_f32_e32 v99, v99, v100
	s_cbranch_execz .LBB108_330
	s_branch .LBB108_331
.LBB108_329:
                                        ; implicit-def: $vgpr99
.LBB108_330:
	ds_read_b32 v99, v92
.LBB108_331:
	s_and_saveexec_b64 s[12:13], s[6:7]
	s_cbranch_execz .LBB108_335
; %bb.332:
	v_mov_b32_e32 v100, 0
	v_add_u32_e32 v100, 44, v100
	v_add_u32_e32 v101, -11, v0
	s_movk_i32 s14, 0xec
	s_mov_b64 s[6:7], 0
.LBB108_333:                            ; =>This Inner Loop Header: Depth=1
	buffer_load_dword v102, v100, s[0:3], 0 offen
	v_mov_b32_e32 v103, s14
	ds_read_b32 v103, v103
	v_add_u32_e32 v101, -1, v101
	s_add_i32 s14, s14, 4
	v_cmp_eq_u32_e32 vcc, 0, v101
	v_add_u32_e32 v100, 4, v100
	s_or_b64 s[6:7], vcc, s[6:7]
	s_waitcnt vmcnt(0) lgkmcnt(0)
	v_fmac_f32_e32 v99, v102, v103
	s_andn2_b64 exec, exec, s[6:7]
	s_cbranch_execnz .LBB108_333
; %bb.334:
	s_or_b64 exec, exec, s[6:7]
.LBB108_335:
	s_or_b64 exec, exec, s[12:13]
	v_mov_b32_e32 v100, 0
	ds_read_b32 v100, v100 offset:40
	s_waitcnt lgkmcnt(0)
	v_mul_f32_e32 v99, v99, v100
	buffer_store_dword v99, off, s[0:3], 0 offset:40
.LBB108_336:
	s_or_b64 exec, exec, s[8:9]
	buffer_load_dword v99, off, s[0:3], 0 offset:36
	v_cmp_lt_u32_e64 s[6:7], 9, v0
	s_waitcnt vmcnt(0)
	ds_write_b32 v92, v99
	s_waitcnt lgkmcnt(0)
	; wave barrier
	s_waitcnt lgkmcnt(0)
	s_and_saveexec_b64 s[8:9], s[6:7]
	s_cbranch_execz .LBB108_346
; %bb.337:
	s_andn2_b64 vcc, exec, s[10:11]
	s_cbranch_vccnz .LBB108_339
; %bb.338:
	buffer_load_dword v99, v93, s[0:3], 0 offen
	ds_read_b32 v100, v92
	s_waitcnt vmcnt(0) lgkmcnt(0)
	v_mul_f32_e32 v99, v99, v100
	s_cbranch_execz .LBB108_340
	s_branch .LBB108_341
.LBB108_339:
                                        ; implicit-def: $vgpr99
.LBB108_340:
	ds_read_b32 v99, v92
.LBB108_341:
	s_and_saveexec_b64 s[12:13], s[4:5]
	s_cbranch_execz .LBB108_345
; %bb.342:
	v_add_u32_e32 v100, -10, v0
	s_movk_i32 s14, 0xe8
	s_mov_b64 s[4:5], 0
.LBB108_343:                            ; =>This Inner Loop Header: Depth=1
	buffer_load_dword v101, v98, s[0:3], 0 offen
	v_mov_b32_e32 v102, s14
	ds_read_b32 v102, v102
	v_add_u32_e32 v100, -1, v100
	s_add_i32 s14, s14, 4
	v_cmp_eq_u32_e32 vcc, 0, v100
	v_add_u32_e32 v98, 4, v98
	s_or_b64 s[4:5], vcc, s[4:5]
	s_waitcnt vmcnt(0) lgkmcnt(0)
	v_fmac_f32_e32 v99, v101, v102
	s_andn2_b64 exec, exec, s[4:5]
	s_cbranch_execnz .LBB108_343
; %bb.344:
	s_or_b64 exec, exec, s[4:5]
.LBB108_345:
	s_or_b64 exec, exec, s[12:13]
	v_mov_b32_e32 v98, 0
	ds_read_b32 v98, v98 offset:36
	s_waitcnt lgkmcnt(0)
	v_mul_f32_e32 v98, v99, v98
	buffer_store_dword v98, off, s[0:3], 0 offset:36
.LBB108_346:
	s_or_b64 exec, exec, s[8:9]
	buffer_load_dword v98, off, s[0:3], 0 offset:32
	v_cmp_lt_u32_e64 s[4:5], 8, v0
	s_waitcnt vmcnt(0)
	ds_write_b32 v92, v98
	s_waitcnt lgkmcnt(0)
	; wave barrier
	s_waitcnt lgkmcnt(0)
	s_and_saveexec_b64 s[8:9], s[4:5]
	s_cbranch_execz .LBB108_356
; %bb.347:
	s_andn2_b64 vcc, exec, s[10:11]
	s_cbranch_vccnz .LBB108_349
; %bb.348:
	buffer_load_dword v98, v93, s[0:3], 0 offen
	ds_read_b32 v99, v92
	s_waitcnt vmcnt(0) lgkmcnt(0)
	v_mul_f32_e32 v98, v98, v99
	s_cbranch_execz .LBB108_350
	s_branch .LBB108_351
.LBB108_349:
                                        ; implicit-def: $vgpr98
.LBB108_350:
	ds_read_b32 v98, v92
.LBB108_351:
	s_and_saveexec_b64 s[12:13], s[6:7]
	s_cbranch_execz .LBB108_355
; %bb.352:
	v_mov_b32_e32 v99, 0
	v_add_u32_e32 v99, 36, v99
	v_add_u32_e32 v100, -9, v0
	s_movk_i32 s14, 0xe4
	s_mov_b64 s[6:7], 0
.LBB108_353:                            ; =>This Inner Loop Header: Depth=1
	buffer_load_dword v101, v99, s[0:3], 0 offen
	v_mov_b32_e32 v102, s14
	ds_read_b32 v102, v102
	v_add_u32_e32 v100, -1, v100
	s_add_i32 s14, s14, 4
	v_cmp_eq_u32_e32 vcc, 0, v100
	v_add_u32_e32 v99, 4, v99
	s_or_b64 s[6:7], vcc, s[6:7]
	s_waitcnt vmcnt(0) lgkmcnt(0)
	v_fmac_f32_e32 v98, v101, v102
	s_andn2_b64 exec, exec, s[6:7]
	s_cbranch_execnz .LBB108_353
; %bb.354:
	s_or_b64 exec, exec, s[6:7]
.LBB108_355:
	s_or_b64 exec, exec, s[12:13]
	v_mov_b32_e32 v99, 0
	ds_read_b32 v99, v99 offset:32
	s_waitcnt lgkmcnt(0)
	v_mul_f32_e32 v98, v98, v99
	buffer_store_dword v98, off, s[0:3], 0 offset:32
.LBB108_356:
	s_or_b64 exec, exec, s[8:9]
	buffer_load_dword v98, off, s[0:3], 0 offset:28
	v_cmp_lt_u32_e64 s[6:7], 7, v0
	s_waitcnt vmcnt(0)
	ds_write_b32 v92, v98
	s_waitcnt lgkmcnt(0)
	; wave barrier
	s_waitcnt lgkmcnt(0)
	s_and_saveexec_b64 s[8:9], s[6:7]
	s_cbranch_execz .LBB108_366
; %bb.357:
	s_andn2_b64 vcc, exec, s[10:11]
	s_cbranch_vccnz .LBB108_359
; %bb.358:
	buffer_load_dword v98, v93, s[0:3], 0 offen
	ds_read_b32 v99, v92
	s_waitcnt vmcnt(0) lgkmcnt(0)
	v_mul_f32_e32 v98, v98, v99
	s_cbranch_execz .LBB108_360
	s_branch .LBB108_361
.LBB108_359:
                                        ; implicit-def: $vgpr98
.LBB108_360:
	ds_read_b32 v98, v92
.LBB108_361:
	s_and_saveexec_b64 s[12:13], s[4:5]
	s_cbranch_execz .LBB108_365
; %bb.362:
	v_add_u32_e32 v99, -8, v0
	s_movk_i32 s14, 0xe0
	s_mov_b64 s[4:5], 0
.LBB108_363:                            ; =>This Inner Loop Header: Depth=1
	buffer_load_dword v100, v97, s[0:3], 0 offen
	v_mov_b32_e32 v101, s14
	ds_read_b32 v101, v101
	v_add_u32_e32 v99, -1, v99
	s_add_i32 s14, s14, 4
	v_cmp_eq_u32_e32 vcc, 0, v99
	v_add_u32_e32 v97, 4, v97
	s_or_b64 s[4:5], vcc, s[4:5]
	s_waitcnt vmcnt(0) lgkmcnt(0)
	v_fmac_f32_e32 v98, v100, v101
	s_andn2_b64 exec, exec, s[4:5]
	s_cbranch_execnz .LBB108_363
; %bb.364:
	s_or_b64 exec, exec, s[4:5]
.LBB108_365:
	s_or_b64 exec, exec, s[12:13]
	v_mov_b32_e32 v97, 0
	ds_read_b32 v97, v97 offset:28
	s_waitcnt lgkmcnt(0)
	v_mul_f32_e32 v97, v98, v97
	buffer_store_dword v97, off, s[0:3], 0 offset:28
.LBB108_366:
	s_or_b64 exec, exec, s[8:9]
	buffer_load_dword v97, off, s[0:3], 0 offset:24
	v_cmp_lt_u32_e64 s[4:5], 6, v0
	s_waitcnt vmcnt(0)
	ds_write_b32 v92, v97
	s_waitcnt lgkmcnt(0)
	; wave barrier
	s_waitcnt lgkmcnt(0)
	s_and_saveexec_b64 s[8:9], s[4:5]
	s_cbranch_execz .LBB108_376
; %bb.367:
	s_andn2_b64 vcc, exec, s[10:11]
	s_cbranch_vccnz .LBB108_369
; %bb.368:
	buffer_load_dword v97, v93, s[0:3], 0 offen
	ds_read_b32 v98, v92
	s_waitcnt vmcnt(0) lgkmcnt(0)
	v_mul_f32_e32 v97, v97, v98
	s_cbranch_execz .LBB108_370
	s_branch .LBB108_371
.LBB108_369:
                                        ; implicit-def: $vgpr97
.LBB108_370:
	ds_read_b32 v97, v92
.LBB108_371:
	s_and_saveexec_b64 s[12:13], s[6:7]
	s_cbranch_execz .LBB108_375
; %bb.372:
	v_mov_b32_e32 v98, 0
	v_add_u32_e32 v98, 28, v98
	v_add_u32_e32 v99, -7, v0
	s_movk_i32 s14, 0xdc
	s_mov_b64 s[6:7], 0
.LBB108_373:                            ; =>This Inner Loop Header: Depth=1
	buffer_load_dword v100, v98, s[0:3], 0 offen
	v_mov_b32_e32 v101, s14
	ds_read_b32 v101, v101
	v_add_u32_e32 v99, -1, v99
	s_add_i32 s14, s14, 4
	v_cmp_eq_u32_e32 vcc, 0, v99
	v_add_u32_e32 v98, 4, v98
	s_or_b64 s[6:7], vcc, s[6:7]
	s_waitcnt vmcnt(0) lgkmcnt(0)
	v_fmac_f32_e32 v97, v100, v101
	s_andn2_b64 exec, exec, s[6:7]
	s_cbranch_execnz .LBB108_373
; %bb.374:
	s_or_b64 exec, exec, s[6:7]
.LBB108_375:
	s_or_b64 exec, exec, s[12:13]
	v_mov_b32_e32 v98, 0
	ds_read_b32 v98, v98 offset:24
	s_waitcnt lgkmcnt(0)
	v_mul_f32_e32 v97, v97, v98
	buffer_store_dword v97, off, s[0:3], 0 offset:24
.LBB108_376:
	s_or_b64 exec, exec, s[8:9]
	buffer_load_dword v97, off, s[0:3], 0 offset:20
	v_cmp_lt_u32_e64 s[6:7], 5, v0
	s_waitcnt vmcnt(0)
	ds_write_b32 v92, v97
	s_waitcnt lgkmcnt(0)
	; wave barrier
	s_waitcnt lgkmcnt(0)
	s_and_saveexec_b64 s[8:9], s[6:7]
	s_cbranch_execz .LBB108_386
; %bb.377:
	s_andn2_b64 vcc, exec, s[10:11]
	s_cbranch_vccnz .LBB108_379
; %bb.378:
	buffer_load_dword v97, v93, s[0:3], 0 offen
	ds_read_b32 v98, v92
	s_waitcnt vmcnt(0) lgkmcnt(0)
	v_mul_f32_e32 v97, v97, v98
	s_cbranch_execz .LBB108_380
	s_branch .LBB108_381
.LBB108_379:
                                        ; implicit-def: $vgpr97
.LBB108_380:
	ds_read_b32 v97, v92
.LBB108_381:
	s_and_saveexec_b64 s[12:13], s[4:5]
	s_cbranch_execz .LBB108_385
; %bb.382:
	v_add_u32_e32 v98, -6, v0
	s_movk_i32 s14, 0xd8
	s_mov_b64 s[4:5], 0
.LBB108_383:                            ; =>This Inner Loop Header: Depth=1
	buffer_load_dword v99, v96, s[0:3], 0 offen
	v_mov_b32_e32 v100, s14
	ds_read_b32 v100, v100
	v_add_u32_e32 v98, -1, v98
	s_add_i32 s14, s14, 4
	v_cmp_eq_u32_e32 vcc, 0, v98
	v_add_u32_e32 v96, 4, v96
	s_or_b64 s[4:5], vcc, s[4:5]
	s_waitcnt vmcnt(0) lgkmcnt(0)
	v_fmac_f32_e32 v97, v99, v100
	s_andn2_b64 exec, exec, s[4:5]
	s_cbranch_execnz .LBB108_383
; %bb.384:
	s_or_b64 exec, exec, s[4:5]
.LBB108_385:
	s_or_b64 exec, exec, s[12:13]
	v_mov_b32_e32 v96, 0
	ds_read_b32 v96, v96 offset:20
	s_waitcnt lgkmcnt(0)
	v_mul_f32_e32 v96, v97, v96
	buffer_store_dword v96, off, s[0:3], 0 offset:20
.LBB108_386:
	s_or_b64 exec, exec, s[8:9]
	buffer_load_dword v96, off, s[0:3], 0 offset:16
	v_cmp_lt_u32_e64 s[4:5], 4, v0
	s_waitcnt vmcnt(0)
	ds_write_b32 v92, v96
	s_waitcnt lgkmcnt(0)
	; wave barrier
	s_waitcnt lgkmcnt(0)
	s_and_saveexec_b64 s[8:9], s[4:5]
	s_cbranch_execz .LBB108_396
; %bb.387:
	s_andn2_b64 vcc, exec, s[10:11]
	s_cbranch_vccnz .LBB108_389
; %bb.388:
	buffer_load_dword v96, v93, s[0:3], 0 offen
	ds_read_b32 v97, v92
	s_waitcnt vmcnt(0) lgkmcnt(0)
	v_mul_f32_e32 v96, v96, v97
	s_cbranch_execz .LBB108_390
	s_branch .LBB108_391
.LBB108_389:
                                        ; implicit-def: $vgpr96
.LBB108_390:
	ds_read_b32 v96, v92
.LBB108_391:
	s_and_saveexec_b64 s[12:13], s[6:7]
	s_cbranch_execz .LBB108_395
; %bb.392:
	v_mov_b32_e32 v97, 0
	v_add_u32_e32 v97, 20, v97
	v_add_u32_e32 v98, -5, v0
	s_movk_i32 s14, 0xd4
	s_mov_b64 s[6:7], 0
.LBB108_393:                            ; =>This Inner Loop Header: Depth=1
	buffer_load_dword v99, v97, s[0:3], 0 offen
	v_mov_b32_e32 v100, s14
	ds_read_b32 v100, v100
	v_add_u32_e32 v98, -1, v98
	s_add_i32 s14, s14, 4
	v_cmp_eq_u32_e32 vcc, 0, v98
	v_add_u32_e32 v97, 4, v97
	s_or_b64 s[6:7], vcc, s[6:7]
	s_waitcnt vmcnt(0) lgkmcnt(0)
	v_fmac_f32_e32 v96, v99, v100
	s_andn2_b64 exec, exec, s[6:7]
	s_cbranch_execnz .LBB108_393
; %bb.394:
	s_or_b64 exec, exec, s[6:7]
.LBB108_395:
	s_or_b64 exec, exec, s[12:13]
	v_mov_b32_e32 v97, 0
	ds_read_b32 v97, v97 offset:16
	s_waitcnt lgkmcnt(0)
	v_mul_f32_e32 v96, v96, v97
	buffer_store_dword v96, off, s[0:3], 0 offset:16
.LBB108_396:
	s_or_b64 exec, exec, s[8:9]
	buffer_load_dword v96, off, s[0:3], 0 offset:12
	v_cmp_lt_u32_e64 s[6:7], 3, v0
	s_waitcnt vmcnt(0)
	ds_write_b32 v92, v96
	s_waitcnt lgkmcnt(0)
	; wave barrier
	s_waitcnt lgkmcnt(0)
	s_and_saveexec_b64 s[8:9], s[6:7]
	s_cbranch_execz .LBB108_406
; %bb.397:
	s_andn2_b64 vcc, exec, s[10:11]
	s_cbranch_vccnz .LBB108_399
; %bb.398:
	buffer_load_dword v96, v93, s[0:3], 0 offen
	ds_read_b32 v97, v92
	s_waitcnt vmcnt(0) lgkmcnt(0)
	v_mul_f32_e32 v96, v96, v97
	s_cbranch_execz .LBB108_400
	s_branch .LBB108_401
.LBB108_399:
                                        ; implicit-def: $vgpr96
.LBB108_400:
	ds_read_b32 v96, v92
.LBB108_401:
	s_and_saveexec_b64 s[12:13], s[4:5]
	s_cbranch_execz .LBB108_405
; %bb.402:
	v_add_u32_e32 v97, -4, v0
	s_movk_i32 s14, 0xd0
	s_mov_b64 s[4:5], 0
.LBB108_403:                            ; =>This Inner Loop Header: Depth=1
	buffer_load_dword v98, v95, s[0:3], 0 offen
	v_mov_b32_e32 v99, s14
	ds_read_b32 v99, v99
	v_add_u32_e32 v97, -1, v97
	s_add_i32 s14, s14, 4
	v_cmp_eq_u32_e32 vcc, 0, v97
	v_add_u32_e32 v95, 4, v95
	s_or_b64 s[4:5], vcc, s[4:5]
	s_waitcnt vmcnt(0) lgkmcnt(0)
	v_fmac_f32_e32 v96, v98, v99
	s_andn2_b64 exec, exec, s[4:5]
	s_cbranch_execnz .LBB108_403
; %bb.404:
	s_or_b64 exec, exec, s[4:5]
.LBB108_405:
	s_or_b64 exec, exec, s[12:13]
	v_mov_b32_e32 v95, 0
	ds_read_b32 v95, v95 offset:12
	s_waitcnt lgkmcnt(0)
	v_mul_f32_e32 v95, v96, v95
	buffer_store_dword v95, off, s[0:3], 0 offset:12
.LBB108_406:
	s_or_b64 exec, exec, s[8:9]
	buffer_load_dword v95, off, s[0:3], 0 offset:8
	v_cmp_lt_u32_e64 s[4:5], 2, v0
	s_waitcnt vmcnt(0)
	ds_write_b32 v92, v95
	s_waitcnt lgkmcnt(0)
	; wave barrier
	s_waitcnt lgkmcnt(0)
	s_and_saveexec_b64 s[8:9], s[4:5]
	s_cbranch_execz .LBB108_416
; %bb.407:
	s_andn2_b64 vcc, exec, s[10:11]
	s_cbranch_vccnz .LBB108_409
; %bb.408:
	buffer_load_dword v95, v93, s[0:3], 0 offen
	ds_read_b32 v96, v92
	s_waitcnt vmcnt(0) lgkmcnt(0)
	v_mul_f32_e32 v95, v95, v96
	s_cbranch_execz .LBB108_410
	s_branch .LBB108_411
.LBB108_409:
                                        ; implicit-def: $vgpr95
.LBB108_410:
	ds_read_b32 v95, v92
.LBB108_411:
	s_and_saveexec_b64 s[12:13], s[6:7]
	s_cbranch_execz .LBB108_415
; %bb.412:
	v_mov_b32_e32 v96, 0
	v_or_b32_e32 v96, 12, v96
	v_add_u32_e32 v97, -3, v0
	s_movk_i32 s14, 0xcc
	s_mov_b64 s[6:7], 0
.LBB108_413:                            ; =>This Inner Loop Header: Depth=1
	buffer_load_dword v98, v96, s[0:3], 0 offen
	v_mov_b32_e32 v99, s14
	ds_read_b32 v99, v99
	v_add_u32_e32 v97, -1, v97
	s_add_i32 s14, s14, 4
	v_cmp_eq_u32_e32 vcc, 0, v97
	v_add_u32_e32 v96, 4, v96
	s_or_b64 s[6:7], vcc, s[6:7]
	s_waitcnt vmcnt(0) lgkmcnt(0)
	v_fmac_f32_e32 v95, v98, v99
	s_andn2_b64 exec, exec, s[6:7]
	s_cbranch_execnz .LBB108_413
; %bb.414:
	s_or_b64 exec, exec, s[6:7]
.LBB108_415:
	s_or_b64 exec, exec, s[12:13]
	v_mov_b32_e32 v96, 0
	ds_read_b32 v96, v96 offset:8
	s_waitcnt lgkmcnt(0)
	v_mul_f32_e32 v95, v95, v96
	buffer_store_dword v95, off, s[0:3], 0 offset:8
.LBB108_416:
	s_or_b64 exec, exec, s[8:9]
	buffer_load_dword v95, off, s[0:3], 0 offset:4
	v_cmp_lt_u32_e64 s[6:7], 1, v0
	s_waitcnt vmcnt(0)
	ds_write_b32 v92, v95
	s_waitcnt lgkmcnt(0)
	; wave barrier
	s_waitcnt lgkmcnt(0)
	s_and_saveexec_b64 s[8:9], s[6:7]
	s_cbranch_execz .LBB108_426
; %bb.417:
	s_andn2_b64 vcc, exec, s[10:11]
	s_cbranch_vccnz .LBB108_419
; %bb.418:
	buffer_load_dword v95, v93, s[0:3], 0 offen
	ds_read_b32 v96, v92
	s_waitcnt vmcnt(0) lgkmcnt(0)
	v_mul_f32_e32 v95, v95, v96
	s_cbranch_execz .LBB108_420
	s_branch .LBB108_421
.LBB108_419:
                                        ; implicit-def: $vgpr95
.LBB108_420:
	ds_read_b32 v95, v92
.LBB108_421:
	s_and_saveexec_b64 s[12:13], s[4:5]
	s_cbranch_execz .LBB108_425
; %bb.422:
	v_add_u32_e32 v96, -2, v0
	s_movk_i32 s14, 0xc8
	s_mov_b64 s[4:5], 0
.LBB108_423:                            ; =>This Inner Loop Header: Depth=1
	buffer_load_dword v97, v94, s[0:3], 0 offen
	v_mov_b32_e32 v98, s14
	ds_read_b32 v98, v98
	v_add_u32_e32 v96, -1, v96
	s_add_i32 s14, s14, 4
	v_cmp_eq_u32_e32 vcc, 0, v96
	v_add_u32_e32 v94, 4, v94
	s_or_b64 s[4:5], vcc, s[4:5]
	s_waitcnt vmcnt(0) lgkmcnt(0)
	v_fmac_f32_e32 v95, v97, v98
	s_andn2_b64 exec, exec, s[4:5]
	s_cbranch_execnz .LBB108_423
; %bb.424:
	s_or_b64 exec, exec, s[4:5]
.LBB108_425:
	s_or_b64 exec, exec, s[12:13]
	v_mov_b32_e32 v94, 0
	ds_read_b32 v94, v94 offset:4
	s_waitcnt lgkmcnt(0)
	v_mul_f32_e32 v94, v95, v94
	buffer_store_dword v94, off, s[0:3], 0 offset:4
.LBB108_426:
	s_or_b64 exec, exec, s[8:9]
	buffer_load_dword v94, off, s[0:3], 0
	v_cmp_ne_u32_e32 vcc, 0, v0
	s_waitcnt vmcnt(0)
	ds_write_b32 v92, v94
	s_waitcnt lgkmcnt(0)
	; wave barrier
	s_waitcnt lgkmcnt(0)
	s_and_saveexec_b64 s[4:5], vcc
	s_cbranch_execz .LBB108_436
; %bb.427:
	s_andn2_b64 vcc, exec, s[10:11]
	s_cbranch_vccnz .LBB108_429
; %bb.428:
	buffer_load_dword v94, v93, s[0:3], 0 offen
	ds_read_b32 v95, v92
	s_waitcnt vmcnt(0) lgkmcnt(0)
	v_mul_f32_e32 v94, v94, v95
	s_cbranch_execz .LBB108_430
	s_branch .LBB108_431
.LBB108_429:
                                        ; implicit-def: $vgpr94
.LBB108_430:
	ds_read_b32 v94, v92
.LBB108_431:
	s_and_saveexec_b64 s[8:9], s[6:7]
	s_cbranch_execz .LBB108_435
; %bb.432:
	v_mov_b32_e32 v95, 0
	v_or_b32_e32 v95, 4, v95
	v_add_u32_e32 v96, -1, v0
	s_movk_i32 s12, 0xc4
	s_mov_b64 s[6:7], 0
.LBB108_433:                            ; =>This Inner Loop Header: Depth=1
	buffer_load_dword v97, v95, s[0:3], 0 offen
	v_mov_b32_e32 v98, s12
	ds_read_b32 v98, v98
	v_add_u32_e32 v96, -1, v96
	s_add_i32 s12, s12, 4
	v_cmp_eq_u32_e32 vcc, 0, v96
	v_add_u32_e32 v95, 4, v95
	s_or_b64 s[6:7], vcc, s[6:7]
	s_waitcnt vmcnt(0) lgkmcnt(0)
	v_fmac_f32_e32 v94, v97, v98
	s_andn2_b64 exec, exec, s[6:7]
	s_cbranch_execnz .LBB108_433
; %bb.434:
	s_or_b64 exec, exec, s[6:7]
.LBB108_435:
	s_or_b64 exec, exec, s[8:9]
	v_mov_b32_e32 v95, 0
	ds_read_b32 v95, v95
	s_waitcnt lgkmcnt(0)
	v_mul_f32_e32 v94, v94, v95
	buffer_store_dword v94, off, s[0:3], 0
.LBB108_436:
	s_or_b64 exec, exec, s[4:5]
	s_mov_b64 s[4:5], 0
.LBB108_437:
	s_and_b64 vcc, exec, s[4:5]
	s_cbranch_vccz .LBB108_871
; %bb.438:
	buffer_load_dword v94, off, s[0:3], 0 offset:4
	v_cmp_eq_u32_e64 s[6:7], 0, v0
	s_waitcnt vmcnt(0)
	ds_write_b32 v92, v94
	s_waitcnt lgkmcnt(0)
	; wave barrier
	s_waitcnt lgkmcnt(0)
	s_and_saveexec_b64 s[4:5], s[6:7]
	s_cbranch_execz .LBB108_444
; %bb.439:
	s_and_b64 vcc, exec, s[10:11]
	s_cbranch_vccz .LBB108_441
; %bb.440:
	buffer_load_dword v94, v93, s[0:3], 0 offen
	ds_read_b32 v95, v92
	s_waitcnt vmcnt(0) lgkmcnt(0)
	v_mul_f32_e32 v94, v94, v95
	s_cbranch_execz .LBB108_442
	s_branch .LBB108_443
.LBB108_441:
                                        ; implicit-def: $vgpr94
.LBB108_442:
	ds_read_b32 v94, v92
.LBB108_443:
	v_mov_b32_e32 v95, 0
	ds_read_b32 v95, v95 offset:4
	s_waitcnt lgkmcnt(0)
	v_mul_f32_e32 v94, v94, v95
	buffer_store_dword v94, off, s[0:3], 0 offset:4
.LBB108_444:
	s_or_b64 exec, exec, s[4:5]
	buffer_load_dword v94, off, s[0:3], 0 offset:8
	v_cndmask_b32_e64 v95, 0, 1, s[10:11]
	v_cmp_gt_u32_e32 vcc, 2, v0
	v_cmp_ne_u32_e64 s[4:5], 1, v95
	s_waitcnt vmcnt(0)
	ds_write_b32 v92, v94
	s_waitcnt lgkmcnt(0)
	; wave barrier
	s_waitcnt lgkmcnt(0)
	s_and_saveexec_b64 s[8:9], vcc
	s_cbranch_execz .LBB108_452
; %bb.445:
	s_and_b64 vcc, exec, s[4:5]
	s_cbranch_vccnz .LBB108_447
; %bb.446:
	buffer_load_dword v94, v93, s[0:3], 0 offen
	ds_read_b32 v95, v92
	s_waitcnt vmcnt(0) lgkmcnt(0)
	v_mul_f32_e32 v94, v94, v95
	s_cbranch_execz .LBB108_448
	s_branch .LBB108_449
.LBB108_447:
                                        ; implicit-def: $vgpr94
.LBB108_448:
	ds_read_b32 v94, v92
.LBB108_449:
	s_and_saveexec_b64 s[10:11], s[6:7]
	s_cbranch_execz .LBB108_451
; %bb.450:
	buffer_load_dword v95, v93, s[0:3], 0 offen offset:4
	ds_read_b32 v96, v92 offset:4
	s_waitcnt vmcnt(0) lgkmcnt(0)
	v_fmac_f32_e32 v94, v95, v96
.LBB108_451:
	s_or_b64 exec, exec, s[10:11]
	v_mov_b32_e32 v95, 0
	ds_read_b32 v95, v95 offset:8
	s_waitcnt lgkmcnt(0)
	v_mul_f32_e32 v94, v94, v95
	buffer_store_dword v94, off, s[0:3], 0 offset:8
.LBB108_452:
	s_or_b64 exec, exec, s[8:9]
	buffer_load_dword v94, off, s[0:3], 0 offset:12
	v_cmp_gt_u32_e32 vcc, 3, v0
	s_waitcnt vmcnt(0)
	ds_write_b32 v92, v94
	s_waitcnt lgkmcnt(0)
	; wave barrier
	s_waitcnt lgkmcnt(0)
	s_and_saveexec_b64 s[8:9], vcc
	s_cbranch_execz .LBB108_460
; %bb.453:
	s_and_b64 vcc, exec, s[4:5]
	s_cbranch_vccnz .LBB108_455
; %bb.454:
	buffer_load_dword v94, v93, s[0:3], 0 offen
	ds_read_b32 v95, v92
	s_waitcnt vmcnt(0) lgkmcnt(0)
	v_mul_f32_e32 v94, v94, v95
	s_cbranch_execz .LBB108_456
	s_branch .LBB108_457
.LBB108_455:
                                        ; implicit-def: $vgpr94
.LBB108_456:
	ds_read_b32 v94, v92
.LBB108_457:
	v_cmp_ne_u32_e32 vcc, 2, v0
	s_and_saveexec_b64 s[10:11], vcc
	s_cbranch_execz .LBB108_459
; %bb.458:
	buffer_load_dword v95, v93, s[0:3], 0 offen offset:4
	buffer_load_dword v96, off, s[0:3], 0 offset:8
	v_mov_b32_e32 v97, 0
	ds_read_b32 v98, v92 offset:4
	ds_read_b32 v97, v97 offset:200
	s_waitcnt vmcnt(1) lgkmcnt(1)
	v_fmac_f32_e32 v94, v95, v98
	s_waitcnt vmcnt(0) lgkmcnt(0)
	v_fma_f32 v95, v96, v97, v94
	v_cndmask_b32_e64 v94, v94, v95, s[6:7]
.LBB108_459:
	s_or_b64 exec, exec, s[10:11]
	v_mov_b32_e32 v95, 0
	ds_read_b32 v95, v95 offset:12
	s_waitcnt lgkmcnt(0)
	v_mul_f32_e32 v94, v94, v95
	buffer_store_dword v94, off, s[0:3], 0 offset:12
.LBB108_460:
	s_or_b64 exec, exec, s[8:9]
	buffer_load_dword v94, off, s[0:3], 0 offset:16
	v_cmp_gt_u32_e32 vcc, 4, v0
	s_waitcnt vmcnt(0)
	ds_write_b32 v92, v94
	s_waitcnt lgkmcnt(0)
	; wave barrier
	s_waitcnt lgkmcnt(0)
	s_and_saveexec_b64 s[6:7], vcc
	s_cbranch_execz .LBB108_470
; %bb.461:
	s_and_b64 vcc, exec, s[4:5]
	s_cbranch_vccnz .LBB108_463
; %bb.462:
	buffer_load_dword v94, v93, s[0:3], 0 offen
	ds_read_b32 v95, v92
	s_waitcnt vmcnt(0) lgkmcnt(0)
	v_mul_f32_e32 v94, v94, v95
	s_cbranch_execz .LBB108_464
	s_branch .LBB108_465
.LBB108_463:
                                        ; implicit-def: $vgpr94
.LBB108_464:
	ds_read_b32 v94, v92
.LBB108_465:
	v_cmp_ne_u32_e32 vcc, 3, v0
	s_and_saveexec_b64 s[8:9], vcc
	s_cbranch_execz .LBB108_469
; %bb.466:
	v_mov_b32_e32 v96, 0
	v_add_u32_e32 v95, 0xc4, v1
	v_add3_u32 v96, v1, v96, 4
	s_mov_b64 s[10:11], 0
	v_mov_b32_e32 v97, v0
.LBB108_467:                            ; =>This Inner Loop Header: Depth=1
	buffer_load_dword v98, v96, s[0:3], 0 offen
	ds_read_b32 v99, v95
	v_add_u32_e32 v97, 1, v97
	v_cmp_lt_u32_e32 vcc, 2, v97
	v_add_u32_e32 v95, 4, v95
	v_add_u32_e32 v96, 4, v96
	s_or_b64 s[10:11], vcc, s[10:11]
	s_waitcnt vmcnt(0) lgkmcnt(0)
	v_fmac_f32_e32 v94, v98, v99
	s_andn2_b64 exec, exec, s[10:11]
	s_cbranch_execnz .LBB108_467
; %bb.468:
	s_or_b64 exec, exec, s[10:11]
.LBB108_469:
	s_or_b64 exec, exec, s[8:9]
	v_mov_b32_e32 v95, 0
	ds_read_b32 v95, v95 offset:16
	s_waitcnt lgkmcnt(0)
	v_mul_f32_e32 v94, v94, v95
	buffer_store_dword v94, off, s[0:3], 0 offset:16
.LBB108_470:
	s_or_b64 exec, exec, s[6:7]
	buffer_load_dword v94, off, s[0:3], 0 offset:20
	v_cmp_gt_u32_e32 vcc, 5, v0
	s_waitcnt vmcnt(0)
	ds_write_b32 v92, v94
	s_waitcnt lgkmcnt(0)
	; wave barrier
	s_waitcnt lgkmcnt(0)
	s_and_saveexec_b64 s[6:7], vcc
	s_cbranch_execz .LBB108_480
; %bb.471:
	s_and_b64 vcc, exec, s[4:5]
	s_cbranch_vccnz .LBB108_473
; %bb.472:
	buffer_load_dword v94, v93, s[0:3], 0 offen
	ds_read_b32 v95, v92
	s_waitcnt vmcnt(0) lgkmcnt(0)
	v_mul_f32_e32 v94, v94, v95
	s_cbranch_execz .LBB108_474
	s_branch .LBB108_475
.LBB108_473:
                                        ; implicit-def: $vgpr94
.LBB108_474:
	ds_read_b32 v94, v92
.LBB108_475:
	v_cmp_ne_u32_e32 vcc, 4, v0
	s_and_saveexec_b64 s[8:9], vcc
	s_cbranch_execz .LBB108_479
; %bb.476:
	v_mov_b32_e32 v96, 0
	v_add_u32_e32 v95, 0xc4, v1
	v_add3_u32 v96, v1, v96, 4
	s_mov_b64 s[10:11], 0
	v_mov_b32_e32 v97, v0
.LBB108_477:                            ; =>This Inner Loop Header: Depth=1
	buffer_load_dword v98, v96, s[0:3], 0 offen
	ds_read_b32 v99, v95
	v_add_u32_e32 v97, 1, v97
	v_cmp_lt_u32_e32 vcc, 3, v97
	v_add_u32_e32 v95, 4, v95
	v_add_u32_e32 v96, 4, v96
	s_or_b64 s[10:11], vcc, s[10:11]
	s_waitcnt vmcnt(0) lgkmcnt(0)
	v_fmac_f32_e32 v94, v98, v99
	s_andn2_b64 exec, exec, s[10:11]
	s_cbranch_execnz .LBB108_477
; %bb.478:
	s_or_b64 exec, exec, s[10:11]
.LBB108_479:
	s_or_b64 exec, exec, s[8:9]
	v_mov_b32_e32 v95, 0
	ds_read_b32 v95, v95 offset:20
	s_waitcnt lgkmcnt(0)
	v_mul_f32_e32 v94, v94, v95
	buffer_store_dword v94, off, s[0:3], 0 offset:20
.LBB108_480:
	;; [unrolled: 56-line block ×39, first 2 shown]
	s_or_b64 exec, exec, s[6:7]
	buffer_load_dword v94, off, s[0:3], 0 offset:172
	v_cmp_gt_u32_e64 s[6:7], 43, v0
	s_waitcnt vmcnt(0)
	ds_write_b32 v92, v94
	s_waitcnt lgkmcnt(0)
	; wave barrier
	s_waitcnt lgkmcnt(0)
	s_and_saveexec_b64 s[8:9], s[6:7]
	s_cbranch_execz .LBB108_860
; %bb.851:
	s_and_b64 vcc, exec, s[4:5]
	s_cbranch_vccnz .LBB108_853
; %bb.852:
	buffer_load_dword v94, v93, s[0:3], 0 offen
	ds_read_b32 v95, v92
	s_waitcnt vmcnt(0) lgkmcnt(0)
	v_mul_f32_e32 v94, v94, v95
	s_cbranch_execz .LBB108_854
	s_branch .LBB108_855
.LBB108_853:
                                        ; implicit-def: $vgpr94
.LBB108_854:
	ds_read_b32 v94, v92
.LBB108_855:
	v_cmp_ne_u32_e32 vcc, 42, v0
	s_and_saveexec_b64 s[10:11], vcc
	s_cbranch_execz .LBB108_859
; %bb.856:
	v_mov_b32_e32 v96, 0
	v_add_u32_e32 v95, 0xc4, v1
	v_add3_u32 v96, v1, v96, 4
	s_mov_b64 s[12:13], 0
	v_mov_b32_e32 v97, v0
.LBB108_857:                            ; =>This Inner Loop Header: Depth=1
	buffer_load_dword v98, v96, s[0:3], 0 offen
	ds_read_b32 v99, v95
	v_add_u32_e32 v97, 1, v97
	v_cmp_lt_u32_e32 vcc, 41, v97
	v_add_u32_e32 v95, 4, v95
	v_add_u32_e32 v96, 4, v96
	s_or_b64 s[12:13], vcc, s[12:13]
	s_waitcnt vmcnt(0) lgkmcnt(0)
	v_fmac_f32_e32 v94, v98, v99
	s_andn2_b64 exec, exec, s[12:13]
	s_cbranch_execnz .LBB108_857
; %bb.858:
	s_or_b64 exec, exec, s[12:13]
.LBB108_859:
	s_or_b64 exec, exec, s[10:11]
	v_mov_b32_e32 v95, 0
	ds_read_b32 v95, v95 offset:172
	s_waitcnt lgkmcnt(0)
	v_mul_f32_e32 v94, v94, v95
	buffer_store_dword v94, off, s[0:3], 0 offset:172
.LBB108_860:
	s_or_b64 exec, exec, s[8:9]
	buffer_load_dword v94, off, s[0:3], 0 offset:176
	v_cmp_ne_u32_e32 vcc, 44, v0
	s_waitcnt vmcnt(0)
	ds_write_b32 v92, v94
	s_waitcnt lgkmcnt(0)
	; wave barrier
	s_waitcnt lgkmcnt(0)
	s_and_saveexec_b64 s[8:9], vcc
	s_cbranch_execz .LBB108_870
; %bb.861:
	s_and_b64 vcc, exec, s[4:5]
	s_cbranch_vccnz .LBB108_863
; %bb.862:
	buffer_load_dword v93, v93, s[0:3], 0 offen
	ds_read_b32 v94, v92
	s_waitcnt vmcnt(0) lgkmcnt(0)
	v_mul_f32_e32 v93, v93, v94
	s_cbranch_execz .LBB108_864
	s_branch .LBB108_865
.LBB108_863:
                                        ; implicit-def: $vgpr93
.LBB108_864:
	ds_read_b32 v93, v92
.LBB108_865:
	s_and_saveexec_b64 s[4:5], s[6:7]
	s_cbranch_execz .LBB108_869
; %bb.866:
	v_mov_b32_e32 v94, 0
	v_add_u32_e32 v92, 0xc4, v1
	v_add3_u32 v1, v1, v94, 4
	s_mov_b64 s[6:7], 0
.LBB108_867:                            ; =>This Inner Loop Header: Depth=1
	buffer_load_dword v94, v1, s[0:3], 0 offen
	ds_read_b32 v95, v92
	v_add_u32_e32 v0, 1, v0
	v_cmp_lt_u32_e32 vcc, 42, v0
	v_add_u32_e32 v92, 4, v92
	v_add_u32_e32 v1, 4, v1
	s_or_b64 s[6:7], vcc, s[6:7]
	s_waitcnt vmcnt(0) lgkmcnt(0)
	v_fmac_f32_e32 v93, v94, v95
	s_andn2_b64 exec, exec, s[6:7]
	s_cbranch_execnz .LBB108_867
; %bb.868:
	s_or_b64 exec, exec, s[6:7]
.LBB108_869:
	s_or_b64 exec, exec, s[4:5]
	v_mov_b32_e32 v0, 0
	ds_read_b32 v0, v0 offset:176
	s_waitcnt lgkmcnt(0)
	v_mul_f32_e32 v0, v93, v0
	buffer_store_dword v0, off, s[0:3], 0 offset:176
.LBB108_870:
	s_or_b64 exec, exec, s[8:9]
.LBB108_871:
	buffer_load_dword v0, off, s[0:3], 0
	buffer_load_dword v1, off, s[0:3], 0 offset:4
	buffer_load_dword v92, off, s[0:3], 0 offset:8
	;; [unrolled: 1-line block ×31, first 2 shown]
	s_waitcnt vmcnt(31)
	global_store_dword v[76:77], v0, off
	s_waitcnt vmcnt(31)
	global_store_dword v[80:81], v1, off
	buffer_load_dword v0, off, s[0:3], 0 offset:128
	s_nop 0
	buffer_load_dword v1, off, s[0:3], 0 offset:132
	buffer_load_dword v76, off, s[0:3], 0 offset:136
	;; [unrolled: 1-line block ×7, first 2 shown]
	s_waitcnt vmcnt(39)
	global_store_dword v[2:3], v92, off
	s_waitcnt vmcnt(39)
	global_store_dword v[4:5], v93, off
	buffer_load_dword v2, off, s[0:3], 0 offset:160
	buffer_load_dword v3, off, s[0:3], 0 offset:164
	s_nop 0
	buffer_load_dword v4, off, s[0:3], 0 offset:168
	buffer_load_dword v5, off, s[0:3], 0 offset:172
	;; [unrolled: 1-line block ×3, first 2 shown]
	s_waitcnt vmcnt(44)
	global_store_dword v[6:7], v94, off
	s_waitcnt vmcnt(44)
	global_store_dword v[8:9], v95, off
	;; [unrolled: 2-line block ×41, first 2 shown]
.LBB108_872:
	s_endpgm
	.section	.rodata,"a",@progbits
	.p2align	6, 0x0
	.amdhsa_kernel _ZN9rocsolver6v33100L18trti2_kernel_smallILi45EfPKPfEEv13rocblas_fill_17rocblas_diagonal_T1_iil
		.amdhsa_group_segment_fixed_size 372
		.amdhsa_private_segment_fixed_size 192
		.amdhsa_kernarg_size 32
		.amdhsa_user_sgpr_count 8
		.amdhsa_user_sgpr_private_segment_buffer 1
		.amdhsa_user_sgpr_dispatch_ptr 0
		.amdhsa_user_sgpr_queue_ptr 0
		.amdhsa_user_sgpr_kernarg_segment_ptr 1
		.amdhsa_user_sgpr_dispatch_id 0
		.amdhsa_user_sgpr_flat_scratch_init 1
		.amdhsa_user_sgpr_kernarg_preload_length 0
		.amdhsa_user_sgpr_kernarg_preload_offset 0
		.amdhsa_user_sgpr_private_segment_size 0
		.amdhsa_uses_dynamic_stack 0
		.amdhsa_system_sgpr_private_segment_wavefront_offset 1
		.amdhsa_system_sgpr_workgroup_id_x 1
		.amdhsa_system_sgpr_workgroup_id_y 0
		.amdhsa_system_sgpr_workgroup_id_z 0
		.amdhsa_system_sgpr_workgroup_info 0
		.amdhsa_system_vgpr_workitem_id 0
		.amdhsa_next_free_vgpr 124
		.amdhsa_next_free_sgpr 16
		.amdhsa_accum_offset 124
		.amdhsa_reserve_vcc 1
		.amdhsa_reserve_flat_scratch 0
		.amdhsa_float_round_mode_32 0
		.amdhsa_float_round_mode_16_64 0
		.amdhsa_float_denorm_mode_32 3
		.amdhsa_float_denorm_mode_16_64 3
		.amdhsa_dx10_clamp 1
		.amdhsa_ieee_mode 1
		.amdhsa_fp16_overflow 0
		.amdhsa_tg_split 0
		.amdhsa_exception_fp_ieee_invalid_op 0
		.amdhsa_exception_fp_denorm_src 0
		.amdhsa_exception_fp_ieee_div_zero 0
		.amdhsa_exception_fp_ieee_overflow 0
		.amdhsa_exception_fp_ieee_underflow 0
		.amdhsa_exception_fp_ieee_inexact 0
		.amdhsa_exception_int_div_zero 0
	.end_amdhsa_kernel
	.section	.text._ZN9rocsolver6v33100L18trti2_kernel_smallILi45EfPKPfEEv13rocblas_fill_17rocblas_diagonal_T1_iil,"axG",@progbits,_ZN9rocsolver6v33100L18trti2_kernel_smallILi45EfPKPfEEv13rocblas_fill_17rocblas_diagonal_T1_iil,comdat
.Lfunc_end108:
	.size	_ZN9rocsolver6v33100L18trti2_kernel_smallILi45EfPKPfEEv13rocblas_fill_17rocblas_diagonal_T1_iil, .Lfunc_end108-_ZN9rocsolver6v33100L18trti2_kernel_smallILi45EfPKPfEEv13rocblas_fill_17rocblas_diagonal_T1_iil
                                        ; -- End function
	.section	.AMDGPU.csdata,"",@progbits
; Kernel info:
; codeLenInByte = 21996
; NumSgprs: 20
; NumVgprs: 124
; NumAgprs: 0
; TotalNumVgprs: 124
; ScratchSize: 192
; MemoryBound: 0
; FloatMode: 240
; IeeeMode: 1
; LDSByteSize: 372 bytes/workgroup (compile time only)
; SGPRBlocks: 2
; VGPRBlocks: 15
; NumSGPRsForWavesPerEU: 20
; NumVGPRsForWavesPerEU: 124
; AccumOffset: 124
; Occupancy: 4
; WaveLimiterHint : 1
; COMPUTE_PGM_RSRC2:SCRATCH_EN: 1
; COMPUTE_PGM_RSRC2:USER_SGPR: 8
; COMPUTE_PGM_RSRC2:TRAP_HANDLER: 0
; COMPUTE_PGM_RSRC2:TGID_X_EN: 1
; COMPUTE_PGM_RSRC2:TGID_Y_EN: 0
; COMPUTE_PGM_RSRC2:TGID_Z_EN: 0
; COMPUTE_PGM_RSRC2:TIDIG_COMP_CNT: 0
; COMPUTE_PGM_RSRC3_GFX90A:ACCUM_OFFSET: 30
; COMPUTE_PGM_RSRC3_GFX90A:TG_SPLIT: 0
	.section	.text._ZN9rocsolver6v33100L18trti2_kernel_smallILi46EfPKPfEEv13rocblas_fill_17rocblas_diagonal_T1_iil,"axG",@progbits,_ZN9rocsolver6v33100L18trti2_kernel_smallILi46EfPKPfEEv13rocblas_fill_17rocblas_diagonal_T1_iil,comdat
	.globl	_ZN9rocsolver6v33100L18trti2_kernel_smallILi46EfPKPfEEv13rocblas_fill_17rocblas_diagonal_T1_iil ; -- Begin function _ZN9rocsolver6v33100L18trti2_kernel_smallILi46EfPKPfEEv13rocblas_fill_17rocblas_diagonal_T1_iil
	.p2align	8
	.type	_ZN9rocsolver6v33100L18trti2_kernel_smallILi46EfPKPfEEv13rocblas_fill_17rocblas_diagonal_T1_iil,@function
_ZN9rocsolver6v33100L18trti2_kernel_smallILi46EfPKPfEEv13rocblas_fill_17rocblas_diagonal_T1_iil: ; @_ZN9rocsolver6v33100L18trti2_kernel_smallILi46EfPKPfEEv13rocblas_fill_17rocblas_diagonal_T1_iil
; %bb.0:
	s_add_u32 s0, s0, s9
	s_addc_u32 s1, s1, 0
	v_cmp_gt_u32_e32 vcc, 46, v0
	s_and_saveexec_b64 s[6:7], vcc
	s_cbranch_execz .LBB109_892
; %bb.1:
	s_load_dwordx2 s[6:7], s[4:5], 0x10
	s_load_dwordx4 s[12:15], s[4:5], 0x0
	s_ashr_i32 s9, s8, 31
	s_lshl_b64 s[4:5], s[8:9], 3
	s_waitcnt lgkmcnt(0)
	s_ashr_i32 s9, s6, 31
	s_add_u32 s4, s14, s4
	s_addc_u32 s5, s15, s5
	s_load_dwordx2 s[4:5], s[4:5], 0x0
	s_mov_b32 s8, s6
	s_lshl_b64 s[8:9], s[8:9], 2
	s_waitcnt lgkmcnt(0)
	s_add_u32 s4, s4, s8
	s_addc_u32 s5, s5, s9
	s_add_i32 s6, s7, s7
	v_add_u32_e32 v2, s6, v0
	v_ashrrev_i32_e32 v3, 31, v2
	v_lshlrev_b64 v[4:5], 2, v[2:3]
	v_add_u32_e32 v6, s7, v2
	v_mov_b32_e32 v1, s5
	v_add_co_u32_e32 v4, vcc, s4, v4
	v_ashrrev_i32_e32 v7, 31, v6
	v_addc_co_u32_e32 v5, vcc, v1, v5, vcc
	v_lshlrev_b64 v[2:3], 2, v[6:7]
	v_add_u32_e32 v6, s7, v6
	v_add_co_u32_e32 v2, vcc, s4, v2
	v_ashrrev_i32_e32 v7, 31, v6
	v_addc_co_u32_e32 v3, vcc, v1, v3, vcc
	v_lshlrev_b64 v[8:9], 2, v[6:7]
	v_add_u32_e32 v10, s7, v6
	;; [unrolled: 5-line block ×33, first 2 shown]
	v_add_co_u32_e32 v68, vcc, s4, v68
	v_ashrrev_i32_e32 v73, 31, v72
	v_addc_co_u32_e32 v69, vcc, v1, v69, vcc
	v_lshlrev_b64 v[70:71], 2, v[72:73]
	v_add_co_u32_e32 v70, vcc, s4, v70
	v_add_u32_e32 v74, s7, v72
	v_addc_co_u32_e32 v71, vcc, v1, v71, vcc
	v_ashrrev_i32_e32 v75, 31, v74
	v_lshlrev_b32_e32 v1, 2, v0
	v_lshlrev_b64 v[72:73], 2, v[74:75]
	v_mov_b32_e32 v75, s5
	v_add_co_u32_e32 v78, vcc, s4, v1
	s_ashr_i32 s9, s7, 31
	s_mov_b32 s8, s7
	v_addc_co_u32_e32 v79, vcc, 0, v75, vcc
	s_lshl_b64 s[8:9], s[8:9], 2
	v_mov_b32_e32 v75, s9
	v_add_co_u32_e32 v82, vcc, s8, v78
	v_addc_co_u32_e32 v83, vcc, v79, v75, vcc
	global_load_dword v94, v1, s[4:5]
	global_load_dword v95, v[82:83], off
	global_load_dword v96, v[4:5], off
	;; [unrolled: 1-line block ×16, first 2 shown]
	v_mov_b32_e32 v76, s5
	v_add_co_u32_e32 v72, vcc, s4, v72
	v_addc_co_u32_e32 v73, vcc, v76, v73, vcc
	v_add_u32_e32 v76, s7, v74
	v_ashrrev_i32_e32 v77, 31, v76
	v_lshlrev_b64 v[74:75], 2, v[76:77]
	v_mov_b32_e32 v80, s5
	v_add_co_u32_e32 v74, vcc, s4, v74
	v_addc_co_u32_e32 v75, vcc, v80, v75, vcc
	v_add_u32_e32 v80, s7, v76
	v_ashrrev_i32_e32 v81, 31, v80
	v_lshlrev_b64 v[76:77], 2, v[80:81]
	;; [unrolled: 6-line block ×7, first 2 shown]
	v_add_u32_e32 v92, s7, v92
	v_mov_b32_e32 v111, s5
	v_add_co_u32_e32 v90, vcc, s4, v90
	v_ashrrev_i32_e32 v93, 31, v92
	v_addc_co_u32_e32 v91, vcc, v111, v91, vcc
	v_lshlrev_b64 v[92:93], 2, v[92:93]
	v_add_co_u32_e32 v92, vcc, s4, v92
	v_addc_co_u32_e32 v93, vcc, v111, v93, vcc
	global_load_dword v111, v[92:93], off
	s_waitcnt vmcnt(17)
	buffer_store_dword v94, off, s[0:3], 0
	s_waitcnt vmcnt(17)
	buffer_store_dword v95, off, s[0:3], 0 offset:4
	s_waitcnt vmcnt(17)
	buffer_store_dword v96, off, s[0:3], 0 offset:8
	;; [unrolled: 2-line block ×11, first 2 shown]
	global_load_dword v94, v[32:33], off
	global_load_dword v95, v[34:35], off
	global_load_dword v96, v[36:37], off
	global_load_dword v97, v[46:47], off
	global_load_dword v98, v[44:45], off
	global_load_dword v99, v[42:43], off
	global_load_dword v100, v[40:41], off
	global_load_dword v101, v[38:39], off
	global_load_dword v102, v[48:49], off
	global_load_dword v103, v[62:63], off
	global_load_dword v109, v[60:61], off
	global_load_dword v110, v[58:59], off
	global_load_dword v112, v[56:57], off
	global_load_dword v113, v[54:55], off
	global_load_dword v114, v[52:53], off
	global_load_dword v115, v[50:51], off
	global_load_dword v116, v[64:65], off
	global_load_dword v117, v[80:81], off
	global_load_dword v118, v[76:77], off
	global_load_dword v119, v[74:75], off
	global_load_dword v120, v[72:73], off
	global_load_dword v121, v[70:71], off
	global_load_dword v122, v[68:69], off
	global_load_dword v123, v[66:67], off
	s_nop 0
	buffer_store_dword v104, off, s[0:3], 0 offset:48
	buffer_store_dword v105, off, s[0:3], 0 offset:52
	buffer_store_dword v106, off, s[0:3], 0 offset:56
	buffer_store_dword v107, off, s[0:3], 0 offset:60
	global_load_dword v104, v[84:85], off
	s_nop 0
	global_load_dword v105, v[90:91], off
	global_load_dword v106, v[88:89], off
	;; [unrolled: 1-line block ×3, first 2 shown]
	s_cmpk_lg_i32 s13, 0x84
	buffer_store_dword v108, off, s[0:3], 0 offset:64
	s_waitcnt vmcnt(32)
	buffer_store_dword v94, off, s[0:3], 0 offset:68
	s_waitcnt vmcnt(32)
	;; [unrolled: 2-line block ×5, first 2 shown]
	buffer_store_dword v101, off, s[0:3], 0 offset:80
	buffer_store_dword v98, off, s[0:3], 0 offset:92
	buffer_store_dword v99, off, s[0:3], 0 offset:88
	s_waitcnt vmcnt(31)
	buffer_store_dword v102, off, s[0:3], 0 offset:100
	buffer_store_dword v97, off, s[0:3], 0 offset:96
	s_waitcnt vmcnt(27)
	buffer_store_dword v114, off, s[0:3], 0 offset:108
	s_waitcnt vmcnt(27)
	buffer_store_dword v115, off, s[0:3], 0 offset:104
	buffer_store_dword v112, off, s[0:3], 0 offset:116
	buffer_store_dword v113, off, s[0:3], 0 offset:112
	buffer_store_dword v109, off, s[0:3], 0 offset:124
	buffer_store_dword v110, off, s[0:3], 0 offset:120
	s_waitcnt vmcnt(31)
	buffer_store_dword v116, off, s[0:3], 0 offset:132
	buffer_store_dword v103, off, s[0:3], 0 offset:128
	s_waitcnt vmcnt(27)
	buffer_store_dword v122, off, s[0:3], 0 offset:140
	s_waitcnt vmcnt(27)
	buffer_store_dword v123, off, s[0:3], 0 offset:136
	buffer_store_dword v120, off, s[0:3], 0 offset:148
	;; [unrolled: 11-line block ×3, first 2 shown]
	buffer_store_dword v105, off, s[0:3], 0 offset:176
	s_cselect_b64 s[8:9], -1, 0
	s_cmpk_eq_i32 s13, 0x84
	v_mov_b32_e32 v116, 0
	v_mov_b32_e32 v94, -1.0
	s_cbranch_scc1 .LBB109_3
; %bb.2:
	v_lshl_add_u32 v94, v0, 2, v116
	buffer_load_dword v95, v94, s[0:3], 0 offen
	s_waitcnt vmcnt(0)
	v_div_scale_f32 v96, s[4:5], v95, v95, 1.0
	v_rcp_f32_e32 v97, v96
	v_div_scale_f32 v98, vcc, 1.0, v95, 1.0
	v_fma_f32 v99, -v96, v97, 1.0
	v_fmac_f32_e32 v97, v99, v97
	v_mul_f32_e32 v99, v98, v97
	v_fma_f32 v100, -v96, v99, v98
	v_fmac_f32_e32 v99, v100, v97
	v_fma_f32 v96, -v96, v99, v98
	v_div_fmas_f32 v96, v96, v97, v99
	v_div_fixup_f32 v95, v96, v95, 1.0
	buffer_store_dword v95, v94, s[0:3], 0 offen
	v_xor_b32_e32 v94, 0x80000000, v95
.LBB109_3:
	ds_write_b32 v1, v94
	s_cmpk_eq_i32 s12, 0x79
	v_add_u32_e32 v94, 0xc0, v1
	v_add_u32_e32 v95, 0, v1
	s_mov_b64 s[4:5], -1
	s_cbranch_scc1 .LBB109_447
; %bb.4:
	buffer_load_dword v96, off, s[0:3], 0 offset:176
	v_cmp_eq_u32_e64 s[4:5], 45, v0
	s_waitcnt vmcnt(0)
	ds_write_b32 v94, v96
	s_waitcnt lgkmcnt(0)
	; wave barrier
	s_waitcnt lgkmcnt(0)
	s_and_saveexec_b64 s[6:7], s[4:5]
	s_cbranch_execz .LBB109_10
; %bb.5:
	s_and_b64 vcc, exec, s[8:9]
	s_cbranch_vccz .LBB109_7
; %bb.6:
	buffer_load_dword v96, v95, s[0:3], 0 offen
	ds_read_b32 v97, v94
	s_waitcnt vmcnt(0) lgkmcnt(0)
	v_mul_f32_e32 v96, v96, v97
	s_cbranch_execz .LBB109_8
	s_branch .LBB109_9
.LBB109_7:
                                        ; implicit-def: $vgpr96
.LBB109_8:
	ds_read_b32 v96, v94
.LBB109_9:
	v_mov_b32_e32 v97, 0
	ds_read_b32 v97, v97 offset:176
	s_waitcnt lgkmcnt(0)
	v_mul_f32_e32 v96, v96, v97
	buffer_store_dword v96, off, s[0:3], 0 offset:176
.LBB109_10:
	s_or_b64 exec, exec, s[6:7]
	buffer_load_dword v117, off, s[0:3], 0 offset:172
	v_or_b32_e32 v96, 8, v116
	v_add_u32_e32 v97, 16, v116
	v_add_u32_e32 v98, 24, v116
	;; [unrolled: 1-line block ×20, first 2 shown]
	v_cmp_lt_u32_e64 s[6:7], 43, v0
	s_waitcnt vmcnt(0)
	ds_write_b32 v94, v117
	s_waitcnt lgkmcnt(0)
	; wave barrier
	s_waitcnt lgkmcnt(0)
	s_and_saveexec_b64 s[10:11], s[6:7]
	s_cbranch_execz .LBB109_16
; %bb.11:
	s_andn2_b64 vcc, exec, s[8:9]
	s_cbranch_vccnz .LBB109_13
; %bb.12:
	buffer_load_dword v117, v95, s[0:3], 0 offen
	ds_read_b32 v118, v94
	s_waitcnt vmcnt(0) lgkmcnt(0)
	v_mul_f32_e32 v117, v117, v118
	s_cbranch_execz .LBB109_14
	s_branch .LBB109_15
.LBB109_13:
                                        ; implicit-def: $vgpr117
.LBB109_14:
	ds_read_b32 v117, v94
.LBB109_15:
	buffer_load_dword v120, off, s[0:3], 0 offset:176
	v_mov_b32_e32 v118, 0
	ds_read2_b32 v[118:119], v118 offset0:43 offset1:92
	s_waitcnt vmcnt(0) lgkmcnt(0)
	v_fma_f32 v119, v120, v119, v117
	v_cndmask_b32_e64 v117, v117, v119, s[4:5]
	v_mul_f32_e32 v117, v117, v118
	buffer_store_dword v117, off, s[0:3], 0 offset:172
.LBB109_16:
	s_or_b64 exec, exec, s[10:11]
	buffer_load_dword v117, off, s[0:3], 0 offset:168
	v_cmp_lt_u32_e64 s[4:5], 42, v0
	s_waitcnt vmcnt(0)
	ds_write_b32 v94, v117
	s_waitcnt lgkmcnt(0)
	; wave barrier
	s_waitcnt lgkmcnt(0)
	s_and_saveexec_b64 s[10:11], s[4:5]
	s_cbranch_execz .LBB109_26
; %bb.17:
	s_andn2_b64 vcc, exec, s[8:9]
	s_cbranch_vccnz .LBB109_19
; %bb.18:
	buffer_load_dword v117, v95, s[0:3], 0 offen
	ds_read_b32 v118, v94
	s_waitcnt vmcnt(0) lgkmcnt(0)
	v_mul_f32_e32 v117, v117, v118
	s_cbranch_execz .LBB109_20
	s_branch .LBB109_21
.LBB109_19:
                                        ; implicit-def: $vgpr117
.LBB109_20:
	ds_read_b32 v117, v94
.LBB109_21:
	s_and_saveexec_b64 s[12:13], s[6:7]
	s_cbranch_execz .LBB109_25
; %bb.22:
	v_mov_b32_e32 v118, 0
	v_add_u32_e32 v118, 0xac, v118
	v_subrev_u32_e32 v119, 43, v0
	s_movk_i32 s14, 0x16c
	s_mov_b64 s[6:7], 0
.LBB109_23:                             ; =>This Inner Loop Header: Depth=1
	buffer_load_dword v120, v118, s[0:3], 0 offen
	v_mov_b32_e32 v121, s14
	ds_read_b32 v121, v121
	v_add_u32_e32 v119, -1, v119
	s_add_i32 s14, s14, 4
	v_cmp_eq_u32_e32 vcc, 0, v119
	v_add_u32_e32 v118, 4, v118
	s_or_b64 s[6:7], vcc, s[6:7]
	s_waitcnt vmcnt(0) lgkmcnt(0)
	v_fmac_f32_e32 v117, v120, v121
	s_andn2_b64 exec, exec, s[6:7]
	s_cbranch_execnz .LBB109_23
; %bb.24:
	s_or_b64 exec, exec, s[6:7]
.LBB109_25:
	s_or_b64 exec, exec, s[12:13]
	v_mov_b32_e32 v118, 0
	ds_read_b32 v118, v118 offset:168
	s_waitcnt lgkmcnt(0)
	v_mul_f32_e32 v117, v117, v118
	buffer_store_dword v117, off, s[0:3], 0 offset:168
.LBB109_26:
	s_or_b64 exec, exec, s[10:11]
	buffer_load_dword v117, off, s[0:3], 0 offset:164
	v_cmp_lt_u32_e64 s[6:7], 41, v0
	s_waitcnt vmcnt(0)
	ds_write_b32 v94, v117
	s_waitcnt lgkmcnt(0)
	; wave barrier
	s_waitcnt lgkmcnt(0)
	s_and_saveexec_b64 s[10:11], s[6:7]
	s_cbranch_execz .LBB109_36
; %bb.27:
	s_andn2_b64 vcc, exec, s[8:9]
	s_cbranch_vccnz .LBB109_29
; %bb.28:
	buffer_load_dword v117, v95, s[0:3], 0 offen
	ds_read_b32 v118, v94
	s_waitcnt vmcnt(0) lgkmcnt(0)
	v_mul_f32_e32 v117, v117, v118
	s_cbranch_execz .LBB109_30
	s_branch .LBB109_31
.LBB109_29:
                                        ; implicit-def: $vgpr117
.LBB109_30:
	ds_read_b32 v117, v94
.LBB109_31:
	s_and_saveexec_b64 s[12:13], s[4:5]
	s_cbranch_execz .LBB109_35
; %bb.32:
	v_subrev_u32_e32 v118, 42, v0
	s_movk_i32 s14, 0x168
	s_mov_b64 s[4:5], 0
.LBB109_33:                             ; =>This Inner Loop Header: Depth=1
	buffer_load_dword v119, v116, s[0:3], 0 offen
	v_mov_b32_e32 v120, s14
	ds_read_b32 v120, v120
	v_add_u32_e32 v118, -1, v118
	s_add_i32 s14, s14, 4
	v_cmp_eq_u32_e32 vcc, 0, v118
	v_add_u32_e32 v116, 4, v116
	s_or_b64 s[4:5], vcc, s[4:5]
	s_waitcnt vmcnt(0) lgkmcnt(0)
	v_fmac_f32_e32 v117, v119, v120
	s_andn2_b64 exec, exec, s[4:5]
	s_cbranch_execnz .LBB109_33
; %bb.34:
	s_or_b64 exec, exec, s[4:5]
.LBB109_35:
	s_or_b64 exec, exec, s[12:13]
	v_mov_b32_e32 v116, 0
	ds_read_b32 v116, v116 offset:164
	s_waitcnt lgkmcnt(0)
	v_mul_f32_e32 v116, v117, v116
	buffer_store_dword v116, off, s[0:3], 0 offset:164
.LBB109_36:
	s_or_b64 exec, exec, s[10:11]
	buffer_load_dword v116, off, s[0:3], 0 offset:160
	v_cmp_lt_u32_e64 s[4:5], 40, v0
	s_waitcnt vmcnt(0)
	ds_write_b32 v94, v116
	s_waitcnt lgkmcnt(0)
	; wave barrier
	s_waitcnt lgkmcnt(0)
	s_and_saveexec_b64 s[10:11], s[4:5]
	s_cbranch_execz .LBB109_46
; %bb.37:
	s_andn2_b64 vcc, exec, s[8:9]
	s_cbranch_vccnz .LBB109_39
; %bb.38:
	buffer_load_dword v116, v95, s[0:3], 0 offen
	ds_read_b32 v117, v94
	s_waitcnt vmcnt(0) lgkmcnt(0)
	v_mul_f32_e32 v116, v116, v117
	s_cbranch_execz .LBB109_40
	s_branch .LBB109_41
.LBB109_39:
                                        ; implicit-def: $vgpr116
.LBB109_40:
	ds_read_b32 v116, v94
.LBB109_41:
	s_and_saveexec_b64 s[12:13], s[6:7]
	s_cbranch_execz .LBB109_45
; %bb.42:
	v_mov_b32_e32 v117, 0
	v_add_u32_e32 v117, 0xa4, v117
	v_subrev_u32_e32 v118, 41, v0
	s_movk_i32 s14, 0x164
	s_mov_b64 s[6:7], 0
.LBB109_43:                             ; =>This Inner Loop Header: Depth=1
	buffer_load_dword v119, v117, s[0:3], 0 offen
	v_mov_b32_e32 v120, s14
	ds_read_b32 v120, v120
	v_add_u32_e32 v118, -1, v118
	s_add_i32 s14, s14, 4
	v_cmp_eq_u32_e32 vcc, 0, v118
	v_add_u32_e32 v117, 4, v117
	s_or_b64 s[6:7], vcc, s[6:7]
	s_waitcnt vmcnt(0) lgkmcnt(0)
	v_fmac_f32_e32 v116, v119, v120
	s_andn2_b64 exec, exec, s[6:7]
	s_cbranch_execnz .LBB109_43
; %bb.44:
	s_or_b64 exec, exec, s[6:7]
.LBB109_45:
	s_or_b64 exec, exec, s[12:13]
	v_mov_b32_e32 v117, 0
	ds_read_b32 v117, v117 offset:160
	s_waitcnt lgkmcnt(0)
	v_mul_f32_e32 v116, v116, v117
	buffer_store_dword v116, off, s[0:3], 0 offset:160
.LBB109_46:
	s_or_b64 exec, exec, s[10:11]
	buffer_load_dword v116, off, s[0:3], 0 offset:156
	v_cmp_lt_u32_e64 s[6:7], 39, v0
	s_waitcnt vmcnt(0)
	ds_write_b32 v94, v116
	s_waitcnt lgkmcnt(0)
	; wave barrier
	s_waitcnt lgkmcnt(0)
	s_and_saveexec_b64 s[10:11], s[6:7]
	s_cbranch_execz .LBB109_56
; %bb.47:
	s_andn2_b64 vcc, exec, s[8:9]
	s_cbranch_vccnz .LBB109_49
; %bb.48:
	buffer_load_dword v116, v95, s[0:3], 0 offen
	ds_read_b32 v117, v94
	s_waitcnt vmcnt(0) lgkmcnt(0)
	v_mul_f32_e32 v116, v116, v117
	s_cbranch_execz .LBB109_50
	s_branch .LBB109_51
.LBB109_49:
                                        ; implicit-def: $vgpr116
.LBB109_50:
	ds_read_b32 v116, v94
.LBB109_51:
	s_and_saveexec_b64 s[12:13], s[4:5]
	s_cbranch_execz .LBB109_55
; %bb.52:
	v_subrev_u32_e32 v117, 40, v0
	s_movk_i32 s14, 0x160
	s_mov_b64 s[4:5], 0
.LBB109_53:                             ; =>This Inner Loop Header: Depth=1
	buffer_load_dword v118, v115, s[0:3], 0 offen
	v_mov_b32_e32 v119, s14
	ds_read_b32 v119, v119
	v_add_u32_e32 v117, -1, v117
	s_add_i32 s14, s14, 4
	v_cmp_eq_u32_e32 vcc, 0, v117
	v_add_u32_e32 v115, 4, v115
	s_or_b64 s[4:5], vcc, s[4:5]
	s_waitcnt vmcnt(0) lgkmcnt(0)
	v_fmac_f32_e32 v116, v118, v119
	s_andn2_b64 exec, exec, s[4:5]
	s_cbranch_execnz .LBB109_53
; %bb.54:
	s_or_b64 exec, exec, s[4:5]
.LBB109_55:
	s_or_b64 exec, exec, s[12:13]
	v_mov_b32_e32 v115, 0
	ds_read_b32 v115, v115 offset:156
	s_waitcnt lgkmcnt(0)
	v_mul_f32_e32 v115, v116, v115
	buffer_store_dword v115, off, s[0:3], 0 offset:156
.LBB109_56:
	s_or_b64 exec, exec, s[10:11]
	buffer_load_dword v115, off, s[0:3], 0 offset:152
	v_cmp_lt_u32_e64 s[4:5], 38, v0
	s_waitcnt vmcnt(0)
	ds_write_b32 v94, v115
	s_waitcnt lgkmcnt(0)
	; wave barrier
	s_waitcnt lgkmcnt(0)
	s_and_saveexec_b64 s[10:11], s[4:5]
	s_cbranch_execz .LBB109_66
; %bb.57:
	s_andn2_b64 vcc, exec, s[8:9]
	s_cbranch_vccnz .LBB109_59
; %bb.58:
	buffer_load_dword v115, v95, s[0:3], 0 offen
	ds_read_b32 v116, v94
	s_waitcnt vmcnt(0) lgkmcnt(0)
	v_mul_f32_e32 v115, v115, v116
	s_cbranch_execz .LBB109_60
	s_branch .LBB109_61
.LBB109_59:
                                        ; implicit-def: $vgpr115
.LBB109_60:
	ds_read_b32 v115, v94
.LBB109_61:
	s_and_saveexec_b64 s[12:13], s[6:7]
	s_cbranch_execz .LBB109_65
; %bb.62:
	v_mov_b32_e32 v116, 0
	v_add_u32_e32 v116, 0x9c, v116
	v_subrev_u32_e32 v117, 39, v0
	s_movk_i32 s14, 0x15c
	s_mov_b64 s[6:7], 0
.LBB109_63:                             ; =>This Inner Loop Header: Depth=1
	buffer_load_dword v118, v116, s[0:3], 0 offen
	v_mov_b32_e32 v119, s14
	ds_read_b32 v119, v119
	v_add_u32_e32 v117, -1, v117
	s_add_i32 s14, s14, 4
	v_cmp_eq_u32_e32 vcc, 0, v117
	v_add_u32_e32 v116, 4, v116
	s_or_b64 s[6:7], vcc, s[6:7]
	s_waitcnt vmcnt(0) lgkmcnt(0)
	v_fmac_f32_e32 v115, v118, v119
	s_andn2_b64 exec, exec, s[6:7]
	s_cbranch_execnz .LBB109_63
; %bb.64:
	s_or_b64 exec, exec, s[6:7]
.LBB109_65:
	s_or_b64 exec, exec, s[12:13]
	v_mov_b32_e32 v116, 0
	ds_read_b32 v116, v116 offset:152
	s_waitcnt lgkmcnt(0)
	v_mul_f32_e32 v115, v115, v116
	buffer_store_dword v115, off, s[0:3], 0 offset:152
.LBB109_66:
	s_or_b64 exec, exec, s[10:11]
	buffer_load_dword v115, off, s[0:3], 0 offset:148
	v_cmp_lt_u32_e64 s[6:7], 37, v0
	s_waitcnt vmcnt(0)
	ds_write_b32 v94, v115
	s_waitcnt lgkmcnt(0)
	; wave barrier
	s_waitcnt lgkmcnt(0)
	s_and_saveexec_b64 s[10:11], s[6:7]
	s_cbranch_execz .LBB109_76
; %bb.67:
	s_andn2_b64 vcc, exec, s[8:9]
	s_cbranch_vccnz .LBB109_69
; %bb.68:
	buffer_load_dword v115, v95, s[0:3], 0 offen
	ds_read_b32 v116, v94
	s_waitcnt vmcnt(0) lgkmcnt(0)
	v_mul_f32_e32 v115, v115, v116
	s_cbranch_execz .LBB109_70
	s_branch .LBB109_71
.LBB109_69:
                                        ; implicit-def: $vgpr115
.LBB109_70:
	ds_read_b32 v115, v94
.LBB109_71:
	s_and_saveexec_b64 s[12:13], s[4:5]
	s_cbranch_execz .LBB109_75
; %bb.72:
	v_subrev_u32_e32 v116, 38, v0
	s_movk_i32 s14, 0x158
	s_mov_b64 s[4:5], 0
.LBB109_73:                             ; =>This Inner Loop Header: Depth=1
	buffer_load_dword v117, v114, s[0:3], 0 offen
	v_mov_b32_e32 v118, s14
	ds_read_b32 v118, v118
	v_add_u32_e32 v116, -1, v116
	s_add_i32 s14, s14, 4
	v_cmp_eq_u32_e32 vcc, 0, v116
	v_add_u32_e32 v114, 4, v114
	s_or_b64 s[4:5], vcc, s[4:5]
	s_waitcnt vmcnt(0) lgkmcnt(0)
	v_fmac_f32_e32 v115, v117, v118
	s_andn2_b64 exec, exec, s[4:5]
	s_cbranch_execnz .LBB109_73
; %bb.74:
	s_or_b64 exec, exec, s[4:5]
.LBB109_75:
	s_or_b64 exec, exec, s[12:13]
	v_mov_b32_e32 v114, 0
	ds_read_b32 v114, v114 offset:148
	s_waitcnt lgkmcnt(0)
	v_mul_f32_e32 v114, v115, v114
	buffer_store_dword v114, off, s[0:3], 0 offset:148
.LBB109_76:
	s_or_b64 exec, exec, s[10:11]
	buffer_load_dword v114, off, s[0:3], 0 offset:144
	v_cmp_lt_u32_e64 s[4:5], 36, v0
	s_waitcnt vmcnt(0)
	ds_write_b32 v94, v114
	s_waitcnt lgkmcnt(0)
	; wave barrier
	s_waitcnt lgkmcnt(0)
	s_and_saveexec_b64 s[10:11], s[4:5]
	s_cbranch_execz .LBB109_86
; %bb.77:
	s_andn2_b64 vcc, exec, s[8:9]
	s_cbranch_vccnz .LBB109_79
; %bb.78:
	buffer_load_dword v114, v95, s[0:3], 0 offen
	ds_read_b32 v115, v94
	s_waitcnt vmcnt(0) lgkmcnt(0)
	v_mul_f32_e32 v114, v114, v115
	s_cbranch_execz .LBB109_80
	s_branch .LBB109_81
.LBB109_79:
                                        ; implicit-def: $vgpr114
.LBB109_80:
	ds_read_b32 v114, v94
.LBB109_81:
	s_and_saveexec_b64 s[12:13], s[6:7]
	s_cbranch_execz .LBB109_85
; %bb.82:
	v_mov_b32_e32 v115, 0
	v_add_u32_e32 v115, 0x94, v115
	v_subrev_u32_e32 v116, 37, v0
	s_movk_i32 s14, 0x154
	s_mov_b64 s[6:7], 0
.LBB109_83:                             ; =>This Inner Loop Header: Depth=1
	buffer_load_dword v117, v115, s[0:3], 0 offen
	v_mov_b32_e32 v118, s14
	ds_read_b32 v118, v118
	v_add_u32_e32 v116, -1, v116
	s_add_i32 s14, s14, 4
	v_cmp_eq_u32_e32 vcc, 0, v116
	v_add_u32_e32 v115, 4, v115
	s_or_b64 s[6:7], vcc, s[6:7]
	s_waitcnt vmcnt(0) lgkmcnt(0)
	v_fmac_f32_e32 v114, v117, v118
	s_andn2_b64 exec, exec, s[6:7]
	s_cbranch_execnz .LBB109_83
; %bb.84:
	s_or_b64 exec, exec, s[6:7]
.LBB109_85:
	s_or_b64 exec, exec, s[12:13]
	v_mov_b32_e32 v115, 0
	ds_read_b32 v115, v115 offset:144
	s_waitcnt lgkmcnt(0)
	v_mul_f32_e32 v114, v114, v115
	buffer_store_dword v114, off, s[0:3], 0 offset:144
.LBB109_86:
	s_or_b64 exec, exec, s[10:11]
	buffer_load_dword v114, off, s[0:3], 0 offset:140
	v_cmp_lt_u32_e64 s[6:7], 35, v0
	s_waitcnt vmcnt(0)
	ds_write_b32 v94, v114
	s_waitcnt lgkmcnt(0)
	; wave barrier
	s_waitcnt lgkmcnt(0)
	s_and_saveexec_b64 s[10:11], s[6:7]
	s_cbranch_execz .LBB109_96
; %bb.87:
	s_andn2_b64 vcc, exec, s[8:9]
	s_cbranch_vccnz .LBB109_89
; %bb.88:
	buffer_load_dword v114, v95, s[0:3], 0 offen
	ds_read_b32 v115, v94
	s_waitcnt vmcnt(0) lgkmcnt(0)
	v_mul_f32_e32 v114, v114, v115
	s_cbranch_execz .LBB109_90
	s_branch .LBB109_91
.LBB109_89:
                                        ; implicit-def: $vgpr114
.LBB109_90:
	ds_read_b32 v114, v94
.LBB109_91:
	s_and_saveexec_b64 s[12:13], s[4:5]
	s_cbranch_execz .LBB109_95
; %bb.92:
	v_subrev_u32_e32 v115, 36, v0
	s_movk_i32 s14, 0x150
	s_mov_b64 s[4:5], 0
.LBB109_93:                             ; =>This Inner Loop Header: Depth=1
	buffer_load_dword v116, v113, s[0:3], 0 offen
	v_mov_b32_e32 v117, s14
	ds_read_b32 v117, v117
	v_add_u32_e32 v115, -1, v115
	s_add_i32 s14, s14, 4
	v_cmp_eq_u32_e32 vcc, 0, v115
	v_add_u32_e32 v113, 4, v113
	s_or_b64 s[4:5], vcc, s[4:5]
	s_waitcnt vmcnt(0) lgkmcnt(0)
	v_fmac_f32_e32 v114, v116, v117
	s_andn2_b64 exec, exec, s[4:5]
	s_cbranch_execnz .LBB109_93
; %bb.94:
	s_or_b64 exec, exec, s[4:5]
.LBB109_95:
	s_or_b64 exec, exec, s[12:13]
	v_mov_b32_e32 v113, 0
	ds_read_b32 v113, v113 offset:140
	s_waitcnt lgkmcnt(0)
	v_mul_f32_e32 v113, v114, v113
	buffer_store_dword v113, off, s[0:3], 0 offset:140
.LBB109_96:
	s_or_b64 exec, exec, s[10:11]
	buffer_load_dword v113, off, s[0:3], 0 offset:136
	v_cmp_lt_u32_e64 s[4:5], 34, v0
	s_waitcnt vmcnt(0)
	ds_write_b32 v94, v113
	s_waitcnt lgkmcnt(0)
	; wave barrier
	s_waitcnt lgkmcnt(0)
	s_and_saveexec_b64 s[10:11], s[4:5]
	s_cbranch_execz .LBB109_106
; %bb.97:
	s_andn2_b64 vcc, exec, s[8:9]
	s_cbranch_vccnz .LBB109_99
; %bb.98:
	buffer_load_dword v113, v95, s[0:3], 0 offen
	ds_read_b32 v114, v94
	s_waitcnt vmcnt(0) lgkmcnt(0)
	v_mul_f32_e32 v113, v113, v114
	s_cbranch_execz .LBB109_100
	s_branch .LBB109_101
.LBB109_99:
                                        ; implicit-def: $vgpr113
.LBB109_100:
	ds_read_b32 v113, v94
.LBB109_101:
	s_and_saveexec_b64 s[12:13], s[6:7]
	s_cbranch_execz .LBB109_105
; %bb.102:
	v_mov_b32_e32 v114, 0
	v_add_u32_e32 v114, 0x8c, v114
	v_subrev_u32_e32 v115, 35, v0
	s_movk_i32 s14, 0x14c
	s_mov_b64 s[6:7], 0
.LBB109_103:                            ; =>This Inner Loop Header: Depth=1
	buffer_load_dword v116, v114, s[0:3], 0 offen
	v_mov_b32_e32 v117, s14
	ds_read_b32 v117, v117
	v_add_u32_e32 v115, -1, v115
	s_add_i32 s14, s14, 4
	v_cmp_eq_u32_e32 vcc, 0, v115
	v_add_u32_e32 v114, 4, v114
	s_or_b64 s[6:7], vcc, s[6:7]
	s_waitcnt vmcnt(0) lgkmcnt(0)
	v_fmac_f32_e32 v113, v116, v117
	s_andn2_b64 exec, exec, s[6:7]
	s_cbranch_execnz .LBB109_103
; %bb.104:
	s_or_b64 exec, exec, s[6:7]
.LBB109_105:
	s_or_b64 exec, exec, s[12:13]
	v_mov_b32_e32 v114, 0
	ds_read_b32 v114, v114 offset:136
	s_waitcnt lgkmcnt(0)
	v_mul_f32_e32 v113, v113, v114
	buffer_store_dword v113, off, s[0:3], 0 offset:136
.LBB109_106:
	s_or_b64 exec, exec, s[10:11]
	buffer_load_dword v113, off, s[0:3], 0 offset:132
	v_cmp_lt_u32_e64 s[6:7], 33, v0
	s_waitcnt vmcnt(0)
	ds_write_b32 v94, v113
	s_waitcnt lgkmcnt(0)
	; wave barrier
	s_waitcnt lgkmcnt(0)
	s_and_saveexec_b64 s[10:11], s[6:7]
	s_cbranch_execz .LBB109_116
; %bb.107:
	s_andn2_b64 vcc, exec, s[8:9]
	s_cbranch_vccnz .LBB109_109
; %bb.108:
	buffer_load_dword v113, v95, s[0:3], 0 offen
	ds_read_b32 v114, v94
	s_waitcnt vmcnt(0) lgkmcnt(0)
	v_mul_f32_e32 v113, v113, v114
	s_cbranch_execz .LBB109_110
	s_branch .LBB109_111
.LBB109_109:
                                        ; implicit-def: $vgpr113
.LBB109_110:
	ds_read_b32 v113, v94
.LBB109_111:
	s_and_saveexec_b64 s[12:13], s[4:5]
	s_cbranch_execz .LBB109_115
; %bb.112:
	v_subrev_u32_e32 v114, 34, v0
	s_movk_i32 s14, 0x148
	s_mov_b64 s[4:5], 0
.LBB109_113:                            ; =>This Inner Loop Header: Depth=1
	buffer_load_dword v115, v112, s[0:3], 0 offen
	v_mov_b32_e32 v116, s14
	ds_read_b32 v116, v116
	v_add_u32_e32 v114, -1, v114
	s_add_i32 s14, s14, 4
	v_cmp_eq_u32_e32 vcc, 0, v114
	v_add_u32_e32 v112, 4, v112
	s_or_b64 s[4:5], vcc, s[4:5]
	s_waitcnt vmcnt(0) lgkmcnt(0)
	v_fmac_f32_e32 v113, v115, v116
	s_andn2_b64 exec, exec, s[4:5]
	s_cbranch_execnz .LBB109_113
; %bb.114:
	s_or_b64 exec, exec, s[4:5]
.LBB109_115:
	s_or_b64 exec, exec, s[12:13]
	v_mov_b32_e32 v112, 0
	ds_read_b32 v112, v112 offset:132
	s_waitcnt lgkmcnt(0)
	v_mul_f32_e32 v112, v113, v112
	buffer_store_dword v112, off, s[0:3], 0 offset:132
.LBB109_116:
	s_or_b64 exec, exec, s[10:11]
	buffer_load_dword v112, off, s[0:3], 0 offset:128
	v_cmp_lt_u32_e64 s[4:5], 32, v0
	s_waitcnt vmcnt(0)
	ds_write_b32 v94, v112
	s_waitcnt lgkmcnt(0)
	; wave barrier
	s_waitcnt lgkmcnt(0)
	s_and_saveexec_b64 s[10:11], s[4:5]
	s_cbranch_execz .LBB109_126
; %bb.117:
	s_andn2_b64 vcc, exec, s[8:9]
	s_cbranch_vccnz .LBB109_119
; %bb.118:
	buffer_load_dword v112, v95, s[0:3], 0 offen
	ds_read_b32 v113, v94
	s_waitcnt vmcnt(0) lgkmcnt(0)
	v_mul_f32_e32 v112, v112, v113
	s_cbranch_execz .LBB109_120
	s_branch .LBB109_121
.LBB109_119:
                                        ; implicit-def: $vgpr112
.LBB109_120:
	ds_read_b32 v112, v94
.LBB109_121:
	s_and_saveexec_b64 s[12:13], s[6:7]
	s_cbranch_execz .LBB109_125
; %bb.122:
	v_mov_b32_e32 v113, 0
	v_add_u32_e32 v113, 0x84, v113
	v_subrev_u32_e32 v114, 33, v0
	s_movk_i32 s14, 0x144
	s_mov_b64 s[6:7], 0
.LBB109_123:                            ; =>This Inner Loop Header: Depth=1
	buffer_load_dword v115, v113, s[0:3], 0 offen
	v_mov_b32_e32 v116, s14
	ds_read_b32 v116, v116
	v_add_u32_e32 v114, -1, v114
	s_add_i32 s14, s14, 4
	v_cmp_eq_u32_e32 vcc, 0, v114
	v_add_u32_e32 v113, 4, v113
	s_or_b64 s[6:7], vcc, s[6:7]
	s_waitcnt vmcnt(0) lgkmcnt(0)
	v_fmac_f32_e32 v112, v115, v116
	s_andn2_b64 exec, exec, s[6:7]
	s_cbranch_execnz .LBB109_123
; %bb.124:
	s_or_b64 exec, exec, s[6:7]
.LBB109_125:
	s_or_b64 exec, exec, s[12:13]
	v_mov_b32_e32 v113, 0
	ds_read_b32 v113, v113 offset:128
	s_waitcnt lgkmcnt(0)
	v_mul_f32_e32 v112, v112, v113
	buffer_store_dword v112, off, s[0:3], 0 offset:128
.LBB109_126:
	s_or_b64 exec, exec, s[10:11]
	buffer_load_dword v112, off, s[0:3], 0 offset:124
	v_cmp_lt_u32_e64 s[6:7], 31, v0
	s_waitcnt vmcnt(0)
	ds_write_b32 v94, v112
	s_waitcnt lgkmcnt(0)
	; wave barrier
	s_waitcnt lgkmcnt(0)
	s_and_saveexec_b64 s[10:11], s[6:7]
	s_cbranch_execz .LBB109_136
; %bb.127:
	s_andn2_b64 vcc, exec, s[8:9]
	s_cbranch_vccnz .LBB109_129
; %bb.128:
	buffer_load_dword v112, v95, s[0:3], 0 offen
	ds_read_b32 v113, v94
	s_waitcnt vmcnt(0) lgkmcnt(0)
	v_mul_f32_e32 v112, v112, v113
	s_cbranch_execz .LBB109_130
	s_branch .LBB109_131
.LBB109_129:
                                        ; implicit-def: $vgpr112
.LBB109_130:
	ds_read_b32 v112, v94
.LBB109_131:
	s_and_saveexec_b64 s[12:13], s[4:5]
	s_cbranch_execz .LBB109_135
; %bb.132:
	v_subrev_u32_e32 v113, 32, v0
	s_movk_i32 s14, 0x140
	s_mov_b64 s[4:5], 0
.LBB109_133:                            ; =>This Inner Loop Header: Depth=1
	buffer_load_dword v114, v111, s[0:3], 0 offen
	v_mov_b32_e32 v115, s14
	ds_read_b32 v115, v115
	v_add_u32_e32 v113, -1, v113
	s_add_i32 s14, s14, 4
	v_cmp_eq_u32_e32 vcc, 0, v113
	v_add_u32_e32 v111, 4, v111
	s_or_b64 s[4:5], vcc, s[4:5]
	s_waitcnt vmcnt(0) lgkmcnt(0)
	v_fmac_f32_e32 v112, v114, v115
	s_andn2_b64 exec, exec, s[4:5]
	s_cbranch_execnz .LBB109_133
; %bb.134:
	s_or_b64 exec, exec, s[4:5]
.LBB109_135:
	s_or_b64 exec, exec, s[12:13]
	v_mov_b32_e32 v111, 0
	ds_read_b32 v111, v111 offset:124
	s_waitcnt lgkmcnt(0)
	v_mul_f32_e32 v111, v112, v111
	buffer_store_dword v111, off, s[0:3], 0 offset:124
.LBB109_136:
	s_or_b64 exec, exec, s[10:11]
	buffer_load_dword v111, off, s[0:3], 0 offset:120
	v_cmp_lt_u32_e64 s[4:5], 30, v0
	s_waitcnt vmcnt(0)
	ds_write_b32 v94, v111
	s_waitcnt lgkmcnt(0)
	; wave barrier
	s_waitcnt lgkmcnt(0)
	s_and_saveexec_b64 s[10:11], s[4:5]
	s_cbranch_execz .LBB109_146
; %bb.137:
	s_andn2_b64 vcc, exec, s[8:9]
	s_cbranch_vccnz .LBB109_139
; %bb.138:
	buffer_load_dword v111, v95, s[0:3], 0 offen
	ds_read_b32 v112, v94
	s_waitcnt vmcnt(0) lgkmcnt(0)
	v_mul_f32_e32 v111, v111, v112
	s_cbranch_execz .LBB109_140
	s_branch .LBB109_141
.LBB109_139:
                                        ; implicit-def: $vgpr111
.LBB109_140:
	ds_read_b32 v111, v94
.LBB109_141:
	s_and_saveexec_b64 s[12:13], s[6:7]
	s_cbranch_execz .LBB109_145
; %bb.142:
	v_mov_b32_e32 v112, 0
	v_add_u32_e32 v112, 0x7c, v112
	v_subrev_u32_e32 v113, 31, v0
	s_movk_i32 s14, 0x13c
	s_mov_b64 s[6:7], 0
.LBB109_143:                            ; =>This Inner Loop Header: Depth=1
	buffer_load_dword v114, v112, s[0:3], 0 offen
	v_mov_b32_e32 v115, s14
	ds_read_b32 v115, v115
	v_add_u32_e32 v113, -1, v113
	s_add_i32 s14, s14, 4
	v_cmp_eq_u32_e32 vcc, 0, v113
	v_add_u32_e32 v112, 4, v112
	s_or_b64 s[6:7], vcc, s[6:7]
	s_waitcnt vmcnt(0) lgkmcnt(0)
	v_fmac_f32_e32 v111, v114, v115
	s_andn2_b64 exec, exec, s[6:7]
	s_cbranch_execnz .LBB109_143
; %bb.144:
	s_or_b64 exec, exec, s[6:7]
.LBB109_145:
	s_or_b64 exec, exec, s[12:13]
	v_mov_b32_e32 v112, 0
	ds_read_b32 v112, v112 offset:120
	s_waitcnt lgkmcnt(0)
	v_mul_f32_e32 v111, v111, v112
	buffer_store_dword v111, off, s[0:3], 0 offset:120
.LBB109_146:
	s_or_b64 exec, exec, s[10:11]
	buffer_load_dword v111, off, s[0:3], 0 offset:116
	v_cmp_lt_u32_e64 s[6:7], 29, v0
	s_waitcnt vmcnt(0)
	ds_write_b32 v94, v111
	s_waitcnt lgkmcnt(0)
	; wave barrier
	s_waitcnt lgkmcnt(0)
	s_and_saveexec_b64 s[10:11], s[6:7]
	s_cbranch_execz .LBB109_156
; %bb.147:
	s_andn2_b64 vcc, exec, s[8:9]
	s_cbranch_vccnz .LBB109_149
; %bb.148:
	buffer_load_dword v111, v95, s[0:3], 0 offen
	ds_read_b32 v112, v94
	s_waitcnt vmcnt(0) lgkmcnt(0)
	v_mul_f32_e32 v111, v111, v112
	s_cbranch_execz .LBB109_150
	s_branch .LBB109_151
.LBB109_149:
                                        ; implicit-def: $vgpr111
.LBB109_150:
	ds_read_b32 v111, v94
.LBB109_151:
	s_and_saveexec_b64 s[12:13], s[4:5]
	s_cbranch_execz .LBB109_155
; %bb.152:
	v_subrev_u32_e32 v112, 30, v0
	s_movk_i32 s14, 0x138
	s_mov_b64 s[4:5], 0
.LBB109_153:                            ; =>This Inner Loop Header: Depth=1
	buffer_load_dword v113, v110, s[0:3], 0 offen
	v_mov_b32_e32 v114, s14
	ds_read_b32 v114, v114
	v_add_u32_e32 v112, -1, v112
	s_add_i32 s14, s14, 4
	v_cmp_eq_u32_e32 vcc, 0, v112
	v_add_u32_e32 v110, 4, v110
	s_or_b64 s[4:5], vcc, s[4:5]
	s_waitcnt vmcnt(0) lgkmcnt(0)
	v_fmac_f32_e32 v111, v113, v114
	s_andn2_b64 exec, exec, s[4:5]
	s_cbranch_execnz .LBB109_153
; %bb.154:
	s_or_b64 exec, exec, s[4:5]
.LBB109_155:
	s_or_b64 exec, exec, s[12:13]
	v_mov_b32_e32 v110, 0
	ds_read_b32 v110, v110 offset:116
	s_waitcnt lgkmcnt(0)
	v_mul_f32_e32 v110, v111, v110
	buffer_store_dword v110, off, s[0:3], 0 offset:116
.LBB109_156:
	s_or_b64 exec, exec, s[10:11]
	buffer_load_dword v110, off, s[0:3], 0 offset:112
	v_cmp_lt_u32_e64 s[4:5], 28, v0
	s_waitcnt vmcnt(0)
	ds_write_b32 v94, v110
	s_waitcnt lgkmcnt(0)
	; wave barrier
	s_waitcnt lgkmcnt(0)
	s_and_saveexec_b64 s[10:11], s[4:5]
	s_cbranch_execz .LBB109_166
; %bb.157:
	s_andn2_b64 vcc, exec, s[8:9]
	s_cbranch_vccnz .LBB109_159
; %bb.158:
	buffer_load_dword v110, v95, s[0:3], 0 offen
	ds_read_b32 v111, v94
	s_waitcnt vmcnt(0) lgkmcnt(0)
	v_mul_f32_e32 v110, v110, v111
	s_cbranch_execz .LBB109_160
	s_branch .LBB109_161
.LBB109_159:
                                        ; implicit-def: $vgpr110
.LBB109_160:
	ds_read_b32 v110, v94
.LBB109_161:
	s_and_saveexec_b64 s[12:13], s[6:7]
	s_cbranch_execz .LBB109_165
; %bb.162:
	v_mov_b32_e32 v111, 0
	v_add_u32_e32 v111, 0x74, v111
	v_subrev_u32_e32 v112, 29, v0
	s_movk_i32 s14, 0x134
	s_mov_b64 s[6:7], 0
.LBB109_163:                            ; =>This Inner Loop Header: Depth=1
	buffer_load_dword v113, v111, s[0:3], 0 offen
	v_mov_b32_e32 v114, s14
	ds_read_b32 v114, v114
	v_add_u32_e32 v112, -1, v112
	s_add_i32 s14, s14, 4
	v_cmp_eq_u32_e32 vcc, 0, v112
	v_add_u32_e32 v111, 4, v111
	s_or_b64 s[6:7], vcc, s[6:7]
	s_waitcnt vmcnt(0) lgkmcnt(0)
	v_fmac_f32_e32 v110, v113, v114
	s_andn2_b64 exec, exec, s[6:7]
	s_cbranch_execnz .LBB109_163
; %bb.164:
	s_or_b64 exec, exec, s[6:7]
.LBB109_165:
	s_or_b64 exec, exec, s[12:13]
	v_mov_b32_e32 v111, 0
	ds_read_b32 v111, v111 offset:112
	s_waitcnt lgkmcnt(0)
	v_mul_f32_e32 v110, v110, v111
	buffer_store_dword v110, off, s[0:3], 0 offset:112
.LBB109_166:
	s_or_b64 exec, exec, s[10:11]
	buffer_load_dword v110, off, s[0:3], 0 offset:108
	v_cmp_lt_u32_e64 s[6:7], 27, v0
	s_waitcnt vmcnt(0)
	ds_write_b32 v94, v110
	s_waitcnt lgkmcnt(0)
	; wave barrier
	s_waitcnt lgkmcnt(0)
	s_and_saveexec_b64 s[10:11], s[6:7]
	s_cbranch_execz .LBB109_176
; %bb.167:
	s_andn2_b64 vcc, exec, s[8:9]
	s_cbranch_vccnz .LBB109_169
; %bb.168:
	buffer_load_dword v110, v95, s[0:3], 0 offen
	ds_read_b32 v111, v94
	s_waitcnt vmcnt(0) lgkmcnt(0)
	v_mul_f32_e32 v110, v110, v111
	s_cbranch_execz .LBB109_170
	s_branch .LBB109_171
.LBB109_169:
                                        ; implicit-def: $vgpr110
.LBB109_170:
	ds_read_b32 v110, v94
.LBB109_171:
	s_and_saveexec_b64 s[12:13], s[4:5]
	s_cbranch_execz .LBB109_175
; %bb.172:
	v_subrev_u32_e32 v111, 28, v0
	s_movk_i32 s14, 0x130
	s_mov_b64 s[4:5], 0
.LBB109_173:                            ; =>This Inner Loop Header: Depth=1
	buffer_load_dword v112, v109, s[0:3], 0 offen
	v_mov_b32_e32 v113, s14
	ds_read_b32 v113, v113
	v_add_u32_e32 v111, -1, v111
	s_add_i32 s14, s14, 4
	v_cmp_eq_u32_e32 vcc, 0, v111
	v_add_u32_e32 v109, 4, v109
	s_or_b64 s[4:5], vcc, s[4:5]
	s_waitcnt vmcnt(0) lgkmcnt(0)
	v_fmac_f32_e32 v110, v112, v113
	s_andn2_b64 exec, exec, s[4:5]
	s_cbranch_execnz .LBB109_173
; %bb.174:
	s_or_b64 exec, exec, s[4:5]
.LBB109_175:
	s_or_b64 exec, exec, s[12:13]
	v_mov_b32_e32 v109, 0
	ds_read_b32 v109, v109 offset:108
	s_waitcnt lgkmcnt(0)
	v_mul_f32_e32 v109, v110, v109
	buffer_store_dword v109, off, s[0:3], 0 offset:108
.LBB109_176:
	s_or_b64 exec, exec, s[10:11]
	buffer_load_dword v109, off, s[0:3], 0 offset:104
	v_cmp_lt_u32_e64 s[4:5], 26, v0
	s_waitcnt vmcnt(0)
	ds_write_b32 v94, v109
	s_waitcnt lgkmcnt(0)
	; wave barrier
	s_waitcnt lgkmcnt(0)
	s_and_saveexec_b64 s[10:11], s[4:5]
	s_cbranch_execz .LBB109_186
; %bb.177:
	s_andn2_b64 vcc, exec, s[8:9]
	s_cbranch_vccnz .LBB109_179
; %bb.178:
	buffer_load_dword v109, v95, s[0:3], 0 offen
	ds_read_b32 v110, v94
	s_waitcnt vmcnt(0) lgkmcnt(0)
	v_mul_f32_e32 v109, v109, v110
	s_cbranch_execz .LBB109_180
	s_branch .LBB109_181
.LBB109_179:
                                        ; implicit-def: $vgpr109
.LBB109_180:
	ds_read_b32 v109, v94
.LBB109_181:
	s_and_saveexec_b64 s[12:13], s[6:7]
	s_cbranch_execz .LBB109_185
; %bb.182:
	v_mov_b32_e32 v110, 0
	v_add_u32_e32 v110, 0x6c, v110
	v_subrev_u32_e32 v111, 27, v0
	s_movk_i32 s14, 0x12c
	s_mov_b64 s[6:7], 0
.LBB109_183:                            ; =>This Inner Loop Header: Depth=1
	buffer_load_dword v112, v110, s[0:3], 0 offen
	v_mov_b32_e32 v113, s14
	ds_read_b32 v113, v113
	v_add_u32_e32 v111, -1, v111
	s_add_i32 s14, s14, 4
	v_cmp_eq_u32_e32 vcc, 0, v111
	v_add_u32_e32 v110, 4, v110
	s_or_b64 s[6:7], vcc, s[6:7]
	s_waitcnt vmcnt(0) lgkmcnt(0)
	v_fmac_f32_e32 v109, v112, v113
	s_andn2_b64 exec, exec, s[6:7]
	s_cbranch_execnz .LBB109_183
; %bb.184:
	s_or_b64 exec, exec, s[6:7]
.LBB109_185:
	s_or_b64 exec, exec, s[12:13]
	v_mov_b32_e32 v110, 0
	ds_read_b32 v110, v110 offset:104
	s_waitcnt lgkmcnt(0)
	v_mul_f32_e32 v109, v109, v110
	buffer_store_dword v109, off, s[0:3], 0 offset:104
.LBB109_186:
	s_or_b64 exec, exec, s[10:11]
	buffer_load_dword v109, off, s[0:3], 0 offset:100
	v_cmp_lt_u32_e64 s[6:7], 25, v0
	s_waitcnt vmcnt(0)
	ds_write_b32 v94, v109
	s_waitcnt lgkmcnt(0)
	; wave barrier
	s_waitcnt lgkmcnt(0)
	s_and_saveexec_b64 s[10:11], s[6:7]
	s_cbranch_execz .LBB109_196
; %bb.187:
	s_andn2_b64 vcc, exec, s[8:9]
	s_cbranch_vccnz .LBB109_189
; %bb.188:
	buffer_load_dword v109, v95, s[0:3], 0 offen
	ds_read_b32 v110, v94
	s_waitcnt vmcnt(0) lgkmcnt(0)
	v_mul_f32_e32 v109, v109, v110
	s_cbranch_execz .LBB109_190
	s_branch .LBB109_191
.LBB109_189:
                                        ; implicit-def: $vgpr109
.LBB109_190:
	ds_read_b32 v109, v94
.LBB109_191:
	s_and_saveexec_b64 s[12:13], s[4:5]
	s_cbranch_execz .LBB109_195
; %bb.192:
	v_subrev_u32_e32 v110, 26, v0
	s_movk_i32 s14, 0x128
	s_mov_b64 s[4:5], 0
.LBB109_193:                            ; =>This Inner Loop Header: Depth=1
	buffer_load_dword v111, v108, s[0:3], 0 offen
	v_mov_b32_e32 v112, s14
	ds_read_b32 v112, v112
	v_add_u32_e32 v110, -1, v110
	s_add_i32 s14, s14, 4
	v_cmp_eq_u32_e32 vcc, 0, v110
	v_add_u32_e32 v108, 4, v108
	s_or_b64 s[4:5], vcc, s[4:5]
	s_waitcnt vmcnt(0) lgkmcnt(0)
	v_fmac_f32_e32 v109, v111, v112
	s_andn2_b64 exec, exec, s[4:5]
	s_cbranch_execnz .LBB109_193
; %bb.194:
	s_or_b64 exec, exec, s[4:5]
.LBB109_195:
	s_or_b64 exec, exec, s[12:13]
	v_mov_b32_e32 v108, 0
	ds_read_b32 v108, v108 offset:100
	s_waitcnt lgkmcnt(0)
	v_mul_f32_e32 v108, v109, v108
	buffer_store_dword v108, off, s[0:3], 0 offset:100
.LBB109_196:
	s_or_b64 exec, exec, s[10:11]
	buffer_load_dword v108, off, s[0:3], 0 offset:96
	v_cmp_lt_u32_e64 s[4:5], 24, v0
	s_waitcnt vmcnt(0)
	ds_write_b32 v94, v108
	s_waitcnt lgkmcnt(0)
	; wave barrier
	s_waitcnt lgkmcnt(0)
	s_and_saveexec_b64 s[10:11], s[4:5]
	s_cbranch_execz .LBB109_206
; %bb.197:
	s_andn2_b64 vcc, exec, s[8:9]
	s_cbranch_vccnz .LBB109_199
; %bb.198:
	buffer_load_dword v108, v95, s[0:3], 0 offen
	ds_read_b32 v109, v94
	s_waitcnt vmcnt(0) lgkmcnt(0)
	v_mul_f32_e32 v108, v108, v109
	s_cbranch_execz .LBB109_200
	s_branch .LBB109_201
.LBB109_199:
                                        ; implicit-def: $vgpr108
.LBB109_200:
	ds_read_b32 v108, v94
.LBB109_201:
	s_and_saveexec_b64 s[12:13], s[6:7]
	s_cbranch_execz .LBB109_205
; %bb.202:
	v_mov_b32_e32 v109, 0
	v_add_u32_e32 v109, 0x64, v109
	v_subrev_u32_e32 v110, 25, v0
	s_movk_i32 s14, 0x124
	s_mov_b64 s[6:7], 0
.LBB109_203:                            ; =>This Inner Loop Header: Depth=1
	buffer_load_dword v111, v109, s[0:3], 0 offen
	v_mov_b32_e32 v112, s14
	ds_read_b32 v112, v112
	v_add_u32_e32 v110, -1, v110
	s_add_i32 s14, s14, 4
	v_cmp_eq_u32_e32 vcc, 0, v110
	v_add_u32_e32 v109, 4, v109
	s_or_b64 s[6:7], vcc, s[6:7]
	s_waitcnt vmcnt(0) lgkmcnt(0)
	v_fmac_f32_e32 v108, v111, v112
	s_andn2_b64 exec, exec, s[6:7]
	s_cbranch_execnz .LBB109_203
; %bb.204:
	s_or_b64 exec, exec, s[6:7]
.LBB109_205:
	s_or_b64 exec, exec, s[12:13]
	v_mov_b32_e32 v109, 0
	ds_read_b32 v109, v109 offset:96
	s_waitcnt lgkmcnt(0)
	v_mul_f32_e32 v108, v108, v109
	buffer_store_dword v108, off, s[0:3], 0 offset:96
.LBB109_206:
	s_or_b64 exec, exec, s[10:11]
	buffer_load_dword v108, off, s[0:3], 0 offset:92
	v_cmp_lt_u32_e64 s[6:7], 23, v0
	s_waitcnt vmcnt(0)
	ds_write_b32 v94, v108
	s_waitcnt lgkmcnt(0)
	; wave barrier
	s_waitcnt lgkmcnt(0)
	s_and_saveexec_b64 s[10:11], s[6:7]
	s_cbranch_execz .LBB109_216
; %bb.207:
	s_andn2_b64 vcc, exec, s[8:9]
	s_cbranch_vccnz .LBB109_209
; %bb.208:
	buffer_load_dword v108, v95, s[0:3], 0 offen
	ds_read_b32 v109, v94
	s_waitcnt vmcnt(0) lgkmcnt(0)
	v_mul_f32_e32 v108, v108, v109
	s_cbranch_execz .LBB109_210
	s_branch .LBB109_211
.LBB109_209:
                                        ; implicit-def: $vgpr108
.LBB109_210:
	ds_read_b32 v108, v94
.LBB109_211:
	s_and_saveexec_b64 s[12:13], s[4:5]
	s_cbranch_execz .LBB109_215
; %bb.212:
	v_subrev_u32_e32 v109, 24, v0
	s_movk_i32 s14, 0x120
	s_mov_b64 s[4:5], 0
.LBB109_213:                            ; =>This Inner Loop Header: Depth=1
	buffer_load_dword v110, v107, s[0:3], 0 offen
	v_mov_b32_e32 v111, s14
	ds_read_b32 v111, v111
	v_add_u32_e32 v109, -1, v109
	s_add_i32 s14, s14, 4
	v_cmp_eq_u32_e32 vcc, 0, v109
	v_add_u32_e32 v107, 4, v107
	s_or_b64 s[4:5], vcc, s[4:5]
	s_waitcnt vmcnt(0) lgkmcnt(0)
	v_fmac_f32_e32 v108, v110, v111
	s_andn2_b64 exec, exec, s[4:5]
	s_cbranch_execnz .LBB109_213
; %bb.214:
	s_or_b64 exec, exec, s[4:5]
.LBB109_215:
	s_or_b64 exec, exec, s[12:13]
	v_mov_b32_e32 v107, 0
	ds_read_b32 v107, v107 offset:92
	s_waitcnt lgkmcnt(0)
	v_mul_f32_e32 v107, v108, v107
	buffer_store_dword v107, off, s[0:3], 0 offset:92
.LBB109_216:
	s_or_b64 exec, exec, s[10:11]
	buffer_load_dword v107, off, s[0:3], 0 offset:88
	v_cmp_lt_u32_e64 s[4:5], 22, v0
	s_waitcnt vmcnt(0)
	ds_write_b32 v94, v107
	s_waitcnt lgkmcnt(0)
	; wave barrier
	s_waitcnt lgkmcnt(0)
	s_and_saveexec_b64 s[10:11], s[4:5]
	s_cbranch_execz .LBB109_226
; %bb.217:
	s_andn2_b64 vcc, exec, s[8:9]
	s_cbranch_vccnz .LBB109_219
; %bb.218:
	buffer_load_dword v107, v95, s[0:3], 0 offen
	ds_read_b32 v108, v94
	s_waitcnt vmcnt(0) lgkmcnt(0)
	v_mul_f32_e32 v107, v107, v108
	s_cbranch_execz .LBB109_220
	s_branch .LBB109_221
.LBB109_219:
                                        ; implicit-def: $vgpr107
.LBB109_220:
	ds_read_b32 v107, v94
.LBB109_221:
	s_and_saveexec_b64 s[12:13], s[6:7]
	s_cbranch_execz .LBB109_225
; %bb.222:
	v_mov_b32_e32 v108, 0
	v_add_u32_e32 v108, 0x5c, v108
	v_subrev_u32_e32 v109, 23, v0
	s_movk_i32 s14, 0x11c
	s_mov_b64 s[6:7], 0
.LBB109_223:                            ; =>This Inner Loop Header: Depth=1
	buffer_load_dword v110, v108, s[0:3], 0 offen
	v_mov_b32_e32 v111, s14
	ds_read_b32 v111, v111
	v_add_u32_e32 v109, -1, v109
	s_add_i32 s14, s14, 4
	v_cmp_eq_u32_e32 vcc, 0, v109
	v_add_u32_e32 v108, 4, v108
	s_or_b64 s[6:7], vcc, s[6:7]
	s_waitcnt vmcnt(0) lgkmcnt(0)
	v_fmac_f32_e32 v107, v110, v111
	s_andn2_b64 exec, exec, s[6:7]
	s_cbranch_execnz .LBB109_223
; %bb.224:
	s_or_b64 exec, exec, s[6:7]
.LBB109_225:
	s_or_b64 exec, exec, s[12:13]
	v_mov_b32_e32 v108, 0
	ds_read_b32 v108, v108 offset:88
	s_waitcnt lgkmcnt(0)
	v_mul_f32_e32 v107, v107, v108
	buffer_store_dword v107, off, s[0:3], 0 offset:88
.LBB109_226:
	s_or_b64 exec, exec, s[10:11]
	buffer_load_dword v107, off, s[0:3], 0 offset:84
	v_cmp_lt_u32_e64 s[6:7], 21, v0
	s_waitcnt vmcnt(0)
	ds_write_b32 v94, v107
	s_waitcnt lgkmcnt(0)
	; wave barrier
	s_waitcnt lgkmcnt(0)
	s_and_saveexec_b64 s[10:11], s[6:7]
	s_cbranch_execz .LBB109_236
; %bb.227:
	s_andn2_b64 vcc, exec, s[8:9]
	s_cbranch_vccnz .LBB109_229
; %bb.228:
	buffer_load_dword v107, v95, s[0:3], 0 offen
	ds_read_b32 v108, v94
	s_waitcnt vmcnt(0) lgkmcnt(0)
	v_mul_f32_e32 v107, v107, v108
	s_cbranch_execz .LBB109_230
	s_branch .LBB109_231
.LBB109_229:
                                        ; implicit-def: $vgpr107
.LBB109_230:
	ds_read_b32 v107, v94
.LBB109_231:
	s_and_saveexec_b64 s[12:13], s[4:5]
	s_cbranch_execz .LBB109_235
; %bb.232:
	v_subrev_u32_e32 v108, 22, v0
	s_movk_i32 s14, 0x118
	s_mov_b64 s[4:5], 0
.LBB109_233:                            ; =>This Inner Loop Header: Depth=1
	buffer_load_dword v109, v106, s[0:3], 0 offen
	v_mov_b32_e32 v110, s14
	ds_read_b32 v110, v110
	v_add_u32_e32 v108, -1, v108
	s_add_i32 s14, s14, 4
	v_cmp_eq_u32_e32 vcc, 0, v108
	v_add_u32_e32 v106, 4, v106
	s_or_b64 s[4:5], vcc, s[4:5]
	s_waitcnt vmcnt(0) lgkmcnt(0)
	v_fmac_f32_e32 v107, v109, v110
	s_andn2_b64 exec, exec, s[4:5]
	s_cbranch_execnz .LBB109_233
; %bb.234:
	s_or_b64 exec, exec, s[4:5]
.LBB109_235:
	s_or_b64 exec, exec, s[12:13]
	v_mov_b32_e32 v106, 0
	ds_read_b32 v106, v106 offset:84
	s_waitcnt lgkmcnt(0)
	v_mul_f32_e32 v106, v107, v106
	buffer_store_dword v106, off, s[0:3], 0 offset:84
.LBB109_236:
	s_or_b64 exec, exec, s[10:11]
	buffer_load_dword v106, off, s[0:3], 0 offset:80
	v_cmp_lt_u32_e64 s[4:5], 20, v0
	s_waitcnt vmcnt(0)
	ds_write_b32 v94, v106
	s_waitcnt lgkmcnt(0)
	; wave barrier
	s_waitcnt lgkmcnt(0)
	s_and_saveexec_b64 s[10:11], s[4:5]
	s_cbranch_execz .LBB109_246
; %bb.237:
	s_andn2_b64 vcc, exec, s[8:9]
	s_cbranch_vccnz .LBB109_239
; %bb.238:
	buffer_load_dword v106, v95, s[0:3], 0 offen
	ds_read_b32 v107, v94
	s_waitcnt vmcnt(0) lgkmcnt(0)
	v_mul_f32_e32 v106, v106, v107
	s_cbranch_execz .LBB109_240
	s_branch .LBB109_241
.LBB109_239:
                                        ; implicit-def: $vgpr106
.LBB109_240:
	ds_read_b32 v106, v94
.LBB109_241:
	s_and_saveexec_b64 s[12:13], s[6:7]
	s_cbranch_execz .LBB109_245
; %bb.242:
	v_mov_b32_e32 v107, 0
	v_add_u32_e32 v107, 0x54, v107
	v_subrev_u32_e32 v108, 21, v0
	s_movk_i32 s14, 0x114
	s_mov_b64 s[6:7], 0
.LBB109_243:                            ; =>This Inner Loop Header: Depth=1
	buffer_load_dword v109, v107, s[0:3], 0 offen
	v_mov_b32_e32 v110, s14
	ds_read_b32 v110, v110
	v_add_u32_e32 v108, -1, v108
	s_add_i32 s14, s14, 4
	v_cmp_eq_u32_e32 vcc, 0, v108
	v_add_u32_e32 v107, 4, v107
	s_or_b64 s[6:7], vcc, s[6:7]
	s_waitcnt vmcnt(0) lgkmcnt(0)
	v_fmac_f32_e32 v106, v109, v110
	s_andn2_b64 exec, exec, s[6:7]
	s_cbranch_execnz .LBB109_243
; %bb.244:
	s_or_b64 exec, exec, s[6:7]
.LBB109_245:
	s_or_b64 exec, exec, s[12:13]
	v_mov_b32_e32 v107, 0
	ds_read_b32 v107, v107 offset:80
	s_waitcnt lgkmcnt(0)
	v_mul_f32_e32 v106, v106, v107
	buffer_store_dword v106, off, s[0:3], 0 offset:80
.LBB109_246:
	s_or_b64 exec, exec, s[10:11]
	buffer_load_dword v106, off, s[0:3], 0 offset:76
	v_cmp_lt_u32_e64 s[6:7], 19, v0
	s_waitcnt vmcnt(0)
	ds_write_b32 v94, v106
	s_waitcnt lgkmcnt(0)
	; wave barrier
	s_waitcnt lgkmcnt(0)
	s_and_saveexec_b64 s[10:11], s[6:7]
	s_cbranch_execz .LBB109_256
; %bb.247:
	s_andn2_b64 vcc, exec, s[8:9]
	s_cbranch_vccnz .LBB109_249
; %bb.248:
	buffer_load_dword v106, v95, s[0:3], 0 offen
	ds_read_b32 v107, v94
	s_waitcnt vmcnt(0) lgkmcnt(0)
	v_mul_f32_e32 v106, v106, v107
	s_cbranch_execz .LBB109_250
	s_branch .LBB109_251
.LBB109_249:
                                        ; implicit-def: $vgpr106
.LBB109_250:
	ds_read_b32 v106, v94
.LBB109_251:
	s_and_saveexec_b64 s[12:13], s[4:5]
	s_cbranch_execz .LBB109_255
; %bb.252:
	v_subrev_u32_e32 v107, 20, v0
	s_movk_i32 s14, 0x110
	s_mov_b64 s[4:5], 0
.LBB109_253:                            ; =>This Inner Loop Header: Depth=1
	buffer_load_dword v108, v105, s[0:3], 0 offen
	v_mov_b32_e32 v109, s14
	ds_read_b32 v109, v109
	v_add_u32_e32 v107, -1, v107
	s_add_i32 s14, s14, 4
	v_cmp_eq_u32_e32 vcc, 0, v107
	v_add_u32_e32 v105, 4, v105
	s_or_b64 s[4:5], vcc, s[4:5]
	s_waitcnt vmcnt(0) lgkmcnt(0)
	v_fmac_f32_e32 v106, v108, v109
	s_andn2_b64 exec, exec, s[4:5]
	s_cbranch_execnz .LBB109_253
; %bb.254:
	s_or_b64 exec, exec, s[4:5]
.LBB109_255:
	s_or_b64 exec, exec, s[12:13]
	v_mov_b32_e32 v105, 0
	ds_read_b32 v105, v105 offset:76
	s_waitcnt lgkmcnt(0)
	v_mul_f32_e32 v105, v106, v105
	buffer_store_dword v105, off, s[0:3], 0 offset:76
.LBB109_256:
	s_or_b64 exec, exec, s[10:11]
	buffer_load_dword v105, off, s[0:3], 0 offset:72
	v_cmp_lt_u32_e64 s[4:5], 18, v0
	s_waitcnt vmcnt(0)
	ds_write_b32 v94, v105
	s_waitcnt lgkmcnt(0)
	; wave barrier
	s_waitcnt lgkmcnt(0)
	s_and_saveexec_b64 s[10:11], s[4:5]
	s_cbranch_execz .LBB109_266
; %bb.257:
	s_andn2_b64 vcc, exec, s[8:9]
	s_cbranch_vccnz .LBB109_259
; %bb.258:
	buffer_load_dword v105, v95, s[0:3], 0 offen
	ds_read_b32 v106, v94
	s_waitcnt vmcnt(0) lgkmcnt(0)
	v_mul_f32_e32 v105, v105, v106
	s_cbranch_execz .LBB109_260
	s_branch .LBB109_261
.LBB109_259:
                                        ; implicit-def: $vgpr105
.LBB109_260:
	ds_read_b32 v105, v94
.LBB109_261:
	s_and_saveexec_b64 s[12:13], s[6:7]
	s_cbranch_execz .LBB109_265
; %bb.262:
	v_mov_b32_e32 v106, 0
	v_add_u32_e32 v106, 0x4c, v106
	v_subrev_u32_e32 v107, 19, v0
	s_movk_i32 s14, 0x10c
	s_mov_b64 s[6:7], 0
.LBB109_263:                            ; =>This Inner Loop Header: Depth=1
	buffer_load_dword v108, v106, s[0:3], 0 offen
	v_mov_b32_e32 v109, s14
	ds_read_b32 v109, v109
	v_add_u32_e32 v107, -1, v107
	s_add_i32 s14, s14, 4
	v_cmp_eq_u32_e32 vcc, 0, v107
	v_add_u32_e32 v106, 4, v106
	s_or_b64 s[6:7], vcc, s[6:7]
	s_waitcnt vmcnt(0) lgkmcnt(0)
	v_fmac_f32_e32 v105, v108, v109
	s_andn2_b64 exec, exec, s[6:7]
	s_cbranch_execnz .LBB109_263
; %bb.264:
	s_or_b64 exec, exec, s[6:7]
.LBB109_265:
	s_or_b64 exec, exec, s[12:13]
	v_mov_b32_e32 v106, 0
	ds_read_b32 v106, v106 offset:72
	s_waitcnt lgkmcnt(0)
	v_mul_f32_e32 v105, v105, v106
	buffer_store_dword v105, off, s[0:3], 0 offset:72
.LBB109_266:
	s_or_b64 exec, exec, s[10:11]
	buffer_load_dword v105, off, s[0:3], 0 offset:68
	v_cmp_lt_u32_e64 s[6:7], 17, v0
	s_waitcnt vmcnt(0)
	ds_write_b32 v94, v105
	s_waitcnt lgkmcnt(0)
	; wave barrier
	s_waitcnt lgkmcnt(0)
	s_and_saveexec_b64 s[10:11], s[6:7]
	s_cbranch_execz .LBB109_276
; %bb.267:
	s_andn2_b64 vcc, exec, s[8:9]
	s_cbranch_vccnz .LBB109_269
; %bb.268:
	buffer_load_dword v105, v95, s[0:3], 0 offen
	ds_read_b32 v106, v94
	s_waitcnt vmcnt(0) lgkmcnt(0)
	v_mul_f32_e32 v105, v105, v106
	s_cbranch_execz .LBB109_270
	s_branch .LBB109_271
.LBB109_269:
                                        ; implicit-def: $vgpr105
.LBB109_270:
	ds_read_b32 v105, v94
.LBB109_271:
	s_and_saveexec_b64 s[12:13], s[4:5]
	s_cbranch_execz .LBB109_275
; %bb.272:
	v_subrev_u32_e32 v106, 18, v0
	s_movk_i32 s14, 0x108
	s_mov_b64 s[4:5], 0
.LBB109_273:                            ; =>This Inner Loop Header: Depth=1
	buffer_load_dword v107, v104, s[0:3], 0 offen
	v_mov_b32_e32 v108, s14
	ds_read_b32 v108, v108
	v_add_u32_e32 v106, -1, v106
	s_add_i32 s14, s14, 4
	v_cmp_eq_u32_e32 vcc, 0, v106
	v_add_u32_e32 v104, 4, v104
	s_or_b64 s[4:5], vcc, s[4:5]
	s_waitcnt vmcnt(0) lgkmcnt(0)
	v_fmac_f32_e32 v105, v107, v108
	s_andn2_b64 exec, exec, s[4:5]
	s_cbranch_execnz .LBB109_273
; %bb.274:
	s_or_b64 exec, exec, s[4:5]
.LBB109_275:
	s_or_b64 exec, exec, s[12:13]
	v_mov_b32_e32 v104, 0
	ds_read_b32 v104, v104 offset:68
	s_waitcnt lgkmcnt(0)
	v_mul_f32_e32 v104, v105, v104
	buffer_store_dword v104, off, s[0:3], 0 offset:68
.LBB109_276:
	s_or_b64 exec, exec, s[10:11]
	buffer_load_dword v104, off, s[0:3], 0 offset:64
	v_cmp_lt_u32_e64 s[4:5], 16, v0
	s_waitcnt vmcnt(0)
	ds_write_b32 v94, v104
	s_waitcnt lgkmcnt(0)
	; wave barrier
	s_waitcnt lgkmcnt(0)
	s_and_saveexec_b64 s[10:11], s[4:5]
	s_cbranch_execz .LBB109_286
; %bb.277:
	s_andn2_b64 vcc, exec, s[8:9]
	s_cbranch_vccnz .LBB109_279
; %bb.278:
	buffer_load_dword v104, v95, s[0:3], 0 offen
	ds_read_b32 v105, v94
	s_waitcnt vmcnt(0) lgkmcnt(0)
	v_mul_f32_e32 v104, v104, v105
	s_cbranch_execz .LBB109_280
	s_branch .LBB109_281
.LBB109_279:
                                        ; implicit-def: $vgpr104
.LBB109_280:
	ds_read_b32 v104, v94
.LBB109_281:
	s_and_saveexec_b64 s[12:13], s[6:7]
	s_cbranch_execz .LBB109_285
; %bb.282:
	v_mov_b32_e32 v105, 0
	v_add_u32_e32 v105, 0x44, v105
	v_subrev_u32_e32 v106, 17, v0
	s_movk_i32 s14, 0x104
	s_mov_b64 s[6:7], 0
.LBB109_283:                            ; =>This Inner Loop Header: Depth=1
	buffer_load_dword v107, v105, s[0:3], 0 offen
	v_mov_b32_e32 v108, s14
	ds_read_b32 v108, v108
	v_add_u32_e32 v106, -1, v106
	s_add_i32 s14, s14, 4
	v_cmp_eq_u32_e32 vcc, 0, v106
	v_add_u32_e32 v105, 4, v105
	s_or_b64 s[6:7], vcc, s[6:7]
	s_waitcnt vmcnt(0) lgkmcnt(0)
	v_fmac_f32_e32 v104, v107, v108
	s_andn2_b64 exec, exec, s[6:7]
	s_cbranch_execnz .LBB109_283
; %bb.284:
	s_or_b64 exec, exec, s[6:7]
.LBB109_285:
	s_or_b64 exec, exec, s[12:13]
	v_mov_b32_e32 v105, 0
	ds_read_b32 v105, v105 offset:64
	s_waitcnt lgkmcnt(0)
	v_mul_f32_e32 v104, v104, v105
	buffer_store_dword v104, off, s[0:3], 0 offset:64
.LBB109_286:
	s_or_b64 exec, exec, s[10:11]
	buffer_load_dword v104, off, s[0:3], 0 offset:60
	v_cmp_lt_u32_e64 s[6:7], 15, v0
	s_waitcnt vmcnt(0)
	ds_write_b32 v94, v104
	s_waitcnt lgkmcnt(0)
	; wave barrier
	s_waitcnt lgkmcnt(0)
	s_and_saveexec_b64 s[10:11], s[6:7]
	s_cbranch_execz .LBB109_296
; %bb.287:
	s_andn2_b64 vcc, exec, s[8:9]
	s_cbranch_vccnz .LBB109_289
; %bb.288:
	buffer_load_dword v104, v95, s[0:3], 0 offen
	ds_read_b32 v105, v94
	s_waitcnt vmcnt(0) lgkmcnt(0)
	v_mul_f32_e32 v104, v104, v105
	s_cbranch_execz .LBB109_290
	s_branch .LBB109_291
.LBB109_289:
                                        ; implicit-def: $vgpr104
.LBB109_290:
	ds_read_b32 v104, v94
.LBB109_291:
	s_and_saveexec_b64 s[12:13], s[4:5]
	s_cbranch_execz .LBB109_295
; %bb.292:
	v_add_u32_e32 v105, -16, v0
	s_movk_i32 s14, 0x100
	s_mov_b64 s[4:5], 0
.LBB109_293:                            ; =>This Inner Loop Header: Depth=1
	buffer_load_dword v106, v103, s[0:3], 0 offen
	v_mov_b32_e32 v107, s14
	ds_read_b32 v107, v107
	v_add_u32_e32 v105, -1, v105
	s_add_i32 s14, s14, 4
	v_cmp_eq_u32_e32 vcc, 0, v105
	v_add_u32_e32 v103, 4, v103
	s_or_b64 s[4:5], vcc, s[4:5]
	s_waitcnt vmcnt(0) lgkmcnt(0)
	v_fmac_f32_e32 v104, v106, v107
	s_andn2_b64 exec, exec, s[4:5]
	s_cbranch_execnz .LBB109_293
; %bb.294:
	s_or_b64 exec, exec, s[4:5]
.LBB109_295:
	s_or_b64 exec, exec, s[12:13]
	v_mov_b32_e32 v103, 0
	ds_read_b32 v103, v103 offset:60
	s_waitcnt lgkmcnt(0)
	v_mul_f32_e32 v103, v104, v103
	buffer_store_dword v103, off, s[0:3], 0 offset:60
.LBB109_296:
	s_or_b64 exec, exec, s[10:11]
	buffer_load_dword v103, off, s[0:3], 0 offset:56
	v_cmp_lt_u32_e64 s[4:5], 14, v0
	s_waitcnt vmcnt(0)
	ds_write_b32 v94, v103
	s_waitcnt lgkmcnt(0)
	; wave barrier
	s_waitcnt lgkmcnt(0)
	s_and_saveexec_b64 s[10:11], s[4:5]
	s_cbranch_execz .LBB109_306
; %bb.297:
	s_andn2_b64 vcc, exec, s[8:9]
	s_cbranch_vccnz .LBB109_299
; %bb.298:
	buffer_load_dword v103, v95, s[0:3], 0 offen
	ds_read_b32 v104, v94
	s_waitcnt vmcnt(0) lgkmcnt(0)
	v_mul_f32_e32 v103, v103, v104
	s_cbranch_execz .LBB109_300
	s_branch .LBB109_301
.LBB109_299:
                                        ; implicit-def: $vgpr103
.LBB109_300:
	ds_read_b32 v103, v94
.LBB109_301:
	s_and_saveexec_b64 s[12:13], s[6:7]
	s_cbranch_execz .LBB109_305
; %bb.302:
	v_mov_b32_e32 v104, 0
	v_add_u32_e32 v104, 60, v104
	v_add_u32_e32 v105, -15, v0
	s_movk_i32 s14, 0xfc
	s_mov_b64 s[6:7], 0
.LBB109_303:                            ; =>This Inner Loop Header: Depth=1
	buffer_load_dword v106, v104, s[0:3], 0 offen
	v_mov_b32_e32 v107, s14
	ds_read_b32 v107, v107
	v_add_u32_e32 v105, -1, v105
	s_add_i32 s14, s14, 4
	v_cmp_eq_u32_e32 vcc, 0, v105
	v_add_u32_e32 v104, 4, v104
	s_or_b64 s[6:7], vcc, s[6:7]
	s_waitcnt vmcnt(0) lgkmcnt(0)
	v_fmac_f32_e32 v103, v106, v107
	s_andn2_b64 exec, exec, s[6:7]
	s_cbranch_execnz .LBB109_303
; %bb.304:
	s_or_b64 exec, exec, s[6:7]
.LBB109_305:
	s_or_b64 exec, exec, s[12:13]
	v_mov_b32_e32 v104, 0
	ds_read_b32 v104, v104 offset:56
	s_waitcnt lgkmcnt(0)
	v_mul_f32_e32 v103, v103, v104
	buffer_store_dword v103, off, s[0:3], 0 offset:56
.LBB109_306:
	s_or_b64 exec, exec, s[10:11]
	buffer_load_dword v103, off, s[0:3], 0 offset:52
	v_cmp_lt_u32_e64 s[6:7], 13, v0
	s_waitcnt vmcnt(0)
	ds_write_b32 v94, v103
	s_waitcnt lgkmcnt(0)
	; wave barrier
	s_waitcnt lgkmcnt(0)
	s_and_saveexec_b64 s[10:11], s[6:7]
	s_cbranch_execz .LBB109_316
; %bb.307:
	s_andn2_b64 vcc, exec, s[8:9]
	s_cbranch_vccnz .LBB109_309
; %bb.308:
	buffer_load_dword v103, v95, s[0:3], 0 offen
	ds_read_b32 v104, v94
	s_waitcnt vmcnt(0) lgkmcnt(0)
	v_mul_f32_e32 v103, v103, v104
	s_cbranch_execz .LBB109_310
	s_branch .LBB109_311
.LBB109_309:
                                        ; implicit-def: $vgpr103
.LBB109_310:
	ds_read_b32 v103, v94
.LBB109_311:
	s_and_saveexec_b64 s[12:13], s[4:5]
	s_cbranch_execz .LBB109_315
; %bb.312:
	v_add_u32_e32 v104, -14, v0
	s_movk_i32 s14, 0xf8
	s_mov_b64 s[4:5], 0
.LBB109_313:                            ; =>This Inner Loop Header: Depth=1
	buffer_load_dword v105, v102, s[0:3], 0 offen
	v_mov_b32_e32 v106, s14
	ds_read_b32 v106, v106
	v_add_u32_e32 v104, -1, v104
	s_add_i32 s14, s14, 4
	v_cmp_eq_u32_e32 vcc, 0, v104
	v_add_u32_e32 v102, 4, v102
	s_or_b64 s[4:5], vcc, s[4:5]
	s_waitcnt vmcnt(0) lgkmcnt(0)
	v_fmac_f32_e32 v103, v105, v106
	s_andn2_b64 exec, exec, s[4:5]
	s_cbranch_execnz .LBB109_313
; %bb.314:
	s_or_b64 exec, exec, s[4:5]
.LBB109_315:
	s_or_b64 exec, exec, s[12:13]
	v_mov_b32_e32 v102, 0
	ds_read_b32 v102, v102 offset:52
	s_waitcnt lgkmcnt(0)
	v_mul_f32_e32 v102, v103, v102
	buffer_store_dword v102, off, s[0:3], 0 offset:52
.LBB109_316:
	s_or_b64 exec, exec, s[10:11]
	buffer_load_dword v102, off, s[0:3], 0 offset:48
	v_cmp_lt_u32_e64 s[4:5], 12, v0
	s_waitcnt vmcnt(0)
	ds_write_b32 v94, v102
	s_waitcnt lgkmcnt(0)
	; wave barrier
	s_waitcnt lgkmcnt(0)
	s_and_saveexec_b64 s[10:11], s[4:5]
	s_cbranch_execz .LBB109_326
; %bb.317:
	s_andn2_b64 vcc, exec, s[8:9]
	s_cbranch_vccnz .LBB109_319
; %bb.318:
	buffer_load_dword v102, v95, s[0:3], 0 offen
	ds_read_b32 v103, v94
	s_waitcnt vmcnt(0) lgkmcnt(0)
	v_mul_f32_e32 v102, v102, v103
	s_cbranch_execz .LBB109_320
	s_branch .LBB109_321
.LBB109_319:
                                        ; implicit-def: $vgpr102
.LBB109_320:
	ds_read_b32 v102, v94
.LBB109_321:
	s_and_saveexec_b64 s[12:13], s[6:7]
	s_cbranch_execz .LBB109_325
; %bb.322:
	v_mov_b32_e32 v103, 0
	v_add_u32_e32 v103, 52, v103
	v_add_u32_e32 v104, -13, v0
	s_movk_i32 s14, 0xf4
	s_mov_b64 s[6:7], 0
.LBB109_323:                            ; =>This Inner Loop Header: Depth=1
	buffer_load_dword v105, v103, s[0:3], 0 offen
	v_mov_b32_e32 v106, s14
	ds_read_b32 v106, v106
	v_add_u32_e32 v104, -1, v104
	s_add_i32 s14, s14, 4
	v_cmp_eq_u32_e32 vcc, 0, v104
	v_add_u32_e32 v103, 4, v103
	s_or_b64 s[6:7], vcc, s[6:7]
	s_waitcnt vmcnt(0) lgkmcnt(0)
	v_fmac_f32_e32 v102, v105, v106
	s_andn2_b64 exec, exec, s[6:7]
	s_cbranch_execnz .LBB109_323
; %bb.324:
	s_or_b64 exec, exec, s[6:7]
.LBB109_325:
	s_or_b64 exec, exec, s[12:13]
	v_mov_b32_e32 v103, 0
	ds_read_b32 v103, v103 offset:48
	s_waitcnt lgkmcnt(0)
	v_mul_f32_e32 v102, v102, v103
	buffer_store_dword v102, off, s[0:3], 0 offset:48
.LBB109_326:
	s_or_b64 exec, exec, s[10:11]
	buffer_load_dword v102, off, s[0:3], 0 offset:44
	v_cmp_lt_u32_e64 s[6:7], 11, v0
	s_waitcnt vmcnt(0)
	ds_write_b32 v94, v102
	s_waitcnt lgkmcnt(0)
	; wave barrier
	s_waitcnt lgkmcnt(0)
	s_and_saveexec_b64 s[10:11], s[6:7]
	s_cbranch_execz .LBB109_336
; %bb.327:
	s_andn2_b64 vcc, exec, s[8:9]
	s_cbranch_vccnz .LBB109_329
; %bb.328:
	buffer_load_dword v102, v95, s[0:3], 0 offen
	ds_read_b32 v103, v94
	s_waitcnt vmcnt(0) lgkmcnt(0)
	v_mul_f32_e32 v102, v102, v103
	s_cbranch_execz .LBB109_330
	s_branch .LBB109_331
.LBB109_329:
                                        ; implicit-def: $vgpr102
.LBB109_330:
	ds_read_b32 v102, v94
.LBB109_331:
	s_and_saveexec_b64 s[12:13], s[4:5]
	s_cbranch_execz .LBB109_335
; %bb.332:
	v_add_u32_e32 v103, -12, v0
	s_movk_i32 s14, 0xf0
	s_mov_b64 s[4:5], 0
.LBB109_333:                            ; =>This Inner Loop Header: Depth=1
	buffer_load_dword v104, v101, s[0:3], 0 offen
	v_mov_b32_e32 v105, s14
	ds_read_b32 v105, v105
	v_add_u32_e32 v103, -1, v103
	s_add_i32 s14, s14, 4
	v_cmp_eq_u32_e32 vcc, 0, v103
	v_add_u32_e32 v101, 4, v101
	s_or_b64 s[4:5], vcc, s[4:5]
	s_waitcnt vmcnt(0) lgkmcnt(0)
	v_fmac_f32_e32 v102, v104, v105
	s_andn2_b64 exec, exec, s[4:5]
	s_cbranch_execnz .LBB109_333
; %bb.334:
	s_or_b64 exec, exec, s[4:5]
.LBB109_335:
	s_or_b64 exec, exec, s[12:13]
	v_mov_b32_e32 v101, 0
	ds_read_b32 v101, v101 offset:44
	s_waitcnt lgkmcnt(0)
	v_mul_f32_e32 v101, v102, v101
	buffer_store_dword v101, off, s[0:3], 0 offset:44
.LBB109_336:
	s_or_b64 exec, exec, s[10:11]
	buffer_load_dword v101, off, s[0:3], 0 offset:40
	v_cmp_lt_u32_e64 s[4:5], 10, v0
	s_waitcnt vmcnt(0)
	ds_write_b32 v94, v101
	s_waitcnt lgkmcnt(0)
	; wave barrier
	s_waitcnt lgkmcnt(0)
	s_and_saveexec_b64 s[10:11], s[4:5]
	s_cbranch_execz .LBB109_346
; %bb.337:
	s_andn2_b64 vcc, exec, s[8:9]
	s_cbranch_vccnz .LBB109_339
; %bb.338:
	buffer_load_dword v101, v95, s[0:3], 0 offen
	ds_read_b32 v102, v94
	s_waitcnt vmcnt(0) lgkmcnt(0)
	v_mul_f32_e32 v101, v101, v102
	s_cbranch_execz .LBB109_340
	s_branch .LBB109_341
.LBB109_339:
                                        ; implicit-def: $vgpr101
.LBB109_340:
	ds_read_b32 v101, v94
.LBB109_341:
	s_and_saveexec_b64 s[12:13], s[6:7]
	s_cbranch_execz .LBB109_345
; %bb.342:
	v_mov_b32_e32 v102, 0
	v_add_u32_e32 v102, 44, v102
	v_add_u32_e32 v103, -11, v0
	s_movk_i32 s14, 0xec
	s_mov_b64 s[6:7], 0
.LBB109_343:                            ; =>This Inner Loop Header: Depth=1
	buffer_load_dword v104, v102, s[0:3], 0 offen
	v_mov_b32_e32 v105, s14
	ds_read_b32 v105, v105
	v_add_u32_e32 v103, -1, v103
	s_add_i32 s14, s14, 4
	v_cmp_eq_u32_e32 vcc, 0, v103
	v_add_u32_e32 v102, 4, v102
	s_or_b64 s[6:7], vcc, s[6:7]
	s_waitcnt vmcnt(0) lgkmcnt(0)
	v_fmac_f32_e32 v101, v104, v105
	s_andn2_b64 exec, exec, s[6:7]
	s_cbranch_execnz .LBB109_343
; %bb.344:
	s_or_b64 exec, exec, s[6:7]
.LBB109_345:
	s_or_b64 exec, exec, s[12:13]
	v_mov_b32_e32 v102, 0
	ds_read_b32 v102, v102 offset:40
	s_waitcnt lgkmcnt(0)
	v_mul_f32_e32 v101, v101, v102
	buffer_store_dword v101, off, s[0:3], 0 offset:40
.LBB109_346:
	s_or_b64 exec, exec, s[10:11]
	buffer_load_dword v101, off, s[0:3], 0 offset:36
	v_cmp_lt_u32_e64 s[6:7], 9, v0
	s_waitcnt vmcnt(0)
	ds_write_b32 v94, v101
	s_waitcnt lgkmcnt(0)
	; wave barrier
	s_waitcnt lgkmcnt(0)
	s_and_saveexec_b64 s[10:11], s[6:7]
	s_cbranch_execz .LBB109_356
; %bb.347:
	s_andn2_b64 vcc, exec, s[8:9]
	s_cbranch_vccnz .LBB109_349
; %bb.348:
	buffer_load_dword v101, v95, s[0:3], 0 offen
	ds_read_b32 v102, v94
	s_waitcnt vmcnt(0) lgkmcnt(0)
	v_mul_f32_e32 v101, v101, v102
	s_cbranch_execz .LBB109_350
	s_branch .LBB109_351
.LBB109_349:
                                        ; implicit-def: $vgpr101
.LBB109_350:
	ds_read_b32 v101, v94
.LBB109_351:
	s_and_saveexec_b64 s[12:13], s[4:5]
	s_cbranch_execz .LBB109_355
; %bb.352:
	v_add_u32_e32 v102, -10, v0
	s_movk_i32 s14, 0xe8
	s_mov_b64 s[4:5], 0
.LBB109_353:                            ; =>This Inner Loop Header: Depth=1
	buffer_load_dword v103, v100, s[0:3], 0 offen
	v_mov_b32_e32 v104, s14
	ds_read_b32 v104, v104
	v_add_u32_e32 v102, -1, v102
	s_add_i32 s14, s14, 4
	v_cmp_eq_u32_e32 vcc, 0, v102
	v_add_u32_e32 v100, 4, v100
	s_or_b64 s[4:5], vcc, s[4:5]
	s_waitcnt vmcnt(0) lgkmcnt(0)
	v_fmac_f32_e32 v101, v103, v104
	s_andn2_b64 exec, exec, s[4:5]
	s_cbranch_execnz .LBB109_353
; %bb.354:
	s_or_b64 exec, exec, s[4:5]
.LBB109_355:
	s_or_b64 exec, exec, s[12:13]
	v_mov_b32_e32 v100, 0
	ds_read_b32 v100, v100 offset:36
	s_waitcnt lgkmcnt(0)
	v_mul_f32_e32 v100, v101, v100
	buffer_store_dword v100, off, s[0:3], 0 offset:36
.LBB109_356:
	s_or_b64 exec, exec, s[10:11]
	buffer_load_dword v100, off, s[0:3], 0 offset:32
	v_cmp_lt_u32_e64 s[4:5], 8, v0
	s_waitcnt vmcnt(0)
	ds_write_b32 v94, v100
	s_waitcnt lgkmcnt(0)
	; wave barrier
	s_waitcnt lgkmcnt(0)
	s_and_saveexec_b64 s[10:11], s[4:5]
	s_cbranch_execz .LBB109_366
; %bb.357:
	s_andn2_b64 vcc, exec, s[8:9]
	s_cbranch_vccnz .LBB109_359
; %bb.358:
	buffer_load_dword v100, v95, s[0:3], 0 offen
	ds_read_b32 v101, v94
	s_waitcnt vmcnt(0) lgkmcnt(0)
	v_mul_f32_e32 v100, v100, v101
	s_cbranch_execz .LBB109_360
	s_branch .LBB109_361
.LBB109_359:
                                        ; implicit-def: $vgpr100
.LBB109_360:
	ds_read_b32 v100, v94
.LBB109_361:
	s_and_saveexec_b64 s[12:13], s[6:7]
	s_cbranch_execz .LBB109_365
; %bb.362:
	v_mov_b32_e32 v101, 0
	v_add_u32_e32 v101, 36, v101
	v_add_u32_e32 v102, -9, v0
	s_movk_i32 s14, 0xe4
	s_mov_b64 s[6:7], 0
.LBB109_363:                            ; =>This Inner Loop Header: Depth=1
	buffer_load_dword v103, v101, s[0:3], 0 offen
	v_mov_b32_e32 v104, s14
	ds_read_b32 v104, v104
	v_add_u32_e32 v102, -1, v102
	s_add_i32 s14, s14, 4
	v_cmp_eq_u32_e32 vcc, 0, v102
	v_add_u32_e32 v101, 4, v101
	s_or_b64 s[6:7], vcc, s[6:7]
	s_waitcnt vmcnt(0) lgkmcnt(0)
	v_fmac_f32_e32 v100, v103, v104
	s_andn2_b64 exec, exec, s[6:7]
	s_cbranch_execnz .LBB109_363
; %bb.364:
	s_or_b64 exec, exec, s[6:7]
.LBB109_365:
	s_or_b64 exec, exec, s[12:13]
	v_mov_b32_e32 v101, 0
	ds_read_b32 v101, v101 offset:32
	s_waitcnt lgkmcnt(0)
	v_mul_f32_e32 v100, v100, v101
	buffer_store_dword v100, off, s[0:3], 0 offset:32
.LBB109_366:
	s_or_b64 exec, exec, s[10:11]
	buffer_load_dword v100, off, s[0:3], 0 offset:28
	v_cmp_lt_u32_e64 s[6:7], 7, v0
	s_waitcnt vmcnt(0)
	ds_write_b32 v94, v100
	s_waitcnt lgkmcnt(0)
	; wave barrier
	s_waitcnt lgkmcnt(0)
	s_and_saveexec_b64 s[10:11], s[6:7]
	s_cbranch_execz .LBB109_376
; %bb.367:
	s_andn2_b64 vcc, exec, s[8:9]
	s_cbranch_vccnz .LBB109_369
; %bb.368:
	buffer_load_dword v100, v95, s[0:3], 0 offen
	ds_read_b32 v101, v94
	s_waitcnt vmcnt(0) lgkmcnt(0)
	v_mul_f32_e32 v100, v100, v101
	s_cbranch_execz .LBB109_370
	s_branch .LBB109_371
.LBB109_369:
                                        ; implicit-def: $vgpr100
.LBB109_370:
	ds_read_b32 v100, v94
.LBB109_371:
	s_and_saveexec_b64 s[12:13], s[4:5]
	s_cbranch_execz .LBB109_375
; %bb.372:
	v_add_u32_e32 v101, -8, v0
	s_movk_i32 s14, 0xe0
	s_mov_b64 s[4:5], 0
.LBB109_373:                            ; =>This Inner Loop Header: Depth=1
	buffer_load_dword v102, v99, s[0:3], 0 offen
	v_mov_b32_e32 v103, s14
	ds_read_b32 v103, v103
	v_add_u32_e32 v101, -1, v101
	s_add_i32 s14, s14, 4
	v_cmp_eq_u32_e32 vcc, 0, v101
	v_add_u32_e32 v99, 4, v99
	s_or_b64 s[4:5], vcc, s[4:5]
	s_waitcnt vmcnt(0) lgkmcnt(0)
	v_fmac_f32_e32 v100, v102, v103
	s_andn2_b64 exec, exec, s[4:5]
	s_cbranch_execnz .LBB109_373
; %bb.374:
	s_or_b64 exec, exec, s[4:5]
.LBB109_375:
	s_or_b64 exec, exec, s[12:13]
	v_mov_b32_e32 v99, 0
	ds_read_b32 v99, v99 offset:28
	s_waitcnt lgkmcnt(0)
	v_mul_f32_e32 v99, v100, v99
	buffer_store_dword v99, off, s[0:3], 0 offset:28
.LBB109_376:
	s_or_b64 exec, exec, s[10:11]
	buffer_load_dword v99, off, s[0:3], 0 offset:24
	v_cmp_lt_u32_e64 s[4:5], 6, v0
	s_waitcnt vmcnt(0)
	ds_write_b32 v94, v99
	s_waitcnt lgkmcnt(0)
	; wave barrier
	s_waitcnt lgkmcnt(0)
	s_and_saveexec_b64 s[10:11], s[4:5]
	s_cbranch_execz .LBB109_386
; %bb.377:
	s_andn2_b64 vcc, exec, s[8:9]
	s_cbranch_vccnz .LBB109_379
; %bb.378:
	buffer_load_dword v99, v95, s[0:3], 0 offen
	ds_read_b32 v100, v94
	s_waitcnt vmcnt(0) lgkmcnt(0)
	v_mul_f32_e32 v99, v99, v100
	s_cbranch_execz .LBB109_380
	s_branch .LBB109_381
.LBB109_379:
                                        ; implicit-def: $vgpr99
.LBB109_380:
	ds_read_b32 v99, v94
.LBB109_381:
	s_and_saveexec_b64 s[12:13], s[6:7]
	s_cbranch_execz .LBB109_385
; %bb.382:
	v_mov_b32_e32 v100, 0
	v_add_u32_e32 v100, 28, v100
	v_add_u32_e32 v101, -7, v0
	s_movk_i32 s14, 0xdc
	s_mov_b64 s[6:7], 0
.LBB109_383:                            ; =>This Inner Loop Header: Depth=1
	buffer_load_dword v102, v100, s[0:3], 0 offen
	v_mov_b32_e32 v103, s14
	ds_read_b32 v103, v103
	v_add_u32_e32 v101, -1, v101
	s_add_i32 s14, s14, 4
	v_cmp_eq_u32_e32 vcc, 0, v101
	v_add_u32_e32 v100, 4, v100
	s_or_b64 s[6:7], vcc, s[6:7]
	s_waitcnt vmcnt(0) lgkmcnt(0)
	v_fmac_f32_e32 v99, v102, v103
	s_andn2_b64 exec, exec, s[6:7]
	s_cbranch_execnz .LBB109_383
; %bb.384:
	s_or_b64 exec, exec, s[6:7]
.LBB109_385:
	s_or_b64 exec, exec, s[12:13]
	v_mov_b32_e32 v100, 0
	ds_read_b32 v100, v100 offset:24
	s_waitcnt lgkmcnt(0)
	v_mul_f32_e32 v99, v99, v100
	buffer_store_dword v99, off, s[0:3], 0 offset:24
.LBB109_386:
	s_or_b64 exec, exec, s[10:11]
	buffer_load_dword v99, off, s[0:3], 0 offset:20
	v_cmp_lt_u32_e64 s[6:7], 5, v0
	s_waitcnt vmcnt(0)
	ds_write_b32 v94, v99
	s_waitcnt lgkmcnt(0)
	; wave barrier
	s_waitcnt lgkmcnt(0)
	s_and_saveexec_b64 s[10:11], s[6:7]
	s_cbranch_execz .LBB109_396
; %bb.387:
	s_andn2_b64 vcc, exec, s[8:9]
	s_cbranch_vccnz .LBB109_389
; %bb.388:
	buffer_load_dword v99, v95, s[0:3], 0 offen
	ds_read_b32 v100, v94
	s_waitcnt vmcnt(0) lgkmcnt(0)
	v_mul_f32_e32 v99, v99, v100
	s_cbranch_execz .LBB109_390
	s_branch .LBB109_391
.LBB109_389:
                                        ; implicit-def: $vgpr99
.LBB109_390:
	ds_read_b32 v99, v94
.LBB109_391:
	s_and_saveexec_b64 s[12:13], s[4:5]
	s_cbranch_execz .LBB109_395
; %bb.392:
	v_add_u32_e32 v100, -6, v0
	s_movk_i32 s14, 0xd8
	s_mov_b64 s[4:5], 0
.LBB109_393:                            ; =>This Inner Loop Header: Depth=1
	buffer_load_dword v101, v98, s[0:3], 0 offen
	v_mov_b32_e32 v102, s14
	ds_read_b32 v102, v102
	v_add_u32_e32 v100, -1, v100
	s_add_i32 s14, s14, 4
	v_cmp_eq_u32_e32 vcc, 0, v100
	v_add_u32_e32 v98, 4, v98
	s_or_b64 s[4:5], vcc, s[4:5]
	s_waitcnt vmcnt(0) lgkmcnt(0)
	v_fmac_f32_e32 v99, v101, v102
	s_andn2_b64 exec, exec, s[4:5]
	s_cbranch_execnz .LBB109_393
; %bb.394:
	s_or_b64 exec, exec, s[4:5]
.LBB109_395:
	s_or_b64 exec, exec, s[12:13]
	v_mov_b32_e32 v98, 0
	ds_read_b32 v98, v98 offset:20
	s_waitcnt lgkmcnt(0)
	v_mul_f32_e32 v98, v99, v98
	buffer_store_dword v98, off, s[0:3], 0 offset:20
.LBB109_396:
	s_or_b64 exec, exec, s[10:11]
	buffer_load_dword v98, off, s[0:3], 0 offset:16
	v_cmp_lt_u32_e64 s[4:5], 4, v0
	s_waitcnt vmcnt(0)
	ds_write_b32 v94, v98
	s_waitcnt lgkmcnt(0)
	; wave barrier
	s_waitcnt lgkmcnt(0)
	s_and_saveexec_b64 s[10:11], s[4:5]
	s_cbranch_execz .LBB109_406
; %bb.397:
	s_andn2_b64 vcc, exec, s[8:9]
	s_cbranch_vccnz .LBB109_399
; %bb.398:
	buffer_load_dword v98, v95, s[0:3], 0 offen
	ds_read_b32 v99, v94
	s_waitcnt vmcnt(0) lgkmcnt(0)
	v_mul_f32_e32 v98, v98, v99
	s_cbranch_execz .LBB109_400
	s_branch .LBB109_401
.LBB109_399:
                                        ; implicit-def: $vgpr98
.LBB109_400:
	ds_read_b32 v98, v94
.LBB109_401:
	s_and_saveexec_b64 s[12:13], s[6:7]
	s_cbranch_execz .LBB109_405
; %bb.402:
	v_mov_b32_e32 v99, 0
	v_add_u32_e32 v99, 20, v99
	v_add_u32_e32 v100, -5, v0
	s_movk_i32 s14, 0xd4
	s_mov_b64 s[6:7], 0
.LBB109_403:                            ; =>This Inner Loop Header: Depth=1
	buffer_load_dword v101, v99, s[0:3], 0 offen
	v_mov_b32_e32 v102, s14
	ds_read_b32 v102, v102
	v_add_u32_e32 v100, -1, v100
	s_add_i32 s14, s14, 4
	v_cmp_eq_u32_e32 vcc, 0, v100
	v_add_u32_e32 v99, 4, v99
	s_or_b64 s[6:7], vcc, s[6:7]
	s_waitcnt vmcnt(0) lgkmcnt(0)
	v_fmac_f32_e32 v98, v101, v102
	s_andn2_b64 exec, exec, s[6:7]
	s_cbranch_execnz .LBB109_403
; %bb.404:
	s_or_b64 exec, exec, s[6:7]
.LBB109_405:
	s_or_b64 exec, exec, s[12:13]
	v_mov_b32_e32 v99, 0
	ds_read_b32 v99, v99 offset:16
	s_waitcnt lgkmcnt(0)
	v_mul_f32_e32 v98, v98, v99
	buffer_store_dword v98, off, s[0:3], 0 offset:16
.LBB109_406:
	s_or_b64 exec, exec, s[10:11]
	buffer_load_dword v98, off, s[0:3], 0 offset:12
	v_cmp_lt_u32_e64 s[6:7], 3, v0
	s_waitcnt vmcnt(0)
	ds_write_b32 v94, v98
	s_waitcnt lgkmcnt(0)
	; wave barrier
	s_waitcnt lgkmcnt(0)
	s_and_saveexec_b64 s[10:11], s[6:7]
	s_cbranch_execz .LBB109_416
; %bb.407:
	s_andn2_b64 vcc, exec, s[8:9]
	s_cbranch_vccnz .LBB109_409
; %bb.408:
	buffer_load_dword v98, v95, s[0:3], 0 offen
	ds_read_b32 v99, v94
	s_waitcnt vmcnt(0) lgkmcnt(0)
	v_mul_f32_e32 v98, v98, v99
	s_cbranch_execz .LBB109_410
	s_branch .LBB109_411
.LBB109_409:
                                        ; implicit-def: $vgpr98
.LBB109_410:
	ds_read_b32 v98, v94
.LBB109_411:
	s_and_saveexec_b64 s[12:13], s[4:5]
	s_cbranch_execz .LBB109_415
; %bb.412:
	v_add_u32_e32 v99, -4, v0
	s_movk_i32 s14, 0xd0
	s_mov_b64 s[4:5], 0
.LBB109_413:                            ; =>This Inner Loop Header: Depth=1
	buffer_load_dword v100, v97, s[0:3], 0 offen
	v_mov_b32_e32 v101, s14
	ds_read_b32 v101, v101
	v_add_u32_e32 v99, -1, v99
	s_add_i32 s14, s14, 4
	v_cmp_eq_u32_e32 vcc, 0, v99
	v_add_u32_e32 v97, 4, v97
	s_or_b64 s[4:5], vcc, s[4:5]
	s_waitcnt vmcnt(0) lgkmcnt(0)
	v_fmac_f32_e32 v98, v100, v101
	s_andn2_b64 exec, exec, s[4:5]
	s_cbranch_execnz .LBB109_413
; %bb.414:
	s_or_b64 exec, exec, s[4:5]
.LBB109_415:
	s_or_b64 exec, exec, s[12:13]
	v_mov_b32_e32 v97, 0
	ds_read_b32 v97, v97 offset:12
	s_waitcnt lgkmcnt(0)
	v_mul_f32_e32 v97, v98, v97
	buffer_store_dword v97, off, s[0:3], 0 offset:12
.LBB109_416:
	s_or_b64 exec, exec, s[10:11]
	buffer_load_dword v97, off, s[0:3], 0 offset:8
	v_cmp_lt_u32_e64 s[4:5], 2, v0
	s_waitcnt vmcnt(0)
	ds_write_b32 v94, v97
	s_waitcnt lgkmcnt(0)
	; wave barrier
	s_waitcnt lgkmcnt(0)
	s_and_saveexec_b64 s[10:11], s[4:5]
	s_cbranch_execz .LBB109_426
; %bb.417:
	s_andn2_b64 vcc, exec, s[8:9]
	s_cbranch_vccnz .LBB109_419
; %bb.418:
	buffer_load_dword v97, v95, s[0:3], 0 offen
	ds_read_b32 v98, v94
	s_waitcnt vmcnt(0) lgkmcnt(0)
	v_mul_f32_e32 v97, v97, v98
	s_cbranch_execz .LBB109_420
	s_branch .LBB109_421
.LBB109_419:
                                        ; implicit-def: $vgpr97
.LBB109_420:
	ds_read_b32 v97, v94
.LBB109_421:
	s_and_saveexec_b64 s[12:13], s[6:7]
	s_cbranch_execz .LBB109_425
; %bb.422:
	v_mov_b32_e32 v98, 0
	v_or_b32_e32 v98, 12, v98
	v_add_u32_e32 v99, -3, v0
	s_movk_i32 s14, 0xcc
	s_mov_b64 s[6:7], 0
.LBB109_423:                            ; =>This Inner Loop Header: Depth=1
	buffer_load_dword v100, v98, s[0:3], 0 offen
	v_mov_b32_e32 v101, s14
	ds_read_b32 v101, v101
	v_add_u32_e32 v99, -1, v99
	s_add_i32 s14, s14, 4
	v_cmp_eq_u32_e32 vcc, 0, v99
	v_add_u32_e32 v98, 4, v98
	s_or_b64 s[6:7], vcc, s[6:7]
	s_waitcnt vmcnt(0) lgkmcnt(0)
	v_fmac_f32_e32 v97, v100, v101
	s_andn2_b64 exec, exec, s[6:7]
	s_cbranch_execnz .LBB109_423
; %bb.424:
	s_or_b64 exec, exec, s[6:7]
.LBB109_425:
	s_or_b64 exec, exec, s[12:13]
	v_mov_b32_e32 v98, 0
	ds_read_b32 v98, v98 offset:8
	s_waitcnt lgkmcnt(0)
	v_mul_f32_e32 v97, v97, v98
	buffer_store_dword v97, off, s[0:3], 0 offset:8
.LBB109_426:
	s_or_b64 exec, exec, s[10:11]
	buffer_load_dword v97, off, s[0:3], 0 offset:4
	v_cmp_lt_u32_e64 s[6:7], 1, v0
	s_waitcnt vmcnt(0)
	ds_write_b32 v94, v97
	s_waitcnt lgkmcnt(0)
	; wave barrier
	s_waitcnt lgkmcnt(0)
	s_and_saveexec_b64 s[10:11], s[6:7]
	s_cbranch_execz .LBB109_436
; %bb.427:
	s_andn2_b64 vcc, exec, s[8:9]
	s_cbranch_vccnz .LBB109_429
; %bb.428:
	buffer_load_dword v97, v95, s[0:3], 0 offen
	ds_read_b32 v98, v94
	s_waitcnt vmcnt(0) lgkmcnt(0)
	v_mul_f32_e32 v97, v97, v98
	s_cbranch_execz .LBB109_430
	s_branch .LBB109_431
.LBB109_429:
                                        ; implicit-def: $vgpr97
.LBB109_430:
	ds_read_b32 v97, v94
.LBB109_431:
	s_and_saveexec_b64 s[12:13], s[4:5]
	s_cbranch_execz .LBB109_435
; %bb.432:
	v_add_u32_e32 v98, -2, v0
	s_movk_i32 s14, 0xc8
	s_mov_b64 s[4:5], 0
.LBB109_433:                            ; =>This Inner Loop Header: Depth=1
	buffer_load_dword v99, v96, s[0:3], 0 offen
	v_mov_b32_e32 v100, s14
	ds_read_b32 v100, v100
	v_add_u32_e32 v98, -1, v98
	s_add_i32 s14, s14, 4
	v_cmp_eq_u32_e32 vcc, 0, v98
	v_add_u32_e32 v96, 4, v96
	s_or_b64 s[4:5], vcc, s[4:5]
	s_waitcnt vmcnt(0) lgkmcnt(0)
	v_fmac_f32_e32 v97, v99, v100
	s_andn2_b64 exec, exec, s[4:5]
	s_cbranch_execnz .LBB109_433
; %bb.434:
	s_or_b64 exec, exec, s[4:5]
.LBB109_435:
	s_or_b64 exec, exec, s[12:13]
	v_mov_b32_e32 v96, 0
	ds_read_b32 v96, v96 offset:4
	s_waitcnt lgkmcnt(0)
	v_mul_f32_e32 v96, v97, v96
	buffer_store_dword v96, off, s[0:3], 0 offset:4
.LBB109_436:
	s_or_b64 exec, exec, s[10:11]
	buffer_load_dword v96, off, s[0:3], 0
	v_cmp_ne_u32_e32 vcc, 0, v0
	s_waitcnt vmcnt(0)
	ds_write_b32 v94, v96
	s_waitcnt lgkmcnt(0)
	; wave barrier
	s_waitcnt lgkmcnt(0)
	s_and_saveexec_b64 s[4:5], vcc
	s_cbranch_execz .LBB109_446
; %bb.437:
	s_andn2_b64 vcc, exec, s[8:9]
	s_cbranch_vccnz .LBB109_439
; %bb.438:
	buffer_load_dword v96, v95, s[0:3], 0 offen
	ds_read_b32 v97, v94
	s_waitcnt vmcnt(0) lgkmcnt(0)
	v_mul_f32_e32 v96, v96, v97
	s_cbranch_execz .LBB109_440
	s_branch .LBB109_441
.LBB109_439:
                                        ; implicit-def: $vgpr96
.LBB109_440:
	ds_read_b32 v96, v94
.LBB109_441:
	s_and_saveexec_b64 s[10:11], s[6:7]
	s_cbranch_execz .LBB109_445
; %bb.442:
	v_mov_b32_e32 v97, 0
	v_or_b32_e32 v97, 4, v97
	v_add_u32_e32 v98, -1, v0
	s_movk_i32 s12, 0xc4
	s_mov_b64 s[6:7], 0
.LBB109_443:                            ; =>This Inner Loop Header: Depth=1
	buffer_load_dword v99, v97, s[0:3], 0 offen
	v_mov_b32_e32 v100, s12
	ds_read_b32 v100, v100
	v_add_u32_e32 v98, -1, v98
	s_add_i32 s12, s12, 4
	v_cmp_eq_u32_e32 vcc, 0, v98
	v_add_u32_e32 v97, 4, v97
	s_or_b64 s[6:7], vcc, s[6:7]
	s_waitcnt vmcnt(0) lgkmcnt(0)
	v_fmac_f32_e32 v96, v99, v100
	s_andn2_b64 exec, exec, s[6:7]
	s_cbranch_execnz .LBB109_443
; %bb.444:
	s_or_b64 exec, exec, s[6:7]
.LBB109_445:
	s_or_b64 exec, exec, s[10:11]
	v_mov_b32_e32 v97, 0
	ds_read_b32 v97, v97
	s_waitcnt lgkmcnt(0)
	v_mul_f32_e32 v96, v96, v97
	buffer_store_dword v96, off, s[0:3], 0
.LBB109_446:
	s_or_b64 exec, exec, s[4:5]
	s_mov_b64 s[4:5], 0
.LBB109_447:
	s_and_b64 vcc, exec, s[4:5]
	s_cbranch_vccz .LBB109_891
; %bb.448:
	buffer_load_dword v96, off, s[0:3], 0 offset:4
	v_cmp_eq_u32_e64 s[6:7], 0, v0
	s_waitcnt vmcnt(0)
	ds_write_b32 v94, v96
	s_waitcnt lgkmcnt(0)
	; wave barrier
	s_waitcnt lgkmcnt(0)
	s_and_saveexec_b64 s[4:5], s[6:7]
	s_cbranch_execz .LBB109_454
; %bb.449:
	s_and_b64 vcc, exec, s[8:9]
	s_cbranch_vccz .LBB109_451
; %bb.450:
	buffer_load_dword v96, v95, s[0:3], 0 offen
	ds_read_b32 v97, v94
	s_waitcnt vmcnt(0) lgkmcnt(0)
	v_mul_f32_e32 v96, v96, v97
	s_cbranch_execz .LBB109_452
	s_branch .LBB109_453
.LBB109_451:
                                        ; implicit-def: $vgpr96
.LBB109_452:
	ds_read_b32 v96, v94
.LBB109_453:
	v_mov_b32_e32 v97, 0
	ds_read_b32 v97, v97 offset:4
	s_waitcnt lgkmcnt(0)
	v_mul_f32_e32 v96, v96, v97
	buffer_store_dword v96, off, s[0:3], 0 offset:4
.LBB109_454:
	s_or_b64 exec, exec, s[4:5]
	buffer_load_dword v96, off, s[0:3], 0 offset:8
	v_cndmask_b32_e64 v97, 0, 1, s[8:9]
	v_cmp_gt_u32_e32 vcc, 2, v0
	v_cmp_ne_u32_e64 s[4:5], 1, v97
	s_waitcnt vmcnt(0)
	ds_write_b32 v94, v96
	s_waitcnt lgkmcnt(0)
	; wave barrier
	s_waitcnt lgkmcnt(0)
	s_and_saveexec_b64 s[8:9], vcc
	s_cbranch_execz .LBB109_462
; %bb.455:
	s_and_b64 vcc, exec, s[4:5]
	s_cbranch_vccnz .LBB109_457
; %bb.456:
	buffer_load_dword v96, v95, s[0:3], 0 offen
	ds_read_b32 v97, v94
	s_waitcnt vmcnt(0) lgkmcnt(0)
	v_mul_f32_e32 v96, v96, v97
	s_cbranch_execz .LBB109_458
	s_branch .LBB109_459
.LBB109_457:
                                        ; implicit-def: $vgpr96
.LBB109_458:
	ds_read_b32 v96, v94
.LBB109_459:
	s_and_saveexec_b64 s[10:11], s[6:7]
	s_cbranch_execz .LBB109_461
; %bb.460:
	buffer_load_dword v97, v95, s[0:3], 0 offen offset:4
	ds_read_b32 v98, v94 offset:4
	s_waitcnt vmcnt(0) lgkmcnt(0)
	v_fmac_f32_e32 v96, v97, v98
.LBB109_461:
	s_or_b64 exec, exec, s[10:11]
	v_mov_b32_e32 v97, 0
	ds_read_b32 v97, v97 offset:8
	s_waitcnt lgkmcnt(0)
	v_mul_f32_e32 v96, v96, v97
	buffer_store_dword v96, off, s[0:3], 0 offset:8
.LBB109_462:
	s_or_b64 exec, exec, s[8:9]
	buffer_load_dword v96, off, s[0:3], 0 offset:12
	v_cmp_gt_u32_e32 vcc, 3, v0
	s_waitcnt vmcnt(0)
	ds_write_b32 v94, v96
	s_waitcnt lgkmcnt(0)
	; wave barrier
	s_waitcnt lgkmcnt(0)
	s_and_saveexec_b64 s[8:9], vcc
	s_cbranch_execz .LBB109_470
; %bb.463:
	s_and_b64 vcc, exec, s[4:5]
	s_cbranch_vccnz .LBB109_465
; %bb.464:
	buffer_load_dword v96, v95, s[0:3], 0 offen
	ds_read_b32 v97, v94
	s_waitcnt vmcnt(0) lgkmcnt(0)
	v_mul_f32_e32 v96, v96, v97
	s_cbranch_execz .LBB109_466
	s_branch .LBB109_467
.LBB109_465:
                                        ; implicit-def: $vgpr96
.LBB109_466:
	ds_read_b32 v96, v94
.LBB109_467:
	v_cmp_ne_u32_e32 vcc, 2, v0
	s_and_saveexec_b64 s[10:11], vcc
	s_cbranch_execz .LBB109_469
; %bb.468:
	buffer_load_dword v97, v95, s[0:3], 0 offen offset:4
	buffer_load_dword v98, off, s[0:3], 0 offset:8
	v_mov_b32_e32 v99, 0
	ds_read_b32 v100, v94 offset:4
	ds_read_b32 v99, v99 offset:200
	s_waitcnt vmcnt(1) lgkmcnt(1)
	v_fmac_f32_e32 v96, v97, v100
	s_waitcnt vmcnt(0) lgkmcnt(0)
	v_fma_f32 v97, v98, v99, v96
	v_cndmask_b32_e64 v96, v96, v97, s[6:7]
.LBB109_469:
	s_or_b64 exec, exec, s[10:11]
	v_mov_b32_e32 v97, 0
	ds_read_b32 v97, v97 offset:12
	s_waitcnt lgkmcnt(0)
	v_mul_f32_e32 v96, v96, v97
	buffer_store_dword v96, off, s[0:3], 0 offset:12
.LBB109_470:
	s_or_b64 exec, exec, s[8:9]
	buffer_load_dword v96, off, s[0:3], 0 offset:16
	v_cmp_gt_u32_e32 vcc, 4, v0
	s_waitcnt vmcnt(0)
	ds_write_b32 v94, v96
	s_waitcnt lgkmcnt(0)
	; wave barrier
	s_waitcnt lgkmcnt(0)
	s_and_saveexec_b64 s[6:7], vcc
	s_cbranch_execz .LBB109_480
; %bb.471:
	s_and_b64 vcc, exec, s[4:5]
	s_cbranch_vccnz .LBB109_473
; %bb.472:
	buffer_load_dword v96, v95, s[0:3], 0 offen
	ds_read_b32 v97, v94
	s_waitcnt vmcnt(0) lgkmcnt(0)
	v_mul_f32_e32 v96, v96, v97
	s_cbranch_execz .LBB109_474
	s_branch .LBB109_475
.LBB109_473:
                                        ; implicit-def: $vgpr96
.LBB109_474:
	ds_read_b32 v96, v94
.LBB109_475:
	v_cmp_ne_u32_e32 vcc, 3, v0
	s_and_saveexec_b64 s[8:9], vcc
	s_cbranch_execz .LBB109_479
; %bb.476:
	v_mov_b32_e32 v98, 0
	v_add_u32_e32 v97, 0xc4, v1
	v_add3_u32 v98, v1, v98, 4
	s_mov_b64 s[10:11], 0
	v_mov_b32_e32 v99, v0
.LBB109_477:                            ; =>This Inner Loop Header: Depth=1
	buffer_load_dword v100, v98, s[0:3], 0 offen
	ds_read_b32 v101, v97
	v_add_u32_e32 v99, 1, v99
	v_cmp_lt_u32_e32 vcc, 2, v99
	v_add_u32_e32 v97, 4, v97
	v_add_u32_e32 v98, 4, v98
	s_or_b64 s[10:11], vcc, s[10:11]
	s_waitcnt vmcnt(0) lgkmcnt(0)
	v_fmac_f32_e32 v96, v100, v101
	s_andn2_b64 exec, exec, s[10:11]
	s_cbranch_execnz .LBB109_477
; %bb.478:
	s_or_b64 exec, exec, s[10:11]
.LBB109_479:
	s_or_b64 exec, exec, s[8:9]
	v_mov_b32_e32 v97, 0
	ds_read_b32 v97, v97 offset:16
	s_waitcnt lgkmcnt(0)
	v_mul_f32_e32 v96, v96, v97
	buffer_store_dword v96, off, s[0:3], 0 offset:16
.LBB109_480:
	s_or_b64 exec, exec, s[6:7]
	buffer_load_dword v96, off, s[0:3], 0 offset:20
	v_cmp_gt_u32_e32 vcc, 5, v0
	s_waitcnt vmcnt(0)
	ds_write_b32 v94, v96
	s_waitcnt lgkmcnt(0)
	; wave barrier
	s_waitcnt lgkmcnt(0)
	s_and_saveexec_b64 s[6:7], vcc
	s_cbranch_execz .LBB109_490
; %bb.481:
	s_and_b64 vcc, exec, s[4:5]
	s_cbranch_vccnz .LBB109_483
; %bb.482:
	buffer_load_dword v96, v95, s[0:3], 0 offen
	ds_read_b32 v97, v94
	s_waitcnt vmcnt(0) lgkmcnt(0)
	v_mul_f32_e32 v96, v96, v97
	s_cbranch_execz .LBB109_484
	s_branch .LBB109_485
.LBB109_483:
                                        ; implicit-def: $vgpr96
.LBB109_484:
	ds_read_b32 v96, v94
.LBB109_485:
	v_cmp_ne_u32_e32 vcc, 4, v0
	s_and_saveexec_b64 s[8:9], vcc
	s_cbranch_execz .LBB109_489
; %bb.486:
	v_mov_b32_e32 v98, 0
	v_add_u32_e32 v97, 0xc4, v1
	v_add3_u32 v98, v1, v98, 4
	s_mov_b64 s[10:11], 0
	v_mov_b32_e32 v99, v0
.LBB109_487:                            ; =>This Inner Loop Header: Depth=1
	buffer_load_dword v100, v98, s[0:3], 0 offen
	ds_read_b32 v101, v97
	v_add_u32_e32 v99, 1, v99
	v_cmp_lt_u32_e32 vcc, 3, v99
	v_add_u32_e32 v97, 4, v97
	v_add_u32_e32 v98, 4, v98
	s_or_b64 s[10:11], vcc, s[10:11]
	s_waitcnt vmcnt(0) lgkmcnt(0)
	v_fmac_f32_e32 v96, v100, v101
	s_andn2_b64 exec, exec, s[10:11]
	s_cbranch_execnz .LBB109_487
; %bb.488:
	s_or_b64 exec, exec, s[10:11]
.LBB109_489:
	s_or_b64 exec, exec, s[8:9]
	v_mov_b32_e32 v97, 0
	ds_read_b32 v97, v97 offset:20
	s_waitcnt lgkmcnt(0)
	v_mul_f32_e32 v96, v96, v97
	buffer_store_dword v96, off, s[0:3], 0 offset:20
.LBB109_490:
	;; [unrolled: 56-line block ×40, first 2 shown]
	s_or_b64 exec, exec, s[6:7]
	buffer_load_dword v96, off, s[0:3], 0 offset:176
	v_cmp_gt_u32_e64 s[6:7], 44, v0
	s_waitcnt vmcnt(0)
	ds_write_b32 v94, v96
	s_waitcnt lgkmcnt(0)
	; wave barrier
	s_waitcnt lgkmcnt(0)
	s_and_saveexec_b64 s[8:9], s[6:7]
	s_cbranch_execz .LBB109_880
; %bb.871:
	s_and_b64 vcc, exec, s[4:5]
	s_cbranch_vccnz .LBB109_873
; %bb.872:
	buffer_load_dword v96, v95, s[0:3], 0 offen
	ds_read_b32 v97, v94
	s_waitcnt vmcnt(0) lgkmcnt(0)
	v_mul_f32_e32 v96, v96, v97
	s_cbranch_execz .LBB109_874
	s_branch .LBB109_875
.LBB109_873:
                                        ; implicit-def: $vgpr96
.LBB109_874:
	ds_read_b32 v96, v94
.LBB109_875:
	v_cmp_ne_u32_e32 vcc, 43, v0
	s_and_saveexec_b64 s[10:11], vcc
	s_cbranch_execz .LBB109_879
; %bb.876:
	v_mov_b32_e32 v98, 0
	v_add_u32_e32 v97, 0xc4, v1
	v_add3_u32 v98, v1, v98, 4
	s_mov_b64 s[12:13], 0
	v_mov_b32_e32 v99, v0
.LBB109_877:                            ; =>This Inner Loop Header: Depth=1
	buffer_load_dword v100, v98, s[0:3], 0 offen
	ds_read_b32 v101, v97
	v_add_u32_e32 v99, 1, v99
	v_cmp_lt_u32_e32 vcc, 42, v99
	v_add_u32_e32 v97, 4, v97
	v_add_u32_e32 v98, 4, v98
	s_or_b64 s[12:13], vcc, s[12:13]
	s_waitcnt vmcnt(0) lgkmcnt(0)
	v_fmac_f32_e32 v96, v100, v101
	s_andn2_b64 exec, exec, s[12:13]
	s_cbranch_execnz .LBB109_877
; %bb.878:
	s_or_b64 exec, exec, s[12:13]
.LBB109_879:
	s_or_b64 exec, exec, s[10:11]
	v_mov_b32_e32 v97, 0
	ds_read_b32 v97, v97 offset:176
	s_waitcnt lgkmcnt(0)
	v_mul_f32_e32 v96, v96, v97
	buffer_store_dword v96, off, s[0:3], 0 offset:176
.LBB109_880:
	s_or_b64 exec, exec, s[8:9]
	buffer_load_dword v96, off, s[0:3], 0 offset:180
	v_cmp_ne_u32_e32 vcc, 45, v0
	s_waitcnt vmcnt(0)
	ds_write_b32 v94, v96
	s_waitcnt lgkmcnt(0)
	; wave barrier
	s_waitcnt lgkmcnt(0)
	s_and_saveexec_b64 s[8:9], vcc
	s_cbranch_execz .LBB109_890
; %bb.881:
	s_and_b64 vcc, exec, s[4:5]
	s_cbranch_vccnz .LBB109_883
; %bb.882:
	buffer_load_dword v95, v95, s[0:3], 0 offen
	ds_read_b32 v96, v94
	s_waitcnt vmcnt(0) lgkmcnt(0)
	v_mul_f32_e32 v95, v95, v96
	s_cbranch_execz .LBB109_884
	s_branch .LBB109_885
.LBB109_883:
                                        ; implicit-def: $vgpr95
.LBB109_884:
	ds_read_b32 v95, v94
.LBB109_885:
	s_and_saveexec_b64 s[4:5], s[6:7]
	s_cbranch_execz .LBB109_889
; %bb.886:
	v_mov_b32_e32 v96, 0
	v_add_u32_e32 v94, 0xc4, v1
	v_add3_u32 v1, v1, v96, 4
	s_mov_b64 s[6:7], 0
.LBB109_887:                            ; =>This Inner Loop Header: Depth=1
	buffer_load_dword v96, v1, s[0:3], 0 offen
	ds_read_b32 v97, v94
	v_add_u32_e32 v0, 1, v0
	v_cmp_lt_u32_e32 vcc, 43, v0
	v_add_u32_e32 v94, 4, v94
	v_add_u32_e32 v1, 4, v1
	s_or_b64 s[6:7], vcc, s[6:7]
	s_waitcnt vmcnt(0) lgkmcnt(0)
	v_fmac_f32_e32 v95, v96, v97
	s_andn2_b64 exec, exec, s[6:7]
	s_cbranch_execnz .LBB109_887
; %bb.888:
	s_or_b64 exec, exec, s[6:7]
.LBB109_889:
	s_or_b64 exec, exec, s[4:5]
	v_mov_b32_e32 v0, 0
	ds_read_b32 v0, v0 offset:180
	s_waitcnt lgkmcnt(0)
	v_mul_f32_e32 v0, v95, v0
	buffer_store_dword v0, off, s[0:3], 0 offset:180
.LBB109_890:
	s_or_b64 exec, exec, s[8:9]
.LBB109_891:
	buffer_load_dword v0, off, s[0:3], 0
	buffer_load_dword v1, off, s[0:3], 0 offset:4
	buffer_load_dword v94, off, s[0:3], 0 offset:8
	buffer_load_dword v95, off, s[0:3], 0 offset:12
	buffer_load_dword v96, off, s[0:3], 0 offset:16
	buffer_load_dword v97, off, s[0:3], 0 offset:20
	buffer_load_dword v98, off, s[0:3], 0 offset:24
	buffer_load_dword v99, off, s[0:3], 0 offset:28
	buffer_load_dword v100, off, s[0:3], 0 offset:32
	buffer_load_dword v101, off, s[0:3], 0 offset:36
	buffer_load_dword v102, off, s[0:3], 0 offset:40
	buffer_load_dword v103, off, s[0:3], 0 offset:44
	buffer_load_dword v104, off, s[0:3], 0 offset:48
	buffer_load_dword v105, off, s[0:3], 0 offset:52
	buffer_load_dword v106, off, s[0:3], 0 offset:56
	buffer_load_dword v107, off, s[0:3], 0 offset:60
	buffer_load_dword v108, off, s[0:3], 0 offset:64
	buffer_load_dword v109, off, s[0:3], 0 offset:68
	buffer_load_dword v110, off, s[0:3], 0 offset:72
	buffer_load_dword v111, off, s[0:3], 0 offset:76
	buffer_load_dword v112, off, s[0:3], 0 offset:80
	buffer_load_dword v113, off, s[0:3], 0 offset:84
	buffer_load_dword v114, off, s[0:3], 0 offset:88
	buffer_load_dword v115, off, s[0:3], 0 offset:92
	buffer_load_dword v116, off, s[0:3], 0 offset:96
	buffer_load_dword v117, off, s[0:3], 0 offset:100
	buffer_load_dword v118, off, s[0:3], 0 offset:104
	buffer_load_dword v119, off, s[0:3], 0 offset:108
	buffer_load_dword v120, off, s[0:3], 0 offset:112
	buffer_load_dword v121, off, s[0:3], 0 offset:116
	buffer_load_dword v122, off, s[0:3], 0 offset:120
	buffer_load_dword v123, off, s[0:3], 0 offset:124
	s_waitcnt vmcnt(31)
	global_store_dword v[78:79], v0, off
	s_waitcnt vmcnt(31)
	global_store_dword v[82:83], v1, off
	;; [unrolled: 2-line block ×3, first 2 shown]
	buffer_load_dword v0, off, s[0:3], 0 offset:128
	buffer_load_dword v1, off, s[0:3], 0 offset:132
	s_nop 0
	buffer_load_dword v4, off, s[0:3], 0 offset:136
	buffer_load_dword v5, off, s[0:3], 0 offset:140
	buffer_load_dword v78, off, s[0:3], 0 offset:144
	buffer_load_dword v79, off, s[0:3], 0 offset:148
	buffer_load_dword v82, off, s[0:3], 0 offset:152
	buffer_load_dword v83, off, s[0:3], 0 offset:156
	s_waitcnt vmcnt(39)
	global_store_dword v[2:3], v95, off
	s_waitcnt vmcnt(39)
	global_store_dword v[8:9], v96, off
	buffer_load_dword v2, off, s[0:3], 0 offset:160
	buffer_load_dword v3, off, s[0:3], 0 offset:164
	s_nop 0
	buffer_load_dword v8, off, s[0:3], 0 offset:168
	buffer_load_dword v9, off, s[0:3], 0 offset:172
	;; [unrolled: 1-line block ×4, first 2 shown]
	s_waitcnt vmcnt(45)
	global_store_dword v[6:7], v97, off
	s_waitcnt vmcnt(45)
	global_store_dword v[10:11], v98, off
	;; [unrolled: 2-line block ×41, first 2 shown]
.LBB109_892:
	s_endpgm
	.section	.rodata,"a",@progbits
	.p2align	6, 0x0
	.amdhsa_kernel _ZN9rocsolver6v33100L18trti2_kernel_smallILi46EfPKPfEEv13rocblas_fill_17rocblas_diagonal_T1_iil
		.amdhsa_group_segment_fixed_size 376
		.amdhsa_private_segment_fixed_size 192
		.amdhsa_kernarg_size 32
		.amdhsa_user_sgpr_count 8
		.amdhsa_user_sgpr_private_segment_buffer 1
		.amdhsa_user_sgpr_dispatch_ptr 0
		.amdhsa_user_sgpr_queue_ptr 0
		.amdhsa_user_sgpr_kernarg_segment_ptr 1
		.amdhsa_user_sgpr_dispatch_id 0
		.amdhsa_user_sgpr_flat_scratch_init 1
		.amdhsa_user_sgpr_kernarg_preload_length 0
		.amdhsa_user_sgpr_kernarg_preload_offset 0
		.amdhsa_user_sgpr_private_segment_size 0
		.amdhsa_uses_dynamic_stack 0
		.amdhsa_system_sgpr_private_segment_wavefront_offset 1
		.amdhsa_system_sgpr_workgroup_id_x 1
		.amdhsa_system_sgpr_workgroup_id_y 0
		.amdhsa_system_sgpr_workgroup_id_z 0
		.amdhsa_system_sgpr_workgroup_info 0
		.amdhsa_system_vgpr_workitem_id 0
		.amdhsa_next_free_vgpr 124
		.amdhsa_next_free_sgpr 16
		.amdhsa_accum_offset 124
		.amdhsa_reserve_vcc 1
		.amdhsa_reserve_flat_scratch 0
		.amdhsa_float_round_mode_32 0
		.amdhsa_float_round_mode_16_64 0
		.amdhsa_float_denorm_mode_32 3
		.amdhsa_float_denorm_mode_16_64 3
		.amdhsa_dx10_clamp 1
		.amdhsa_ieee_mode 1
		.amdhsa_fp16_overflow 0
		.amdhsa_tg_split 0
		.amdhsa_exception_fp_ieee_invalid_op 0
		.amdhsa_exception_fp_denorm_src 0
		.amdhsa_exception_fp_ieee_div_zero 0
		.amdhsa_exception_fp_ieee_overflow 0
		.amdhsa_exception_fp_ieee_underflow 0
		.amdhsa_exception_fp_ieee_inexact 0
		.amdhsa_exception_int_div_zero 0
	.end_amdhsa_kernel
	.section	.text._ZN9rocsolver6v33100L18trti2_kernel_smallILi46EfPKPfEEv13rocblas_fill_17rocblas_diagonal_T1_iil,"axG",@progbits,_ZN9rocsolver6v33100L18trti2_kernel_smallILi46EfPKPfEEv13rocblas_fill_17rocblas_diagonal_T1_iil,comdat
.Lfunc_end109:
	.size	_ZN9rocsolver6v33100L18trti2_kernel_smallILi46EfPKPfEEv13rocblas_fill_17rocblas_diagonal_T1_iil, .Lfunc_end109-_ZN9rocsolver6v33100L18trti2_kernel_smallILi46EfPKPfEEv13rocblas_fill_17rocblas_diagonal_T1_iil
                                        ; -- End function
	.section	.AMDGPU.csdata,"",@progbits
; Kernel info:
; codeLenInByte = 22492
; NumSgprs: 20
; NumVgprs: 124
; NumAgprs: 0
; TotalNumVgprs: 124
; ScratchSize: 192
; MemoryBound: 0
; FloatMode: 240
; IeeeMode: 1
; LDSByteSize: 376 bytes/workgroup (compile time only)
; SGPRBlocks: 2
; VGPRBlocks: 15
; NumSGPRsForWavesPerEU: 20
; NumVGPRsForWavesPerEU: 124
; AccumOffset: 124
; Occupancy: 4
; WaveLimiterHint : 1
; COMPUTE_PGM_RSRC2:SCRATCH_EN: 1
; COMPUTE_PGM_RSRC2:USER_SGPR: 8
; COMPUTE_PGM_RSRC2:TRAP_HANDLER: 0
; COMPUTE_PGM_RSRC2:TGID_X_EN: 1
; COMPUTE_PGM_RSRC2:TGID_Y_EN: 0
; COMPUTE_PGM_RSRC2:TGID_Z_EN: 0
; COMPUTE_PGM_RSRC2:TIDIG_COMP_CNT: 0
; COMPUTE_PGM_RSRC3_GFX90A:ACCUM_OFFSET: 30
; COMPUTE_PGM_RSRC3_GFX90A:TG_SPLIT: 0
	.section	.text._ZN9rocsolver6v33100L18trti2_kernel_smallILi47EfPKPfEEv13rocblas_fill_17rocblas_diagonal_T1_iil,"axG",@progbits,_ZN9rocsolver6v33100L18trti2_kernel_smallILi47EfPKPfEEv13rocblas_fill_17rocblas_diagonal_T1_iil,comdat
	.globl	_ZN9rocsolver6v33100L18trti2_kernel_smallILi47EfPKPfEEv13rocblas_fill_17rocblas_diagonal_T1_iil ; -- Begin function _ZN9rocsolver6v33100L18trti2_kernel_smallILi47EfPKPfEEv13rocblas_fill_17rocblas_diagonal_T1_iil
	.p2align	8
	.type	_ZN9rocsolver6v33100L18trti2_kernel_smallILi47EfPKPfEEv13rocblas_fill_17rocblas_diagonal_T1_iil,@function
_ZN9rocsolver6v33100L18trti2_kernel_smallILi47EfPKPfEEv13rocblas_fill_17rocblas_diagonal_T1_iil: ; @_ZN9rocsolver6v33100L18trti2_kernel_smallILi47EfPKPfEEv13rocblas_fill_17rocblas_diagonal_T1_iil
; %bb.0:
	s_add_u32 s0, s0, s9
	s_addc_u32 s1, s1, 0
	v_cmp_gt_u32_e32 vcc, 47, v0
	s_and_saveexec_b64 s[6:7], vcc
	s_cbranch_execz .LBB110_912
; %bb.1:
	s_load_dwordx2 s[6:7], s[4:5], 0x10
	s_load_dwordx4 s[12:15], s[4:5], 0x0
	s_ashr_i32 s9, s8, 31
	s_lshl_b64 s[4:5], s[8:9], 3
	s_waitcnt lgkmcnt(0)
	s_ashr_i32 s9, s6, 31
	s_add_u32 s4, s14, s4
	s_addc_u32 s5, s15, s5
	s_load_dwordx2 s[4:5], s[4:5], 0x0
	s_mov_b32 s8, s6
	s_lshl_b64 s[8:9], s[8:9], 2
	s_waitcnt lgkmcnt(0)
	s_add_u32 s4, s4, s8
	s_addc_u32 s5, s5, s9
	s_add_i32 s6, s7, s7
	v_add_u32_e32 v4, s6, v0
	v_ashrrev_i32_e32 v5, 31, v4
	v_lshlrev_b64 v[2:3], 2, v[4:5]
	v_add_u32_e32 v4, s7, v4
	v_mov_b32_e32 v1, s5
	v_add_co_u32_e32 v2, vcc, s4, v2
	v_ashrrev_i32_e32 v5, 31, v4
	v_addc_co_u32_e32 v3, vcc, v1, v3, vcc
	v_lshlrev_b64 v[6:7], 2, v[4:5]
	v_add_u32_e32 v8, s7, v4
	v_add_co_u32_e32 v6, vcc, s4, v6
	v_ashrrev_i32_e32 v9, 31, v8
	v_addc_co_u32_e32 v7, vcc, v1, v7, vcc
	v_lshlrev_b64 v[4:5], 2, v[8:9]
	v_add_u32_e32 v8, s7, v8
	;; [unrolled: 5-line block ×34, first 2 shown]
	v_add_co_u32_e32 v70, vcc, s4, v70
	v_ashrrev_i32_e32 v75, 31, v74
	v_addc_co_u32_e32 v71, vcc, v1, v71, vcc
	v_lshlrev_b64 v[72:73], 2, v[74:75]
	v_add_co_u32_e32 v72, vcc, s4, v72
	v_add_u32_e32 v76, s7, v74
	v_addc_co_u32_e32 v73, vcc, v1, v73, vcc
	v_ashrrev_i32_e32 v77, 31, v76
	v_lshlrev_b32_e32 v1, 2, v0
	v_lshlrev_b64 v[74:75], 2, v[76:77]
	v_mov_b32_e32 v77, s5
	v_add_co_u32_e32 v84, vcc, s4, v1
	s_ashr_i32 s9, s7, 31
	s_mov_b32 s8, s7
	v_addc_co_u32_e32 v85, vcc, 0, v77, vcc
	s_lshl_b64 s[8:9], s[8:9], 2
	v_mov_b32_e32 v77, s9
	v_add_co_u32_e32 v82, vcc, s8, v84
	v_addc_co_u32_e32 v83, vcc, v85, v77, vcc
	global_load_dword v96, v1, s[4:5]
	global_load_dword v97, v[82:83], off
	global_load_dword v98, v[2:3], off
	;; [unrolled: 1-line block ×18, first 2 shown]
	v_mov_b32_e32 v78, s5
	v_add_co_u32_e32 v74, vcc, s4, v74
	v_addc_co_u32_e32 v75, vcc, v78, v75, vcc
	v_add_u32_e32 v78, s7, v76
	v_ashrrev_i32_e32 v79, 31, v78
	v_lshlrev_b64 v[76:77], 2, v[78:79]
	v_mov_b32_e32 v80, s5
	v_add_co_u32_e32 v76, vcc, s4, v76
	v_addc_co_u32_e32 v77, vcc, v80, v77, vcc
	v_add_u32_e32 v80, s7, v78
	v_ashrrev_i32_e32 v81, 31, v80
	v_lshlrev_b64 v[78:79], 2, v[80:81]
	;; [unrolled: 6-line block ×7, first 2 shown]
	v_add_u32_e32 v94, s7, v94
	v_mov_b32_e32 v115, s5
	v_add_co_u32_e32 v92, vcc, s4, v92
	v_ashrrev_i32_e32 v95, 31, v94
	v_addc_co_u32_e32 v93, vcc, v115, v93, vcc
	v_lshlrev_b64 v[94:95], 2, v[94:95]
	v_add_co_u32_e32 v94, vcc, s4, v94
	v_addc_co_u32_e32 v95, vcc, v115, v95, vcc
	global_load_dword v115, v[94:95], off
	s_waitcnt vmcnt(19)
	buffer_store_dword v96, off, s[0:3], 0
	s_waitcnt vmcnt(19)
	buffer_store_dword v97, off, s[0:3], 0 offset:4
	s_waitcnt vmcnt(19)
	buffer_store_dword v98, off, s[0:3], 0 offset:8
	;; [unrolled: 2-line block ×11, first 2 shown]
	buffer_store_dword v106, off, s[0:3], 0 offset:48
	buffer_store_dword v107, off, s[0:3], 0 offset:52
	;; [unrolled: 1-line block ×3, first 2 shown]
	global_load_dword v96, v[36:37], off
	global_load_dword v97, v[46:47], off
	;; [unrolled: 1-line block ×22, first 2 shown]
	s_nop 0
	buffer_store_dword v109, off, s[0:3], 0 offset:60
	buffer_store_dword v110, off, s[0:3], 0 offset:64
	s_waitcnt vmcnt(41)
	buffer_store_dword v113, off, s[0:3], 0 offset:68
	s_waitcnt vmcnt(41)
	buffer_store_dword v114, off, s[0:3], 0 offset:72
	global_load_dword v109, v[80:81], off
	global_load_dword v110, v[90:91], off
	;; [unrolled: 1-line block ×3, first 2 shown]
	s_nop 0
	global_load_dword v114, v[86:87], off
	global_load_dword v123, v[92:93], off
	s_cmpk_lg_i32 s13, 0x84
	s_waitcnt vmcnt(30)
	buffer_store_dword v96, off, s[0:3], 0 offset:76
	s_waitcnt vmcnt(27)
	buffer_store_dword v100, off, s[0:3], 0 offset:84
	s_waitcnt vmcnt(27)
	buffer_store_dword v101, off, s[0:3], 0 offset:80
	buffer_store_dword v98, off, s[0:3], 0 offset:92
	buffer_store_dword v99, off, s[0:3], 0 offset:88
	s_waitcnt vmcnt(29)
	buffer_store_dword v102, off, s[0:3], 0 offset:100
	buffer_store_dword v97, off, s[0:3], 0 offset:96
	s_waitcnt vmcnt(25)
	buffer_store_dword v108, off, s[0:3], 0 offset:108
	s_waitcnt vmcnt(25)
	buffer_store_dword v111, off, s[0:3], 0 offset:104
	buffer_store_dword v106, off, s[0:3], 0 offset:116
	;; [unrolled: 1-line block ×5, first 2 shown]
	s_waitcnt vmcnt(29)
	buffer_store_dword v112, off, s[0:3], 0 offset:132
	buffer_store_dword v103, off, s[0:3], 0 offset:128
	s_waitcnt vmcnt(25)
	buffer_store_dword v121, off, s[0:3], 0 offset:140
	s_waitcnt vmcnt(25)
	buffer_store_dword v122, off, s[0:3], 0 offset:136
	buffer_store_dword v119, off, s[0:3], 0 offset:148
	buffer_store_dword v120, off, s[0:3], 0 offset:144
	buffer_store_dword v117, off, s[0:3], 0 offset:156
	buffer_store_dword v118, off, s[0:3], 0 offset:152
	s_waitcnt vmcnt(25)
	buffer_store_dword v109, off, s[0:3], 0 offset:164
	buffer_store_dword v116, off, s[0:3], 0 offset:160
	s_waitcnt vmcnt(25)
	buffer_store_dword v113, off, s[0:3], 0 offset:172
	s_waitcnt vmcnt(25)
	;; [unrolled: 2-line block ×3, first 2 shown]
	buffer_store_dword v123, off, s[0:3], 0 offset:180
	buffer_store_dword v110, off, s[0:3], 0 offset:176
	;; [unrolled: 1-line block ×3, first 2 shown]
	s_cselect_b64 s[10:11], -1, 0
	s_cmpk_eq_i32 s13, 0x84
	v_mov_b32_e32 v119, 0
	v_mov_b32_e32 v96, -1.0
	s_cbranch_scc1 .LBB110_3
; %bb.2:
	v_lshl_add_u32 v96, v0, 2, v119
	buffer_load_dword v97, v96, s[0:3], 0 offen
	s_waitcnt vmcnt(0)
	v_div_scale_f32 v98, s[4:5], v97, v97, 1.0
	v_rcp_f32_e32 v99, v98
	v_div_scale_f32 v100, vcc, 1.0, v97, 1.0
	v_fma_f32 v101, -v98, v99, 1.0
	v_fmac_f32_e32 v99, v101, v99
	v_mul_f32_e32 v101, v100, v99
	v_fma_f32 v102, -v98, v101, v100
	v_fmac_f32_e32 v101, v102, v99
	v_fma_f32 v98, -v98, v101, v100
	v_div_fmas_f32 v98, v98, v99, v101
	v_div_fixup_f32 v97, v98, v97, 1.0
	buffer_store_dword v97, v96, s[0:3], 0 offen
	v_xor_b32_e32 v96, 0x80000000, v97
.LBB110_3:
	ds_write_b32 v1, v96
	s_cmpk_eq_i32 s12, 0x79
	v_add_u32_e32 v96, 0xc0, v1
	v_add_u32_e32 v97, 0, v1
	s_mov_b64 s[4:5], -1
	s_cbranch_scc1 .LBB110_457
; %bb.4:
	buffer_load_dword v98, off, s[0:3], 0 offset:180
	v_cmp_eq_u32_e64 s[4:5], 46, v0
	s_waitcnt vmcnt(0)
	ds_write_b32 v96, v98
	s_waitcnt lgkmcnt(0)
	; wave barrier
	s_waitcnt lgkmcnt(0)
	s_and_saveexec_b64 s[6:7], s[4:5]
	s_cbranch_execz .LBB110_10
; %bb.5:
	s_and_b64 vcc, exec, s[10:11]
	s_cbranch_vccz .LBB110_7
; %bb.6:
	buffer_load_dword v98, v97, s[0:3], 0 offen
	ds_read_b32 v99, v96
	s_waitcnt vmcnt(0) lgkmcnt(0)
	v_mul_f32_e32 v98, v98, v99
	s_cbranch_execz .LBB110_8
	s_branch .LBB110_9
.LBB110_7:
                                        ; implicit-def: $vgpr98
.LBB110_8:
	ds_read_b32 v98, v96
.LBB110_9:
	v_mov_b32_e32 v99, 0
	ds_read_b32 v99, v99 offset:180
	s_waitcnt lgkmcnt(0)
	v_mul_f32_e32 v98, v98, v99
	buffer_store_dword v98, off, s[0:3], 0 offset:180
.LBB110_10:
	s_or_b64 exec, exec, s[6:7]
	buffer_load_dword v120, off, s[0:3], 0 offset:176
	v_or_b32_e32 v98, 8, v119
	v_add_u32_e32 v99, 16, v119
	v_add_u32_e32 v100, 24, v119
	;; [unrolled: 1-line block ×21, first 2 shown]
	v_cmp_lt_u32_e64 s[8:9], 44, v0
	s_waitcnt vmcnt(0)
	ds_write_b32 v96, v120
	s_waitcnt lgkmcnt(0)
	; wave barrier
	s_waitcnt lgkmcnt(0)
	s_and_saveexec_b64 s[6:7], s[8:9]
	s_cbranch_execz .LBB110_16
; %bb.11:
	s_andn2_b64 vcc, exec, s[10:11]
	s_cbranch_vccnz .LBB110_13
; %bb.12:
	buffer_load_dword v120, v97, s[0:3], 0 offen
	ds_read_b32 v121, v96
	s_waitcnt vmcnt(0) lgkmcnt(0)
	v_mul_f32_e32 v120, v120, v121
	s_cbranch_execz .LBB110_14
	s_branch .LBB110_15
.LBB110_13:
                                        ; implicit-def: $vgpr120
.LBB110_14:
	ds_read_b32 v120, v96
.LBB110_15:
	buffer_load_dword v121, off, s[0:3], 0 offset:180
	v_mov_b32_e32 v122, 0
	ds_read2_b32 v[122:123], v122 offset0:44 offset1:93
	s_waitcnt vmcnt(0) lgkmcnt(0)
	v_fma_f32 v121, v121, v123, v120
	v_cndmask_b32_e64 v120, v120, v121, s[4:5]
	v_mul_f32_e32 v120, v120, v122
	buffer_store_dword v120, off, s[0:3], 0 offset:176
.LBB110_16:
	s_or_b64 exec, exec, s[6:7]
	buffer_load_dword v120, off, s[0:3], 0 offset:172
	v_cmp_lt_u32_e64 s[6:7], 43, v0
	s_waitcnt vmcnt(0)
	ds_write_b32 v96, v120
	s_waitcnt lgkmcnt(0)
	; wave barrier
	s_waitcnt lgkmcnt(0)
	s_and_saveexec_b64 s[4:5], s[6:7]
	s_cbranch_execz .LBB110_26
; %bb.17:
	s_andn2_b64 vcc, exec, s[10:11]
	s_cbranch_vccnz .LBB110_19
; %bb.18:
	buffer_load_dword v120, v97, s[0:3], 0 offen
	ds_read_b32 v121, v96
	s_waitcnt vmcnt(0) lgkmcnt(0)
	v_mul_f32_e32 v120, v120, v121
	s_cbranch_execz .LBB110_20
	s_branch .LBB110_21
.LBB110_19:
                                        ; implicit-def: $vgpr120
.LBB110_20:
	ds_read_b32 v120, v96
.LBB110_21:
	s_and_saveexec_b64 s[12:13], s[8:9]
	s_cbranch_execz .LBB110_25
; %bb.22:
	v_subrev_u32_e32 v121, 44, v0
	s_movk_i32 s14, 0x170
	s_mov_b64 s[8:9], 0
.LBB110_23:                             ; =>This Inner Loop Header: Depth=1
	buffer_load_dword v122, v119, s[0:3], 0 offen
	v_mov_b32_e32 v123, s14
	ds_read_b32 v123, v123
	v_add_u32_e32 v121, -1, v121
	s_add_i32 s14, s14, 4
	v_cmp_eq_u32_e32 vcc, 0, v121
	v_add_u32_e32 v119, 4, v119
	s_or_b64 s[8:9], vcc, s[8:9]
	s_waitcnt vmcnt(0) lgkmcnt(0)
	v_fmac_f32_e32 v120, v122, v123
	s_andn2_b64 exec, exec, s[8:9]
	s_cbranch_execnz .LBB110_23
; %bb.24:
	s_or_b64 exec, exec, s[8:9]
.LBB110_25:
	s_or_b64 exec, exec, s[12:13]
	v_mov_b32_e32 v119, 0
	ds_read_b32 v119, v119 offset:172
	s_waitcnt lgkmcnt(0)
	v_mul_f32_e32 v119, v120, v119
	buffer_store_dword v119, off, s[0:3], 0 offset:172
.LBB110_26:
	s_or_b64 exec, exec, s[4:5]
	buffer_load_dword v119, off, s[0:3], 0 offset:168
	v_cmp_lt_u32_e64 s[4:5], 42, v0
	s_waitcnt vmcnt(0)
	ds_write_b32 v96, v119
	s_waitcnt lgkmcnt(0)
	; wave barrier
	s_waitcnt lgkmcnt(0)
	s_and_saveexec_b64 s[8:9], s[4:5]
	s_cbranch_execz .LBB110_36
; %bb.27:
	s_andn2_b64 vcc, exec, s[10:11]
	s_cbranch_vccnz .LBB110_29
; %bb.28:
	buffer_load_dword v119, v97, s[0:3], 0 offen
	ds_read_b32 v120, v96
	s_waitcnt vmcnt(0) lgkmcnt(0)
	v_mul_f32_e32 v119, v119, v120
	s_cbranch_execz .LBB110_30
	s_branch .LBB110_31
.LBB110_29:
                                        ; implicit-def: $vgpr119
.LBB110_30:
	ds_read_b32 v119, v96
.LBB110_31:
	s_and_saveexec_b64 s[12:13], s[6:7]
	s_cbranch_execz .LBB110_35
; %bb.32:
	v_mov_b32_e32 v120, 0
	v_add_u32_e32 v120, 0xac, v120
	v_subrev_u32_e32 v121, 43, v0
	s_movk_i32 s14, 0x16c
	s_mov_b64 s[6:7], 0
.LBB110_33:                             ; =>This Inner Loop Header: Depth=1
	buffer_load_dword v122, v120, s[0:3], 0 offen
	v_mov_b32_e32 v123, s14
	ds_read_b32 v123, v123
	v_add_u32_e32 v121, -1, v121
	s_add_i32 s14, s14, 4
	v_cmp_eq_u32_e32 vcc, 0, v121
	v_add_u32_e32 v120, 4, v120
	s_or_b64 s[6:7], vcc, s[6:7]
	s_waitcnt vmcnt(0) lgkmcnt(0)
	v_fmac_f32_e32 v119, v122, v123
	s_andn2_b64 exec, exec, s[6:7]
	s_cbranch_execnz .LBB110_33
; %bb.34:
	s_or_b64 exec, exec, s[6:7]
.LBB110_35:
	s_or_b64 exec, exec, s[12:13]
	v_mov_b32_e32 v120, 0
	ds_read_b32 v120, v120 offset:168
	s_waitcnt lgkmcnt(0)
	v_mul_f32_e32 v119, v119, v120
	buffer_store_dword v119, off, s[0:3], 0 offset:168
.LBB110_36:
	s_or_b64 exec, exec, s[8:9]
	buffer_load_dword v119, off, s[0:3], 0 offset:164
	v_cmp_lt_u32_e64 s[6:7], 41, v0
	s_waitcnt vmcnt(0)
	ds_write_b32 v96, v119
	s_waitcnt lgkmcnt(0)
	; wave barrier
	s_waitcnt lgkmcnt(0)
	s_and_saveexec_b64 s[8:9], s[6:7]
	s_cbranch_execz .LBB110_46
; %bb.37:
	s_andn2_b64 vcc, exec, s[10:11]
	s_cbranch_vccnz .LBB110_39
; %bb.38:
	buffer_load_dword v119, v97, s[0:3], 0 offen
	ds_read_b32 v120, v96
	s_waitcnt vmcnt(0) lgkmcnt(0)
	v_mul_f32_e32 v119, v119, v120
	s_cbranch_execz .LBB110_40
	s_branch .LBB110_41
.LBB110_39:
                                        ; implicit-def: $vgpr119
.LBB110_40:
	ds_read_b32 v119, v96
.LBB110_41:
	s_and_saveexec_b64 s[12:13], s[4:5]
	s_cbranch_execz .LBB110_45
; %bb.42:
	v_subrev_u32_e32 v120, 42, v0
	s_movk_i32 s14, 0x168
	s_mov_b64 s[4:5], 0
.LBB110_43:                             ; =>This Inner Loop Header: Depth=1
	buffer_load_dword v121, v118, s[0:3], 0 offen
	v_mov_b32_e32 v122, s14
	ds_read_b32 v122, v122
	v_add_u32_e32 v120, -1, v120
	s_add_i32 s14, s14, 4
	v_cmp_eq_u32_e32 vcc, 0, v120
	v_add_u32_e32 v118, 4, v118
	s_or_b64 s[4:5], vcc, s[4:5]
	s_waitcnt vmcnt(0) lgkmcnt(0)
	v_fmac_f32_e32 v119, v121, v122
	s_andn2_b64 exec, exec, s[4:5]
	s_cbranch_execnz .LBB110_43
; %bb.44:
	s_or_b64 exec, exec, s[4:5]
.LBB110_45:
	s_or_b64 exec, exec, s[12:13]
	v_mov_b32_e32 v118, 0
	ds_read_b32 v118, v118 offset:164
	s_waitcnt lgkmcnt(0)
	v_mul_f32_e32 v118, v119, v118
	buffer_store_dword v118, off, s[0:3], 0 offset:164
.LBB110_46:
	s_or_b64 exec, exec, s[8:9]
	buffer_load_dword v118, off, s[0:3], 0 offset:160
	v_cmp_lt_u32_e64 s[4:5], 40, v0
	s_waitcnt vmcnt(0)
	ds_write_b32 v96, v118
	s_waitcnt lgkmcnt(0)
	; wave barrier
	s_waitcnt lgkmcnt(0)
	s_and_saveexec_b64 s[8:9], s[4:5]
	s_cbranch_execz .LBB110_56
; %bb.47:
	s_andn2_b64 vcc, exec, s[10:11]
	s_cbranch_vccnz .LBB110_49
; %bb.48:
	buffer_load_dword v118, v97, s[0:3], 0 offen
	ds_read_b32 v119, v96
	s_waitcnt vmcnt(0) lgkmcnt(0)
	v_mul_f32_e32 v118, v118, v119
	s_cbranch_execz .LBB110_50
	s_branch .LBB110_51
.LBB110_49:
                                        ; implicit-def: $vgpr118
.LBB110_50:
	ds_read_b32 v118, v96
.LBB110_51:
	s_and_saveexec_b64 s[12:13], s[6:7]
	s_cbranch_execz .LBB110_55
; %bb.52:
	v_mov_b32_e32 v119, 0
	v_add_u32_e32 v119, 0xa4, v119
	v_subrev_u32_e32 v120, 41, v0
	s_movk_i32 s14, 0x164
	s_mov_b64 s[6:7], 0
.LBB110_53:                             ; =>This Inner Loop Header: Depth=1
	buffer_load_dword v121, v119, s[0:3], 0 offen
	v_mov_b32_e32 v122, s14
	ds_read_b32 v122, v122
	v_add_u32_e32 v120, -1, v120
	s_add_i32 s14, s14, 4
	v_cmp_eq_u32_e32 vcc, 0, v120
	v_add_u32_e32 v119, 4, v119
	s_or_b64 s[6:7], vcc, s[6:7]
	s_waitcnt vmcnt(0) lgkmcnt(0)
	v_fmac_f32_e32 v118, v121, v122
	s_andn2_b64 exec, exec, s[6:7]
	s_cbranch_execnz .LBB110_53
; %bb.54:
	s_or_b64 exec, exec, s[6:7]
.LBB110_55:
	s_or_b64 exec, exec, s[12:13]
	v_mov_b32_e32 v119, 0
	ds_read_b32 v119, v119 offset:160
	s_waitcnt lgkmcnt(0)
	v_mul_f32_e32 v118, v118, v119
	buffer_store_dword v118, off, s[0:3], 0 offset:160
.LBB110_56:
	s_or_b64 exec, exec, s[8:9]
	buffer_load_dword v118, off, s[0:3], 0 offset:156
	v_cmp_lt_u32_e64 s[6:7], 39, v0
	s_waitcnt vmcnt(0)
	ds_write_b32 v96, v118
	s_waitcnt lgkmcnt(0)
	; wave barrier
	s_waitcnt lgkmcnt(0)
	s_and_saveexec_b64 s[8:9], s[6:7]
	s_cbranch_execz .LBB110_66
; %bb.57:
	s_andn2_b64 vcc, exec, s[10:11]
	s_cbranch_vccnz .LBB110_59
; %bb.58:
	buffer_load_dword v118, v97, s[0:3], 0 offen
	ds_read_b32 v119, v96
	s_waitcnt vmcnt(0) lgkmcnt(0)
	v_mul_f32_e32 v118, v118, v119
	s_cbranch_execz .LBB110_60
	s_branch .LBB110_61
.LBB110_59:
                                        ; implicit-def: $vgpr118
.LBB110_60:
	ds_read_b32 v118, v96
.LBB110_61:
	s_and_saveexec_b64 s[12:13], s[4:5]
	s_cbranch_execz .LBB110_65
; %bb.62:
	v_subrev_u32_e32 v119, 40, v0
	s_movk_i32 s14, 0x160
	s_mov_b64 s[4:5], 0
.LBB110_63:                             ; =>This Inner Loop Header: Depth=1
	buffer_load_dword v120, v117, s[0:3], 0 offen
	v_mov_b32_e32 v121, s14
	ds_read_b32 v121, v121
	v_add_u32_e32 v119, -1, v119
	s_add_i32 s14, s14, 4
	v_cmp_eq_u32_e32 vcc, 0, v119
	v_add_u32_e32 v117, 4, v117
	s_or_b64 s[4:5], vcc, s[4:5]
	s_waitcnt vmcnt(0) lgkmcnt(0)
	v_fmac_f32_e32 v118, v120, v121
	s_andn2_b64 exec, exec, s[4:5]
	s_cbranch_execnz .LBB110_63
; %bb.64:
	s_or_b64 exec, exec, s[4:5]
.LBB110_65:
	s_or_b64 exec, exec, s[12:13]
	v_mov_b32_e32 v117, 0
	ds_read_b32 v117, v117 offset:156
	s_waitcnt lgkmcnt(0)
	v_mul_f32_e32 v117, v118, v117
	buffer_store_dword v117, off, s[0:3], 0 offset:156
.LBB110_66:
	s_or_b64 exec, exec, s[8:9]
	buffer_load_dword v117, off, s[0:3], 0 offset:152
	v_cmp_lt_u32_e64 s[4:5], 38, v0
	s_waitcnt vmcnt(0)
	ds_write_b32 v96, v117
	s_waitcnt lgkmcnt(0)
	; wave barrier
	s_waitcnt lgkmcnt(0)
	s_and_saveexec_b64 s[8:9], s[4:5]
	s_cbranch_execz .LBB110_76
; %bb.67:
	s_andn2_b64 vcc, exec, s[10:11]
	s_cbranch_vccnz .LBB110_69
; %bb.68:
	buffer_load_dword v117, v97, s[0:3], 0 offen
	ds_read_b32 v118, v96
	s_waitcnt vmcnt(0) lgkmcnt(0)
	v_mul_f32_e32 v117, v117, v118
	s_cbranch_execz .LBB110_70
	s_branch .LBB110_71
.LBB110_69:
                                        ; implicit-def: $vgpr117
.LBB110_70:
	ds_read_b32 v117, v96
.LBB110_71:
	s_and_saveexec_b64 s[12:13], s[6:7]
	s_cbranch_execz .LBB110_75
; %bb.72:
	v_mov_b32_e32 v118, 0
	v_add_u32_e32 v118, 0x9c, v118
	v_subrev_u32_e32 v119, 39, v0
	s_movk_i32 s14, 0x15c
	s_mov_b64 s[6:7], 0
.LBB110_73:                             ; =>This Inner Loop Header: Depth=1
	buffer_load_dword v120, v118, s[0:3], 0 offen
	v_mov_b32_e32 v121, s14
	ds_read_b32 v121, v121
	v_add_u32_e32 v119, -1, v119
	s_add_i32 s14, s14, 4
	v_cmp_eq_u32_e32 vcc, 0, v119
	v_add_u32_e32 v118, 4, v118
	s_or_b64 s[6:7], vcc, s[6:7]
	s_waitcnt vmcnt(0) lgkmcnt(0)
	v_fmac_f32_e32 v117, v120, v121
	s_andn2_b64 exec, exec, s[6:7]
	s_cbranch_execnz .LBB110_73
; %bb.74:
	s_or_b64 exec, exec, s[6:7]
.LBB110_75:
	s_or_b64 exec, exec, s[12:13]
	v_mov_b32_e32 v118, 0
	ds_read_b32 v118, v118 offset:152
	s_waitcnt lgkmcnt(0)
	v_mul_f32_e32 v117, v117, v118
	buffer_store_dword v117, off, s[0:3], 0 offset:152
.LBB110_76:
	s_or_b64 exec, exec, s[8:9]
	buffer_load_dword v117, off, s[0:3], 0 offset:148
	v_cmp_lt_u32_e64 s[6:7], 37, v0
	s_waitcnt vmcnt(0)
	ds_write_b32 v96, v117
	s_waitcnt lgkmcnt(0)
	; wave barrier
	s_waitcnt lgkmcnt(0)
	s_and_saveexec_b64 s[8:9], s[6:7]
	s_cbranch_execz .LBB110_86
; %bb.77:
	s_andn2_b64 vcc, exec, s[10:11]
	s_cbranch_vccnz .LBB110_79
; %bb.78:
	buffer_load_dword v117, v97, s[0:3], 0 offen
	ds_read_b32 v118, v96
	s_waitcnt vmcnt(0) lgkmcnt(0)
	v_mul_f32_e32 v117, v117, v118
	s_cbranch_execz .LBB110_80
	s_branch .LBB110_81
.LBB110_79:
                                        ; implicit-def: $vgpr117
.LBB110_80:
	ds_read_b32 v117, v96
.LBB110_81:
	s_and_saveexec_b64 s[12:13], s[4:5]
	s_cbranch_execz .LBB110_85
; %bb.82:
	v_subrev_u32_e32 v118, 38, v0
	s_movk_i32 s14, 0x158
	s_mov_b64 s[4:5], 0
.LBB110_83:                             ; =>This Inner Loop Header: Depth=1
	buffer_load_dword v119, v116, s[0:3], 0 offen
	v_mov_b32_e32 v120, s14
	ds_read_b32 v120, v120
	v_add_u32_e32 v118, -1, v118
	s_add_i32 s14, s14, 4
	v_cmp_eq_u32_e32 vcc, 0, v118
	v_add_u32_e32 v116, 4, v116
	s_or_b64 s[4:5], vcc, s[4:5]
	s_waitcnt vmcnt(0) lgkmcnt(0)
	v_fmac_f32_e32 v117, v119, v120
	s_andn2_b64 exec, exec, s[4:5]
	s_cbranch_execnz .LBB110_83
; %bb.84:
	s_or_b64 exec, exec, s[4:5]
.LBB110_85:
	s_or_b64 exec, exec, s[12:13]
	v_mov_b32_e32 v116, 0
	ds_read_b32 v116, v116 offset:148
	s_waitcnt lgkmcnt(0)
	v_mul_f32_e32 v116, v117, v116
	buffer_store_dword v116, off, s[0:3], 0 offset:148
.LBB110_86:
	s_or_b64 exec, exec, s[8:9]
	buffer_load_dword v116, off, s[0:3], 0 offset:144
	v_cmp_lt_u32_e64 s[4:5], 36, v0
	s_waitcnt vmcnt(0)
	ds_write_b32 v96, v116
	s_waitcnt lgkmcnt(0)
	; wave barrier
	s_waitcnt lgkmcnt(0)
	s_and_saveexec_b64 s[8:9], s[4:5]
	s_cbranch_execz .LBB110_96
; %bb.87:
	s_andn2_b64 vcc, exec, s[10:11]
	s_cbranch_vccnz .LBB110_89
; %bb.88:
	buffer_load_dword v116, v97, s[0:3], 0 offen
	ds_read_b32 v117, v96
	s_waitcnt vmcnt(0) lgkmcnt(0)
	v_mul_f32_e32 v116, v116, v117
	s_cbranch_execz .LBB110_90
	s_branch .LBB110_91
.LBB110_89:
                                        ; implicit-def: $vgpr116
.LBB110_90:
	ds_read_b32 v116, v96
.LBB110_91:
	s_and_saveexec_b64 s[12:13], s[6:7]
	s_cbranch_execz .LBB110_95
; %bb.92:
	v_mov_b32_e32 v117, 0
	v_add_u32_e32 v117, 0x94, v117
	v_subrev_u32_e32 v118, 37, v0
	s_movk_i32 s14, 0x154
	s_mov_b64 s[6:7], 0
.LBB110_93:                             ; =>This Inner Loop Header: Depth=1
	buffer_load_dword v119, v117, s[0:3], 0 offen
	v_mov_b32_e32 v120, s14
	ds_read_b32 v120, v120
	v_add_u32_e32 v118, -1, v118
	s_add_i32 s14, s14, 4
	v_cmp_eq_u32_e32 vcc, 0, v118
	v_add_u32_e32 v117, 4, v117
	s_or_b64 s[6:7], vcc, s[6:7]
	s_waitcnt vmcnt(0) lgkmcnt(0)
	v_fmac_f32_e32 v116, v119, v120
	s_andn2_b64 exec, exec, s[6:7]
	s_cbranch_execnz .LBB110_93
; %bb.94:
	s_or_b64 exec, exec, s[6:7]
.LBB110_95:
	s_or_b64 exec, exec, s[12:13]
	v_mov_b32_e32 v117, 0
	ds_read_b32 v117, v117 offset:144
	s_waitcnt lgkmcnt(0)
	v_mul_f32_e32 v116, v116, v117
	buffer_store_dword v116, off, s[0:3], 0 offset:144
.LBB110_96:
	s_or_b64 exec, exec, s[8:9]
	buffer_load_dword v116, off, s[0:3], 0 offset:140
	v_cmp_lt_u32_e64 s[6:7], 35, v0
	s_waitcnt vmcnt(0)
	ds_write_b32 v96, v116
	s_waitcnt lgkmcnt(0)
	; wave barrier
	s_waitcnt lgkmcnt(0)
	s_and_saveexec_b64 s[8:9], s[6:7]
	s_cbranch_execz .LBB110_106
; %bb.97:
	s_andn2_b64 vcc, exec, s[10:11]
	s_cbranch_vccnz .LBB110_99
; %bb.98:
	buffer_load_dword v116, v97, s[0:3], 0 offen
	ds_read_b32 v117, v96
	s_waitcnt vmcnt(0) lgkmcnt(0)
	v_mul_f32_e32 v116, v116, v117
	s_cbranch_execz .LBB110_100
	s_branch .LBB110_101
.LBB110_99:
                                        ; implicit-def: $vgpr116
.LBB110_100:
	ds_read_b32 v116, v96
.LBB110_101:
	s_and_saveexec_b64 s[12:13], s[4:5]
	s_cbranch_execz .LBB110_105
; %bb.102:
	v_subrev_u32_e32 v117, 36, v0
	s_movk_i32 s14, 0x150
	s_mov_b64 s[4:5], 0
.LBB110_103:                            ; =>This Inner Loop Header: Depth=1
	buffer_load_dword v118, v115, s[0:3], 0 offen
	v_mov_b32_e32 v119, s14
	ds_read_b32 v119, v119
	v_add_u32_e32 v117, -1, v117
	s_add_i32 s14, s14, 4
	v_cmp_eq_u32_e32 vcc, 0, v117
	v_add_u32_e32 v115, 4, v115
	s_or_b64 s[4:5], vcc, s[4:5]
	s_waitcnt vmcnt(0) lgkmcnt(0)
	v_fmac_f32_e32 v116, v118, v119
	s_andn2_b64 exec, exec, s[4:5]
	s_cbranch_execnz .LBB110_103
; %bb.104:
	s_or_b64 exec, exec, s[4:5]
.LBB110_105:
	s_or_b64 exec, exec, s[12:13]
	v_mov_b32_e32 v115, 0
	ds_read_b32 v115, v115 offset:140
	s_waitcnt lgkmcnt(0)
	v_mul_f32_e32 v115, v116, v115
	buffer_store_dword v115, off, s[0:3], 0 offset:140
.LBB110_106:
	s_or_b64 exec, exec, s[8:9]
	buffer_load_dword v115, off, s[0:3], 0 offset:136
	v_cmp_lt_u32_e64 s[4:5], 34, v0
	s_waitcnt vmcnt(0)
	ds_write_b32 v96, v115
	s_waitcnt lgkmcnt(0)
	; wave barrier
	s_waitcnt lgkmcnt(0)
	s_and_saveexec_b64 s[8:9], s[4:5]
	s_cbranch_execz .LBB110_116
; %bb.107:
	s_andn2_b64 vcc, exec, s[10:11]
	s_cbranch_vccnz .LBB110_109
; %bb.108:
	buffer_load_dword v115, v97, s[0:3], 0 offen
	ds_read_b32 v116, v96
	s_waitcnt vmcnt(0) lgkmcnt(0)
	v_mul_f32_e32 v115, v115, v116
	s_cbranch_execz .LBB110_110
	s_branch .LBB110_111
.LBB110_109:
                                        ; implicit-def: $vgpr115
.LBB110_110:
	ds_read_b32 v115, v96
.LBB110_111:
	s_and_saveexec_b64 s[12:13], s[6:7]
	s_cbranch_execz .LBB110_115
; %bb.112:
	v_mov_b32_e32 v116, 0
	v_add_u32_e32 v116, 0x8c, v116
	v_subrev_u32_e32 v117, 35, v0
	s_movk_i32 s14, 0x14c
	s_mov_b64 s[6:7], 0
.LBB110_113:                            ; =>This Inner Loop Header: Depth=1
	buffer_load_dword v118, v116, s[0:3], 0 offen
	v_mov_b32_e32 v119, s14
	ds_read_b32 v119, v119
	v_add_u32_e32 v117, -1, v117
	s_add_i32 s14, s14, 4
	v_cmp_eq_u32_e32 vcc, 0, v117
	v_add_u32_e32 v116, 4, v116
	s_or_b64 s[6:7], vcc, s[6:7]
	s_waitcnt vmcnt(0) lgkmcnt(0)
	v_fmac_f32_e32 v115, v118, v119
	s_andn2_b64 exec, exec, s[6:7]
	s_cbranch_execnz .LBB110_113
; %bb.114:
	s_or_b64 exec, exec, s[6:7]
.LBB110_115:
	s_or_b64 exec, exec, s[12:13]
	v_mov_b32_e32 v116, 0
	ds_read_b32 v116, v116 offset:136
	s_waitcnt lgkmcnt(0)
	v_mul_f32_e32 v115, v115, v116
	buffer_store_dword v115, off, s[0:3], 0 offset:136
.LBB110_116:
	s_or_b64 exec, exec, s[8:9]
	buffer_load_dword v115, off, s[0:3], 0 offset:132
	v_cmp_lt_u32_e64 s[6:7], 33, v0
	s_waitcnt vmcnt(0)
	ds_write_b32 v96, v115
	s_waitcnt lgkmcnt(0)
	; wave barrier
	s_waitcnt lgkmcnt(0)
	s_and_saveexec_b64 s[8:9], s[6:7]
	s_cbranch_execz .LBB110_126
; %bb.117:
	s_andn2_b64 vcc, exec, s[10:11]
	s_cbranch_vccnz .LBB110_119
; %bb.118:
	buffer_load_dword v115, v97, s[0:3], 0 offen
	ds_read_b32 v116, v96
	s_waitcnt vmcnt(0) lgkmcnt(0)
	v_mul_f32_e32 v115, v115, v116
	s_cbranch_execz .LBB110_120
	s_branch .LBB110_121
.LBB110_119:
                                        ; implicit-def: $vgpr115
.LBB110_120:
	ds_read_b32 v115, v96
.LBB110_121:
	s_and_saveexec_b64 s[12:13], s[4:5]
	s_cbranch_execz .LBB110_125
; %bb.122:
	v_subrev_u32_e32 v116, 34, v0
	s_movk_i32 s14, 0x148
	s_mov_b64 s[4:5], 0
.LBB110_123:                            ; =>This Inner Loop Header: Depth=1
	buffer_load_dword v117, v114, s[0:3], 0 offen
	v_mov_b32_e32 v118, s14
	ds_read_b32 v118, v118
	v_add_u32_e32 v116, -1, v116
	s_add_i32 s14, s14, 4
	v_cmp_eq_u32_e32 vcc, 0, v116
	v_add_u32_e32 v114, 4, v114
	s_or_b64 s[4:5], vcc, s[4:5]
	s_waitcnt vmcnt(0) lgkmcnt(0)
	v_fmac_f32_e32 v115, v117, v118
	s_andn2_b64 exec, exec, s[4:5]
	s_cbranch_execnz .LBB110_123
; %bb.124:
	s_or_b64 exec, exec, s[4:5]
.LBB110_125:
	s_or_b64 exec, exec, s[12:13]
	v_mov_b32_e32 v114, 0
	ds_read_b32 v114, v114 offset:132
	s_waitcnt lgkmcnt(0)
	v_mul_f32_e32 v114, v115, v114
	buffer_store_dword v114, off, s[0:3], 0 offset:132
.LBB110_126:
	s_or_b64 exec, exec, s[8:9]
	buffer_load_dword v114, off, s[0:3], 0 offset:128
	v_cmp_lt_u32_e64 s[4:5], 32, v0
	s_waitcnt vmcnt(0)
	ds_write_b32 v96, v114
	s_waitcnt lgkmcnt(0)
	; wave barrier
	s_waitcnt lgkmcnt(0)
	s_and_saveexec_b64 s[8:9], s[4:5]
	s_cbranch_execz .LBB110_136
; %bb.127:
	s_andn2_b64 vcc, exec, s[10:11]
	s_cbranch_vccnz .LBB110_129
; %bb.128:
	buffer_load_dword v114, v97, s[0:3], 0 offen
	ds_read_b32 v115, v96
	s_waitcnt vmcnt(0) lgkmcnt(0)
	v_mul_f32_e32 v114, v114, v115
	s_cbranch_execz .LBB110_130
	s_branch .LBB110_131
.LBB110_129:
                                        ; implicit-def: $vgpr114
.LBB110_130:
	ds_read_b32 v114, v96
.LBB110_131:
	s_and_saveexec_b64 s[12:13], s[6:7]
	s_cbranch_execz .LBB110_135
; %bb.132:
	v_mov_b32_e32 v115, 0
	v_add_u32_e32 v115, 0x84, v115
	v_subrev_u32_e32 v116, 33, v0
	s_movk_i32 s14, 0x144
	s_mov_b64 s[6:7], 0
.LBB110_133:                            ; =>This Inner Loop Header: Depth=1
	buffer_load_dword v117, v115, s[0:3], 0 offen
	v_mov_b32_e32 v118, s14
	ds_read_b32 v118, v118
	v_add_u32_e32 v116, -1, v116
	s_add_i32 s14, s14, 4
	v_cmp_eq_u32_e32 vcc, 0, v116
	v_add_u32_e32 v115, 4, v115
	s_or_b64 s[6:7], vcc, s[6:7]
	s_waitcnt vmcnt(0) lgkmcnt(0)
	v_fmac_f32_e32 v114, v117, v118
	s_andn2_b64 exec, exec, s[6:7]
	s_cbranch_execnz .LBB110_133
; %bb.134:
	s_or_b64 exec, exec, s[6:7]
.LBB110_135:
	s_or_b64 exec, exec, s[12:13]
	v_mov_b32_e32 v115, 0
	ds_read_b32 v115, v115 offset:128
	s_waitcnt lgkmcnt(0)
	v_mul_f32_e32 v114, v114, v115
	buffer_store_dword v114, off, s[0:3], 0 offset:128
.LBB110_136:
	s_or_b64 exec, exec, s[8:9]
	buffer_load_dword v114, off, s[0:3], 0 offset:124
	v_cmp_lt_u32_e64 s[6:7], 31, v0
	s_waitcnt vmcnt(0)
	ds_write_b32 v96, v114
	s_waitcnt lgkmcnt(0)
	; wave barrier
	s_waitcnt lgkmcnt(0)
	s_and_saveexec_b64 s[8:9], s[6:7]
	s_cbranch_execz .LBB110_146
; %bb.137:
	s_andn2_b64 vcc, exec, s[10:11]
	s_cbranch_vccnz .LBB110_139
; %bb.138:
	buffer_load_dword v114, v97, s[0:3], 0 offen
	ds_read_b32 v115, v96
	s_waitcnt vmcnt(0) lgkmcnt(0)
	v_mul_f32_e32 v114, v114, v115
	s_cbranch_execz .LBB110_140
	s_branch .LBB110_141
.LBB110_139:
                                        ; implicit-def: $vgpr114
.LBB110_140:
	ds_read_b32 v114, v96
.LBB110_141:
	s_and_saveexec_b64 s[12:13], s[4:5]
	s_cbranch_execz .LBB110_145
; %bb.142:
	v_subrev_u32_e32 v115, 32, v0
	s_movk_i32 s14, 0x140
	s_mov_b64 s[4:5], 0
.LBB110_143:                            ; =>This Inner Loop Header: Depth=1
	buffer_load_dword v116, v113, s[0:3], 0 offen
	v_mov_b32_e32 v117, s14
	ds_read_b32 v117, v117
	v_add_u32_e32 v115, -1, v115
	s_add_i32 s14, s14, 4
	v_cmp_eq_u32_e32 vcc, 0, v115
	v_add_u32_e32 v113, 4, v113
	s_or_b64 s[4:5], vcc, s[4:5]
	s_waitcnt vmcnt(0) lgkmcnt(0)
	v_fmac_f32_e32 v114, v116, v117
	s_andn2_b64 exec, exec, s[4:5]
	s_cbranch_execnz .LBB110_143
; %bb.144:
	s_or_b64 exec, exec, s[4:5]
.LBB110_145:
	s_or_b64 exec, exec, s[12:13]
	v_mov_b32_e32 v113, 0
	ds_read_b32 v113, v113 offset:124
	s_waitcnt lgkmcnt(0)
	v_mul_f32_e32 v113, v114, v113
	buffer_store_dword v113, off, s[0:3], 0 offset:124
.LBB110_146:
	s_or_b64 exec, exec, s[8:9]
	buffer_load_dword v113, off, s[0:3], 0 offset:120
	v_cmp_lt_u32_e64 s[4:5], 30, v0
	s_waitcnt vmcnt(0)
	ds_write_b32 v96, v113
	s_waitcnt lgkmcnt(0)
	; wave barrier
	s_waitcnt lgkmcnt(0)
	s_and_saveexec_b64 s[8:9], s[4:5]
	s_cbranch_execz .LBB110_156
; %bb.147:
	s_andn2_b64 vcc, exec, s[10:11]
	s_cbranch_vccnz .LBB110_149
; %bb.148:
	buffer_load_dword v113, v97, s[0:3], 0 offen
	ds_read_b32 v114, v96
	s_waitcnt vmcnt(0) lgkmcnt(0)
	v_mul_f32_e32 v113, v113, v114
	s_cbranch_execz .LBB110_150
	s_branch .LBB110_151
.LBB110_149:
                                        ; implicit-def: $vgpr113
.LBB110_150:
	ds_read_b32 v113, v96
.LBB110_151:
	s_and_saveexec_b64 s[12:13], s[6:7]
	s_cbranch_execz .LBB110_155
; %bb.152:
	v_mov_b32_e32 v114, 0
	v_add_u32_e32 v114, 0x7c, v114
	v_subrev_u32_e32 v115, 31, v0
	s_movk_i32 s14, 0x13c
	s_mov_b64 s[6:7], 0
.LBB110_153:                            ; =>This Inner Loop Header: Depth=1
	buffer_load_dword v116, v114, s[0:3], 0 offen
	v_mov_b32_e32 v117, s14
	ds_read_b32 v117, v117
	v_add_u32_e32 v115, -1, v115
	s_add_i32 s14, s14, 4
	v_cmp_eq_u32_e32 vcc, 0, v115
	v_add_u32_e32 v114, 4, v114
	s_or_b64 s[6:7], vcc, s[6:7]
	s_waitcnt vmcnt(0) lgkmcnt(0)
	v_fmac_f32_e32 v113, v116, v117
	s_andn2_b64 exec, exec, s[6:7]
	s_cbranch_execnz .LBB110_153
; %bb.154:
	s_or_b64 exec, exec, s[6:7]
.LBB110_155:
	s_or_b64 exec, exec, s[12:13]
	v_mov_b32_e32 v114, 0
	ds_read_b32 v114, v114 offset:120
	s_waitcnt lgkmcnt(0)
	v_mul_f32_e32 v113, v113, v114
	buffer_store_dword v113, off, s[0:3], 0 offset:120
.LBB110_156:
	s_or_b64 exec, exec, s[8:9]
	buffer_load_dword v113, off, s[0:3], 0 offset:116
	v_cmp_lt_u32_e64 s[6:7], 29, v0
	s_waitcnt vmcnt(0)
	ds_write_b32 v96, v113
	s_waitcnt lgkmcnt(0)
	; wave barrier
	s_waitcnt lgkmcnt(0)
	s_and_saveexec_b64 s[8:9], s[6:7]
	s_cbranch_execz .LBB110_166
; %bb.157:
	s_andn2_b64 vcc, exec, s[10:11]
	s_cbranch_vccnz .LBB110_159
; %bb.158:
	buffer_load_dword v113, v97, s[0:3], 0 offen
	ds_read_b32 v114, v96
	s_waitcnt vmcnt(0) lgkmcnt(0)
	v_mul_f32_e32 v113, v113, v114
	s_cbranch_execz .LBB110_160
	s_branch .LBB110_161
.LBB110_159:
                                        ; implicit-def: $vgpr113
.LBB110_160:
	ds_read_b32 v113, v96
.LBB110_161:
	s_and_saveexec_b64 s[12:13], s[4:5]
	s_cbranch_execz .LBB110_165
; %bb.162:
	v_subrev_u32_e32 v114, 30, v0
	s_movk_i32 s14, 0x138
	s_mov_b64 s[4:5], 0
.LBB110_163:                            ; =>This Inner Loop Header: Depth=1
	buffer_load_dword v115, v112, s[0:3], 0 offen
	v_mov_b32_e32 v116, s14
	ds_read_b32 v116, v116
	v_add_u32_e32 v114, -1, v114
	s_add_i32 s14, s14, 4
	v_cmp_eq_u32_e32 vcc, 0, v114
	v_add_u32_e32 v112, 4, v112
	s_or_b64 s[4:5], vcc, s[4:5]
	s_waitcnt vmcnt(0) lgkmcnt(0)
	v_fmac_f32_e32 v113, v115, v116
	s_andn2_b64 exec, exec, s[4:5]
	s_cbranch_execnz .LBB110_163
; %bb.164:
	s_or_b64 exec, exec, s[4:5]
.LBB110_165:
	s_or_b64 exec, exec, s[12:13]
	v_mov_b32_e32 v112, 0
	ds_read_b32 v112, v112 offset:116
	s_waitcnt lgkmcnt(0)
	v_mul_f32_e32 v112, v113, v112
	buffer_store_dword v112, off, s[0:3], 0 offset:116
.LBB110_166:
	s_or_b64 exec, exec, s[8:9]
	buffer_load_dword v112, off, s[0:3], 0 offset:112
	v_cmp_lt_u32_e64 s[4:5], 28, v0
	s_waitcnt vmcnt(0)
	ds_write_b32 v96, v112
	s_waitcnt lgkmcnt(0)
	; wave barrier
	s_waitcnt lgkmcnt(0)
	s_and_saveexec_b64 s[8:9], s[4:5]
	s_cbranch_execz .LBB110_176
; %bb.167:
	s_andn2_b64 vcc, exec, s[10:11]
	s_cbranch_vccnz .LBB110_169
; %bb.168:
	buffer_load_dword v112, v97, s[0:3], 0 offen
	ds_read_b32 v113, v96
	s_waitcnt vmcnt(0) lgkmcnt(0)
	v_mul_f32_e32 v112, v112, v113
	s_cbranch_execz .LBB110_170
	s_branch .LBB110_171
.LBB110_169:
                                        ; implicit-def: $vgpr112
.LBB110_170:
	ds_read_b32 v112, v96
.LBB110_171:
	s_and_saveexec_b64 s[12:13], s[6:7]
	s_cbranch_execz .LBB110_175
; %bb.172:
	v_mov_b32_e32 v113, 0
	v_add_u32_e32 v113, 0x74, v113
	v_subrev_u32_e32 v114, 29, v0
	s_movk_i32 s14, 0x134
	s_mov_b64 s[6:7], 0
.LBB110_173:                            ; =>This Inner Loop Header: Depth=1
	buffer_load_dword v115, v113, s[0:3], 0 offen
	v_mov_b32_e32 v116, s14
	ds_read_b32 v116, v116
	v_add_u32_e32 v114, -1, v114
	s_add_i32 s14, s14, 4
	v_cmp_eq_u32_e32 vcc, 0, v114
	v_add_u32_e32 v113, 4, v113
	s_or_b64 s[6:7], vcc, s[6:7]
	s_waitcnt vmcnt(0) lgkmcnt(0)
	v_fmac_f32_e32 v112, v115, v116
	s_andn2_b64 exec, exec, s[6:7]
	s_cbranch_execnz .LBB110_173
; %bb.174:
	s_or_b64 exec, exec, s[6:7]
.LBB110_175:
	s_or_b64 exec, exec, s[12:13]
	v_mov_b32_e32 v113, 0
	ds_read_b32 v113, v113 offset:112
	s_waitcnt lgkmcnt(0)
	v_mul_f32_e32 v112, v112, v113
	buffer_store_dword v112, off, s[0:3], 0 offset:112
.LBB110_176:
	s_or_b64 exec, exec, s[8:9]
	buffer_load_dword v112, off, s[0:3], 0 offset:108
	v_cmp_lt_u32_e64 s[6:7], 27, v0
	s_waitcnt vmcnt(0)
	ds_write_b32 v96, v112
	s_waitcnt lgkmcnt(0)
	; wave barrier
	s_waitcnt lgkmcnt(0)
	s_and_saveexec_b64 s[8:9], s[6:7]
	s_cbranch_execz .LBB110_186
; %bb.177:
	s_andn2_b64 vcc, exec, s[10:11]
	s_cbranch_vccnz .LBB110_179
; %bb.178:
	buffer_load_dword v112, v97, s[0:3], 0 offen
	ds_read_b32 v113, v96
	s_waitcnt vmcnt(0) lgkmcnt(0)
	v_mul_f32_e32 v112, v112, v113
	s_cbranch_execz .LBB110_180
	s_branch .LBB110_181
.LBB110_179:
                                        ; implicit-def: $vgpr112
.LBB110_180:
	ds_read_b32 v112, v96
.LBB110_181:
	s_and_saveexec_b64 s[12:13], s[4:5]
	s_cbranch_execz .LBB110_185
; %bb.182:
	v_subrev_u32_e32 v113, 28, v0
	s_movk_i32 s14, 0x130
	s_mov_b64 s[4:5], 0
.LBB110_183:                            ; =>This Inner Loop Header: Depth=1
	buffer_load_dword v114, v111, s[0:3], 0 offen
	v_mov_b32_e32 v115, s14
	ds_read_b32 v115, v115
	v_add_u32_e32 v113, -1, v113
	s_add_i32 s14, s14, 4
	v_cmp_eq_u32_e32 vcc, 0, v113
	v_add_u32_e32 v111, 4, v111
	s_or_b64 s[4:5], vcc, s[4:5]
	s_waitcnt vmcnt(0) lgkmcnt(0)
	v_fmac_f32_e32 v112, v114, v115
	s_andn2_b64 exec, exec, s[4:5]
	s_cbranch_execnz .LBB110_183
; %bb.184:
	s_or_b64 exec, exec, s[4:5]
.LBB110_185:
	s_or_b64 exec, exec, s[12:13]
	v_mov_b32_e32 v111, 0
	ds_read_b32 v111, v111 offset:108
	s_waitcnt lgkmcnt(0)
	v_mul_f32_e32 v111, v112, v111
	buffer_store_dword v111, off, s[0:3], 0 offset:108
.LBB110_186:
	s_or_b64 exec, exec, s[8:9]
	buffer_load_dword v111, off, s[0:3], 0 offset:104
	v_cmp_lt_u32_e64 s[4:5], 26, v0
	s_waitcnt vmcnt(0)
	ds_write_b32 v96, v111
	s_waitcnt lgkmcnt(0)
	; wave barrier
	s_waitcnt lgkmcnt(0)
	s_and_saveexec_b64 s[8:9], s[4:5]
	s_cbranch_execz .LBB110_196
; %bb.187:
	s_andn2_b64 vcc, exec, s[10:11]
	s_cbranch_vccnz .LBB110_189
; %bb.188:
	buffer_load_dword v111, v97, s[0:3], 0 offen
	ds_read_b32 v112, v96
	s_waitcnt vmcnt(0) lgkmcnt(0)
	v_mul_f32_e32 v111, v111, v112
	s_cbranch_execz .LBB110_190
	s_branch .LBB110_191
.LBB110_189:
                                        ; implicit-def: $vgpr111
.LBB110_190:
	ds_read_b32 v111, v96
.LBB110_191:
	s_and_saveexec_b64 s[12:13], s[6:7]
	s_cbranch_execz .LBB110_195
; %bb.192:
	v_mov_b32_e32 v112, 0
	v_add_u32_e32 v112, 0x6c, v112
	v_subrev_u32_e32 v113, 27, v0
	s_movk_i32 s14, 0x12c
	s_mov_b64 s[6:7], 0
.LBB110_193:                            ; =>This Inner Loop Header: Depth=1
	buffer_load_dword v114, v112, s[0:3], 0 offen
	v_mov_b32_e32 v115, s14
	ds_read_b32 v115, v115
	v_add_u32_e32 v113, -1, v113
	s_add_i32 s14, s14, 4
	v_cmp_eq_u32_e32 vcc, 0, v113
	v_add_u32_e32 v112, 4, v112
	s_or_b64 s[6:7], vcc, s[6:7]
	s_waitcnt vmcnt(0) lgkmcnt(0)
	v_fmac_f32_e32 v111, v114, v115
	s_andn2_b64 exec, exec, s[6:7]
	s_cbranch_execnz .LBB110_193
; %bb.194:
	s_or_b64 exec, exec, s[6:7]
.LBB110_195:
	s_or_b64 exec, exec, s[12:13]
	v_mov_b32_e32 v112, 0
	ds_read_b32 v112, v112 offset:104
	s_waitcnt lgkmcnt(0)
	v_mul_f32_e32 v111, v111, v112
	buffer_store_dword v111, off, s[0:3], 0 offset:104
.LBB110_196:
	s_or_b64 exec, exec, s[8:9]
	buffer_load_dword v111, off, s[0:3], 0 offset:100
	v_cmp_lt_u32_e64 s[6:7], 25, v0
	s_waitcnt vmcnt(0)
	ds_write_b32 v96, v111
	s_waitcnt lgkmcnt(0)
	; wave barrier
	s_waitcnt lgkmcnt(0)
	s_and_saveexec_b64 s[8:9], s[6:7]
	s_cbranch_execz .LBB110_206
; %bb.197:
	s_andn2_b64 vcc, exec, s[10:11]
	s_cbranch_vccnz .LBB110_199
; %bb.198:
	buffer_load_dword v111, v97, s[0:3], 0 offen
	ds_read_b32 v112, v96
	s_waitcnt vmcnt(0) lgkmcnt(0)
	v_mul_f32_e32 v111, v111, v112
	s_cbranch_execz .LBB110_200
	s_branch .LBB110_201
.LBB110_199:
                                        ; implicit-def: $vgpr111
.LBB110_200:
	ds_read_b32 v111, v96
.LBB110_201:
	s_and_saveexec_b64 s[12:13], s[4:5]
	s_cbranch_execz .LBB110_205
; %bb.202:
	v_subrev_u32_e32 v112, 26, v0
	s_movk_i32 s14, 0x128
	s_mov_b64 s[4:5], 0
.LBB110_203:                            ; =>This Inner Loop Header: Depth=1
	buffer_load_dword v113, v110, s[0:3], 0 offen
	v_mov_b32_e32 v114, s14
	ds_read_b32 v114, v114
	v_add_u32_e32 v112, -1, v112
	s_add_i32 s14, s14, 4
	v_cmp_eq_u32_e32 vcc, 0, v112
	v_add_u32_e32 v110, 4, v110
	s_or_b64 s[4:5], vcc, s[4:5]
	s_waitcnt vmcnt(0) lgkmcnt(0)
	v_fmac_f32_e32 v111, v113, v114
	s_andn2_b64 exec, exec, s[4:5]
	s_cbranch_execnz .LBB110_203
; %bb.204:
	s_or_b64 exec, exec, s[4:5]
.LBB110_205:
	s_or_b64 exec, exec, s[12:13]
	v_mov_b32_e32 v110, 0
	ds_read_b32 v110, v110 offset:100
	s_waitcnt lgkmcnt(0)
	v_mul_f32_e32 v110, v111, v110
	buffer_store_dword v110, off, s[0:3], 0 offset:100
.LBB110_206:
	s_or_b64 exec, exec, s[8:9]
	buffer_load_dword v110, off, s[0:3], 0 offset:96
	v_cmp_lt_u32_e64 s[4:5], 24, v0
	s_waitcnt vmcnt(0)
	ds_write_b32 v96, v110
	s_waitcnt lgkmcnt(0)
	; wave barrier
	s_waitcnt lgkmcnt(0)
	s_and_saveexec_b64 s[8:9], s[4:5]
	s_cbranch_execz .LBB110_216
; %bb.207:
	s_andn2_b64 vcc, exec, s[10:11]
	s_cbranch_vccnz .LBB110_209
; %bb.208:
	buffer_load_dword v110, v97, s[0:3], 0 offen
	ds_read_b32 v111, v96
	s_waitcnt vmcnt(0) lgkmcnt(0)
	v_mul_f32_e32 v110, v110, v111
	s_cbranch_execz .LBB110_210
	s_branch .LBB110_211
.LBB110_209:
                                        ; implicit-def: $vgpr110
.LBB110_210:
	ds_read_b32 v110, v96
.LBB110_211:
	s_and_saveexec_b64 s[12:13], s[6:7]
	s_cbranch_execz .LBB110_215
; %bb.212:
	v_mov_b32_e32 v111, 0
	v_add_u32_e32 v111, 0x64, v111
	v_subrev_u32_e32 v112, 25, v0
	s_movk_i32 s14, 0x124
	s_mov_b64 s[6:7], 0
.LBB110_213:                            ; =>This Inner Loop Header: Depth=1
	buffer_load_dword v113, v111, s[0:3], 0 offen
	v_mov_b32_e32 v114, s14
	ds_read_b32 v114, v114
	v_add_u32_e32 v112, -1, v112
	s_add_i32 s14, s14, 4
	v_cmp_eq_u32_e32 vcc, 0, v112
	v_add_u32_e32 v111, 4, v111
	s_or_b64 s[6:7], vcc, s[6:7]
	s_waitcnt vmcnt(0) lgkmcnt(0)
	v_fmac_f32_e32 v110, v113, v114
	s_andn2_b64 exec, exec, s[6:7]
	s_cbranch_execnz .LBB110_213
; %bb.214:
	s_or_b64 exec, exec, s[6:7]
.LBB110_215:
	s_or_b64 exec, exec, s[12:13]
	v_mov_b32_e32 v111, 0
	ds_read_b32 v111, v111 offset:96
	s_waitcnt lgkmcnt(0)
	v_mul_f32_e32 v110, v110, v111
	buffer_store_dword v110, off, s[0:3], 0 offset:96
.LBB110_216:
	s_or_b64 exec, exec, s[8:9]
	buffer_load_dword v110, off, s[0:3], 0 offset:92
	v_cmp_lt_u32_e64 s[6:7], 23, v0
	s_waitcnt vmcnt(0)
	ds_write_b32 v96, v110
	s_waitcnt lgkmcnt(0)
	; wave barrier
	s_waitcnt lgkmcnt(0)
	s_and_saveexec_b64 s[8:9], s[6:7]
	s_cbranch_execz .LBB110_226
; %bb.217:
	s_andn2_b64 vcc, exec, s[10:11]
	s_cbranch_vccnz .LBB110_219
; %bb.218:
	buffer_load_dword v110, v97, s[0:3], 0 offen
	ds_read_b32 v111, v96
	s_waitcnt vmcnt(0) lgkmcnt(0)
	v_mul_f32_e32 v110, v110, v111
	s_cbranch_execz .LBB110_220
	s_branch .LBB110_221
.LBB110_219:
                                        ; implicit-def: $vgpr110
.LBB110_220:
	ds_read_b32 v110, v96
.LBB110_221:
	s_and_saveexec_b64 s[12:13], s[4:5]
	s_cbranch_execz .LBB110_225
; %bb.222:
	v_subrev_u32_e32 v111, 24, v0
	s_movk_i32 s14, 0x120
	s_mov_b64 s[4:5], 0
.LBB110_223:                            ; =>This Inner Loop Header: Depth=1
	buffer_load_dword v112, v109, s[0:3], 0 offen
	v_mov_b32_e32 v113, s14
	ds_read_b32 v113, v113
	v_add_u32_e32 v111, -1, v111
	s_add_i32 s14, s14, 4
	v_cmp_eq_u32_e32 vcc, 0, v111
	v_add_u32_e32 v109, 4, v109
	s_or_b64 s[4:5], vcc, s[4:5]
	s_waitcnt vmcnt(0) lgkmcnt(0)
	v_fmac_f32_e32 v110, v112, v113
	s_andn2_b64 exec, exec, s[4:5]
	s_cbranch_execnz .LBB110_223
; %bb.224:
	s_or_b64 exec, exec, s[4:5]
.LBB110_225:
	s_or_b64 exec, exec, s[12:13]
	v_mov_b32_e32 v109, 0
	ds_read_b32 v109, v109 offset:92
	s_waitcnt lgkmcnt(0)
	v_mul_f32_e32 v109, v110, v109
	buffer_store_dword v109, off, s[0:3], 0 offset:92
.LBB110_226:
	s_or_b64 exec, exec, s[8:9]
	buffer_load_dword v109, off, s[0:3], 0 offset:88
	v_cmp_lt_u32_e64 s[4:5], 22, v0
	s_waitcnt vmcnt(0)
	ds_write_b32 v96, v109
	s_waitcnt lgkmcnt(0)
	; wave barrier
	s_waitcnt lgkmcnt(0)
	s_and_saveexec_b64 s[8:9], s[4:5]
	s_cbranch_execz .LBB110_236
; %bb.227:
	s_andn2_b64 vcc, exec, s[10:11]
	s_cbranch_vccnz .LBB110_229
; %bb.228:
	buffer_load_dword v109, v97, s[0:3], 0 offen
	ds_read_b32 v110, v96
	s_waitcnt vmcnt(0) lgkmcnt(0)
	v_mul_f32_e32 v109, v109, v110
	s_cbranch_execz .LBB110_230
	s_branch .LBB110_231
.LBB110_229:
                                        ; implicit-def: $vgpr109
.LBB110_230:
	ds_read_b32 v109, v96
.LBB110_231:
	s_and_saveexec_b64 s[12:13], s[6:7]
	s_cbranch_execz .LBB110_235
; %bb.232:
	v_mov_b32_e32 v110, 0
	v_add_u32_e32 v110, 0x5c, v110
	v_subrev_u32_e32 v111, 23, v0
	s_movk_i32 s14, 0x11c
	s_mov_b64 s[6:7], 0
.LBB110_233:                            ; =>This Inner Loop Header: Depth=1
	buffer_load_dword v112, v110, s[0:3], 0 offen
	v_mov_b32_e32 v113, s14
	ds_read_b32 v113, v113
	v_add_u32_e32 v111, -1, v111
	s_add_i32 s14, s14, 4
	v_cmp_eq_u32_e32 vcc, 0, v111
	v_add_u32_e32 v110, 4, v110
	s_or_b64 s[6:7], vcc, s[6:7]
	s_waitcnt vmcnt(0) lgkmcnt(0)
	v_fmac_f32_e32 v109, v112, v113
	s_andn2_b64 exec, exec, s[6:7]
	s_cbranch_execnz .LBB110_233
; %bb.234:
	s_or_b64 exec, exec, s[6:7]
.LBB110_235:
	s_or_b64 exec, exec, s[12:13]
	v_mov_b32_e32 v110, 0
	ds_read_b32 v110, v110 offset:88
	s_waitcnt lgkmcnt(0)
	v_mul_f32_e32 v109, v109, v110
	buffer_store_dword v109, off, s[0:3], 0 offset:88
.LBB110_236:
	s_or_b64 exec, exec, s[8:9]
	buffer_load_dword v109, off, s[0:3], 0 offset:84
	v_cmp_lt_u32_e64 s[6:7], 21, v0
	s_waitcnt vmcnt(0)
	ds_write_b32 v96, v109
	s_waitcnt lgkmcnt(0)
	; wave barrier
	s_waitcnt lgkmcnt(0)
	s_and_saveexec_b64 s[8:9], s[6:7]
	s_cbranch_execz .LBB110_246
; %bb.237:
	s_andn2_b64 vcc, exec, s[10:11]
	s_cbranch_vccnz .LBB110_239
; %bb.238:
	buffer_load_dword v109, v97, s[0:3], 0 offen
	ds_read_b32 v110, v96
	s_waitcnt vmcnt(0) lgkmcnt(0)
	v_mul_f32_e32 v109, v109, v110
	s_cbranch_execz .LBB110_240
	s_branch .LBB110_241
.LBB110_239:
                                        ; implicit-def: $vgpr109
.LBB110_240:
	ds_read_b32 v109, v96
.LBB110_241:
	s_and_saveexec_b64 s[12:13], s[4:5]
	s_cbranch_execz .LBB110_245
; %bb.242:
	v_subrev_u32_e32 v110, 22, v0
	s_movk_i32 s14, 0x118
	s_mov_b64 s[4:5], 0
.LBB110_243:                            ; =>This Inner Loop Header: Depth=1
	buffer_load_dword v111, v108, s[0:3], 0 offen
	v_mov_b32_e32 v112, s14
	ds_read_b32 v112, v112
	v_add_u32_e32 v110, -1, v110
	s_add_i32 s14, s14, 4
	v_cmp_eq_u32_e32 vcc, 0, v110
	v_add_u32_e32 v108, 4, v108
	s_or_b64 s[4:5], vcc, s[4:5]
	s_waitcnt vmcnt(0) lgkmcnt(0)
	v_fmac_f32_e32 v109, v111, v112
	s_andn2_b64 exec, exec, s[4:5]
	s_cbranch_execnz .LBB110_243
; %bb.244:
	s_or_b64 exec, exec, s[4:5]
.LBB110_245:
	s_or_b64 exec, exec, s[12:13]
	v_mov_b32_e32 v108, 0
	ds_read_b32 v108, v108 offset:84
	s_waitcnt lgkmcnt(0)
	v_mul_f32_e32 v108, v109, v108
	buffer_store_dword v108, off, s[0:3], 0 offset:84
.LBB110_246:
	s_or_b64 exec, exec, s[8:9]
	buffer_load_dword v108, off, s[0:3], 0 offset:80
	v_cmp_lt_u32_e64 s[4:5], 20, v0
	s_waitcnt vmcnt(0)
	ds_write_b32 v96, v108
	s_waitcnt lgkmcnt(0)
	; wave barrier
	s_waitcnt lgkmcnt(0)
	s_and_saveexec_b64 s[8:9], s[4:5]
	s_cbranch_execz .LBB110_256
; %bb.247:
	s_andn2_b64 vcc, exec, s[10:11]
	s_cbranch_vccnz .LBB110_249
; %bb.248:
	buffer_load_dword v108, v97, s[0:3], 0 offen
	ds_read_b32 v109, v96
	s_waitcnt vmcnt(0) lgkmcnt(0)
	v_mul_f32_e32 v108, v108, v109
	s_cbranch_execz .LBB110_250
	s_branch .LBB110_251
.LBB110_249:
                                        ; implicit-def: $vgpr108
.LBB110_250:
	ds_read_b32 v108, v96
.LBB110_251:
	s_and_saveexec_b64 s[12:13], s[6:7]
	s_cbranch_execz .LBB110_255
; %bb.252:
	v_mov_b32_e32 v109, 0
	v_add_u32_e32 v109, 0x54, v109
	v_subrev_u32_e32 v110, 21, v0
	s_movk_i32 s14, 0x114
	s_mov_b64 s[6:7], 0
.LBB110_253:                            ; =>This Inner Loop Header: Depth=1
	buffer_load_dword v111, v109, s[0:3], 0 offen
	v_mov_b32_e32 v112, s14
	ds_read_b32 v112, v112
	v_add_u32_e32 v110, -1, v110
	s_add_i32 s14, s14, 4
	v_cmp_eq_u32_e32 vcc, 0, v110
	v_add_u32_e32 v109, 4, v109
	s_or_b64 s[6:7], vcc, s[6:7]
	s_waitcnt vmcnt(0) lgkmcnt(0)
	v_fmac_f32_e32 v108, v111, v112
	s_andn2_b64 exec, exec, s[6:7]
	s_cbranch_execnz .LBB110_253
; %bb.254:
	s_or_b64 exec, exec, s[6:7]
.LBB110_255:
	s_or_b64 exec, exec, s[12:13]
	v_mov_b32_e32 v109, 0
	ds_read_b32 v109, v109 offset:80
	s_waitcnt lgkmcnt(0)
	v_mul_f32_e32 v108, v108, v109
	buffer_store_dword v108, off, s[0:3], 0 offset:80
.LBB110_256:
	s_or_b64 exec, exec, s[8:9]
	buffer_load_dword v108, off, s[0:3], 0 offset:76
	v_cmp_lt_u32_e64 s[6:7], 19, v0
	s_waitcnt vmcnt(0)
	ds_write_b32 v96, v108
	s_waitcnt lgkmcnt(0)
	; wave barrier
	s_waitcnt lgkmcnt(0)
	s_and_saveexec_b64 s[8:9], s[6:7]
	s_cbranch_execz .LBB110_266
; %bb.257:
	s_andn2_b64 vcc, exec, s[10:11]
	s_cbranch_vccnz .LBB110_259
; %bb.258:
	buffer_load_dword v108, v97, s[0:3], 0 offen
	ds_read_b32 v109, v96
	s_waitcnt vmcnt(0) lgkmcnt(0)
	v_mul_f32_e32 v108, v108, v109
	s_cbranch_execz .LBB110_260
	s_branch .LBB110_261
.LBB110_259:
                                        ; implicit-def: $vgpr108
.LBB110_260:
	ds_read_b32 v108, v96
.LBB110_261:
	s_and_saveexec_b64 s[12:13], s[4:5]
	s_cbranch_execz .LBB110_265
; %bb.262:
	v_subrev_u32_e32 v109, 20, v0
	s_movk_i32 s14, 0x110
	s_mov_b64 s[4:5], 0
.LBB110_263:                            ; =>This Inner Loop Header: Depth=1
	buffer_load_dword v110, v107, s[0:3], 0 offen
	v_mov_b32_e32 v111, s14
	ds_read_b32 v111, v111
	v_add_u32_e32 v109, -1, v109
	s_add_i32 s14, s14, 4
	v_cmp_eq_u32_e32 vcc, 0, v109
	v_add_u32_e32 v107, 4, v107
	s_or_b64 s[4:5], vcc, s[4:5]
	s_waitcnt vmcnt(0) lgkmcnt(0)
	v_fmac_f32_e32 v108, v110, v111
	s_andn2_b64 exec, exec, s[4:5]
	s_cbranch_execnz .LBB110_263
; %bb.264:
	s_or_b64 exec, exec, s[4:5]
.LBB110_265:
	s_or_b64 exec, exec, s[12:13]
	v_mov_b32_e32 v107, 0
	ds_read_b32 v107, v107 offset:76
	s_waitcnt lgkmcnt(0)
	v_mul_f32_e32 v107, v108, v107
	buffer_store_dword v107, off, s[0:3], 0 offset:76
.LBB110_266:
	s_or_b64 exec, exec, s[8:9]
	buffer_load_dword v107, off, s[0:3], 0 offset:72
	v_cmp_lt_u32_e64 s[4:5], 18, v0
	s_waitcnt vmcnt(0)
	ds_write_b32 v96, v107
	s_waitcnt lgkmcnt(0)
	; wave barrier
	s_waitcnt lgkmcnt(0)
	s_and_saveexec_b64 s[8:9], s[4:5]
	s_cbranch_execz .LBB110_276
; %bb.267:
	s_andn2_b64 vcc, exec, s[10:11]
	s_cbranch_vccnz .LBB110_269
; %bb.268:
	buffer_load_dword v107, v97, s[0:3], 0 offen
	ds_read_b32 v108, v96
	s_waitcnt vmcnt(0) lgkmcnt(0)
	v_mul_f32_e32 v107, v107, v108
	s_cbranch_execz .LBB110_270
	s_branch .LBB110_271
.LBB110_269:
                                        ; implicit-def: $vgpr107
.LBB110_270:
	ds_read_b32 v107, v96
.LBB110_271:
	s_and_saveexec_b64 s[12:13], s[6:7]
	s_cbranch_execz .LBB110_275
; %bb.272:
	v_mov_b32_e32 v108, 0
	v_add_u32_e32 v108, 0x4c, v108
	v_subrev_u32_e32 v109, 19, v0
	s_movk_i32 s14, 0x10c
	s_mov_b64 s[6:7], 0
.LBB110_273:                            ; =>This Inner Loop Header: Depth=1
	buffer_load_dword v110, v108, s[0:3], 0 offen
	v_mov_b32_e32 v111, s14
	ds_read_b32 v111, v111
	v_add_u32_e32 v109, -1, v109
	s_add_i32 s14, s14, 4
	v_cmp_eq_u32_e32 vcc, 0, v109
	v_add_u32_e32 v108, 4, v108
	s_or_b64 s[6:7], vcc, s[6:7]
	s_waitcnt vmcnt(0) lgkmcnt(0)
	v_fmac_f32_e32 v107, v110, v111
	s_andn2_b64 exec, exec, s[6:7]
	s_cbranch_execnz .LBB110_273
; %bb.274:
	s_or_b64 exec, exec, s[6:7]
.LBB110_275:
	s_or_b64 exec, exec, s[12:13]
	v_mov_b32_e32 v108, 0
	ds_read_b32 v108, v108 offset:72
	s_waitcnt lgkmcnt(0)
	v_mul_f32_e32 v107, v107, v108
	buffer_store_dword v107, off, s[0:3], 0 offset:72
.LBB110_276:
	s_or_b64 exec, exec, s[8:9]
	buffer_load_dword v107, off, s[0:3], 0 offset:68
	v_cmp_lt_u32_e64 s[6:7], 17, v0
	s_waitcnt vmcnt(0)
	ds_write_b32 v96, v107
	s_waitcnt lgkmcnt(0)
	; wave barrier
	s_waitcnt lgkmcnt(0)
	s_and_saveexec_b64 s[8:9], s[6:7]
	s_cbranch_execz .LBB110_286
; %bb.277:
	s_andn2_b64 vcc, exec, s[10:11]
	s_cbranch_vccnz .LBB110_279
; %bb.278:
	buffer_load_dword v107, v97, s[0:3], 0 offen
	ds_read_b32 v108, v96
	s_waitcnt vmcnt(0) lgkmcnt(0)
	v_mul_f32_e32 v107, v107, v108
	s_cbranch_execz .LBB110_280
	s_branch .LBB110_281
.LBB110_279:
                                        ; implicit-def: $vgpr107
.LBB110_280:
	ds_read_b32 v107, v96
.LBB110_281:
	s_and_saveexec_b64 s[12:13], s[4:5]
	s_cbranch_execz .LBB110_285
; %bb.282:
	v_subrev_u32_e32 v108, 18, v0
	s_movk_i32 s14, 0x108
	s_mov_b64 s[4:5], 0
.LBB110_283:                            ; =>This Inner Loop Header: Depth=1
	buffer_load_dword v109, v106, s[0:3], 0 offen
	v_mov_b32_e32 v110, s14
	ds_read_b32 v110, v110
	v_add_u32_e32 v108, -1, v108
	s_add_i32 s14, s14, 4
	v_cmp_eq_u32_e32 vcc, 0, v108
	v_add_u32_e32 v106, 4, v106
	s_or_b64 s[4:5], vcc, s[4:5]
	s_waitcnt vmcnt(0) lgkmcnt(0)
	v_fmac_f32_e32 v107, v109, v110
	s_andn2_b64 exec, exec, s[4:5]
	s_cbranch_execnz .LBB110_283
; %bb.284:
	s_or_b64 exec, exec, s[4:5]
.LBB110_285:
	s_or_b64 exec, exec, s[12:13]
	v_mov_b32_e32 v106, 0
	ds_read_b32 v106, v106 offset:68
	s_waitcnt lgkmcnt(0)
	v_mul_f32_e32 v106, v107, v106
	buffer_store_dword v106, off, s[0:3], 0 offset:68
.LBB110_286:
	s_or_b64 exec, exec, s[8:9]
	buffer_load_dword v106, off, s[0:3], 0 offset:64
	v_cmp_lt_u32_e64 s[4:5], 16, v0
	s_waitcnt vmcnt(0)
	ds_write_b32 v96, v106
	s_waitcnt lgkmcnt(0)
	; wave barrier
	s_waitcnt lgkmcnt(0)
	s_and_saveexec_b64 s[8:9], s[4:5]
	s_cbranch_execz .LBB110_296
; %bb.287:
	s_andn2_b64 vcc, exec, s[10:11]
	s_cbranch_vccnz .LBB110_289
; %bb.288:
	buffer_load_dword v106, v97, s[0:3], 0 offen
	ds_read_b32 v107, v96
	s_waitcnt vmcnt(0) lgkmcnt(0)
	v_mul_f32_e32 v106, v106, v107
	s_cbranch_execz .LBB110_290
	s_branch .LBB110_291
.LBB110_289:
                                        ; implicit-def: $vgpr106
.LBB110_290:
	ds_read_b32 v106, v96
.LBB110_291:
	s_and_saveexec_b64 s[12:13], s[6:7]
	s_cbranch_execz .LBB110_295
; %bb.292:
	v_mov_b32_e32 v107, 0
	v_add_u32_e32 v107, 0x44, v107
	v_subrev_u32_e32 v108, 17, v0
	s_movk_i32 s14, 0x104
	s_mov_b64 s[6:7], 0
.LBB110_293:                            ; =>This Inner Loop Header: Depth=1
	buffer_load_dword v109, v107, s[0:3], 0 offen
	v_mov_b32_e32 v110, s14
	ds_read_b32 v110, v110
	v_add_u32_e32 v108, -1, v108
	s_add_i32 s14, s14, 4
	v_cmp_eq_u32_e32 vcc, 0, v108
	v_add_u32_e32 v107, 4, v107
	s_or_b64 s[6:7], vcc, s[6:7]
	s_waitcnt vmcnt(0) lgkmcnt(0)
	v_fmac_f32_e32 v106, v109, v110
	s_andn2_b64 exec, exec, s[6:7]
	s_cbranch_execnz .LBB110_293
; %bb.294:
	s_or_b64 exec, exec, s[6:7]
.LBB110_295:
	s_or_b64 exec, exec, s[12:13]
	v_mov_b32_e32 v107, 0
	ds_read_b32 v107, v107 offset:64
	s_waitcnt lgkmcnt(0)
	v_mul_f32_e32 v106, v106, v107
	buffer_store_dword v106, off, s[0:3], 0 offset:64
.LBB110_296:
	s_or_b64 exec, exec, s[8:9]
	buffer_load_dword v106, off, s[0:3], 0 offset:60
	v_cmp_lt_u32_e64 s[6:7], 15, v0
	s_waitcnt vmcnt(0)
	ds_write_b32 v96, v106
	s_waitcnt lgkmcnt(0)
	; wave barrier
	s_waitcnt lgkmcnt(0)
	s_and_saveexec_b64 s[8:9], s[6:7]
	s_cbranch_execz .LBB110_306
; %bb.297:
	s_andn2_b64 vcc, exec, s[10:11]
	s_cbranch_vccnz .LBB110_299
; %bb.298:
	buffer_load_dword v106, v97, s[0:3], 0 offen
	ds_read_b32 v107, v96
	s_waitcnt vmcnt(0) lgkmcnt(0)
	v_mul_f32_e32 v106, v106, v107
	s_cbranch_execz .LBB110_300
	s_branch .LBB110_301
.LBB110_299:
                                        ; implicit-def: $vgpr106
.LBB110_300:
	ds_read_b32 v106, v96
.LBB110_301:
	s_and_saveexec_b64 s[12:13], s[4:5]
	s_cbranch_execz .LBB110_305
; %bb.302:
	v_add_u32_e32 v107, -16, v0
	s_movk_i32 s14, 0x100
	s_mov_b64 s[4:5], 0
.LBB110_303:                            ; =>This Inner Loop Header: Depth=1
	buffer_load_dword v108, v105, s[0:3], 0 offen
	v_mov_b32_e32 v109, s14
	ds_read_b32 v109, v109
	v_add_u32_e32 v107, -1, v107
	s_add_i32 s14, s14, 4
	v_cmp_eq_u32_e32 vcc, 0, v107
	v_add_u32_e32 v105, 4, v105
	s_or_b64 s[4:5], vcc, s[4:5]
	s_waitcnt vmcnt(0) lgkmcnt(0)
	v_fmac_f32_e32 v106, v108, v109
	s_andn2_b64 exec, exec, s[4:5]
	s_cbranch_execnz .LBB110_303
; %bb.304:
	s_or_b64 exec, exec, s[4:5]
.LBB110_305:
	s_or_b64 exec, exec, s[12:13]
	v_mov_b32_e32 v105, 0
	ds_read_b32 v105, v105 offset:60
	s_waitcnt lgkmcnt(0)
	v_mul_f32_e32 v105, v106, v105
	buffer_store_dword v105, off, s[0:3], 0 offset:60
.LBB110_306:
	s_or_b64 exec, exec, s[8:9]
	buffer_load_dword v105, off, s[0:3], 0 offset:56
	v_cmp_lt_u32_e64 s[4:5], 14, v0
	s_waitcnt vmcnt(0)
	ds_write_b32 v96, v105
	s_waitcnt lgkmcnt(0)
	; wave barrier
	s_waitcnt lgkmcnt(0)
	s_and_saveexec_b64 s[8:9], s[4:5]
	s_cbranch_execz .LBB110_316
; %bb.307:
	s_andn2_b64 vcc, exec, s[10:11]
	s_cbranch_vccnz .LBB110_309
; %bb.308:
	buffer_load_dword v105, v97, s[0:3], 0 offen
	ds_read_b32 v106, v96
	s_waitcnt vmcnt(0) lgkmcnt(0)
	v_mul_f32_e32 v105, v105, v106
	s_cbranch_execz .LBB110_310
	s_branch .LBB110_311
.LBB110_309:
                                        ; implicit-def: $vgpr105
.LBB110_310:
	ds_read_b32 v105, v96
.LBB110_311:
	s_and_saveexec_b64 s[12:13], s[6:7]
	s_cbranch_execz .LBB110_315
; %bb.312:
	v_mov_b32_e32 v106, 0
	v_add_u32_e32 v106, 60, v106
	v_add_u32_e32 v107, -15, v0
	s_movk_i32 s14, 0xfc
	s_mov_b64 s[6:7], 0
.LBB110_313:                            ; =>This Inner Loop Header: Depth=1
	buffer_load_dword v108, v106, s[0:3], 0 offen
	v_mov_b32_e32 v109, s14
	ds_read_b32 v109, v109
	v_add_u32_e32 v107, -1, v107
	s_add_i32 s14, s14, 4
	v_cmp_eq_u32_e32 vcc, 0, v107
	v_add_u32_e32 v106, 4, v106
	s_or_b64 s[6:7], vcc, s[6:7]
	s_waitcnt vmcnt(0) lgkmcnt(0)
	v_fmac_f32_e32 v105, v108, v109
	s_andn2_b64 exec, exec, s[6:7]
	s_cbranch_execnz .LBB110_313
; %bb.314:
	s_or_b64 exec, exec, s[6:7]
.LBB110_315:
	s_or_b64 exec, exec, s[12:13]
	v_mov_b32_e32 v106, 0
	ds_read_b32 v106, v106 offset:56
	s_waitcnt lgkmcnt(0)
	v_mul_f32_e32 v105, v105, v106
	buffer_store_dword v105, off, s[0:3], 0 offset:56
.LBB110_316:
	s_or_b64 exec, exec, s[8:9]
	buffer_load_dword v105, off, s[0:3], 0 offset:52
	v_cmp_lt_u32_e64 s[6:7], 13, v0
	s_waitcnt vmcnt(0)
	ds_write_b32 v96, v105
	s_waitcnt lgkmcnt(0)
	; wave barrier
	s_waitcnt lgkmcnt(0)
	s_and_saveexec_b64 s[8:9], s[6:7]
	s_cbranch_execz .LBB110_326
; %bb.317:
	s_andn2_b64 vcc, exec, s[10:11]
	s_cbranch_vccnz .LBB110_319
; %bb.318:
	buffer_load_dword v105, v97, s[0:3], 0 offen
	ds_read_b32 v106, v96
	s_waitcnt vmcnt(0) lgkmcnt(0)
	v_mul_f32_e32 v105, v105, v106
	s_cbranch_execz .LBB110_320
	s_branch .LBB110_321
.LBB110_319:
                                        ; implicit-def: $vgpr105
.LBB110_320:
	ds_read_b32 v105, v96
.LBB110_321:
	s_and_saveexec_b64 s[12:13], s[4:5]
	s_cbranch_execz .LBB110_325
; %bb.322:
	v_add_u32_e32 v106, -14, v0
	s_movk_i32 s14, 0xf8
	s_mov_b64 s[4:5], 0
.LBB110_323:                            ; =>This Inner Loop Header: Depth=1
	buffer_load_dword v107, v104, s[0:3], 0 offen
	v_mov_b32_e32 v108, s14
	ds_read_b32 v108, v108
	v_add_u32_e32 v106, -1, v106
	s_add_i32 s14, s14, 4
	v_cmp_eq_u32_e32 vcc, 0, v106
	v_add_u32_e32 v104, 4, v104
	s_or_b64 s[4:5], vcc, s[4:5]
	s_waitcnt vmcnt(0) lgkmcnt(0)
	v_fmac_f32_e32 v105, v107, v108
	s_andn2_b64 exec, exec, s[4:5]
	s_cbranch_execnz .LBB110_323
; %bb.324:
	s_or_b64 exec, exec, s[4:5]
.LBB110_325:
	s_or_b64 exec, exec, s[12:13]
	v_mov_b32_e32 v104, 0
	ds_read_b32 v104, v104 offset:52
	s_waitcnt lgkmcnt(0)
	v_mul_f32_e32 v104, v105, v104
	buffer_store_dword v104, off, s[0:3], 0 offset:52
.LBB110_326:
	s_or_b64 exec, exec, s[8:9]
	buffer_load_dword v104, off, s[0:3], 0 offset:48
	v_cmp_lt_u32_e64 s[4:5], 12, v0
	s_waitcnt vmcnt(0)
	ds_write_b32 v96, v104
	s_waitcnt lgkmcnt(0)
	; wave barrier
	s_waitcnt lgkmcnt(0)
	s_and_saveexec_b64 s[8:9], s[4:5]
	s_cbranch_execz .LBB110_336
; %bb.327:
	s_andn2_b64 vcc, exec, s[10:11]
	s_cbranch_vccnz .LBB110_329
; %bb.328:
	buffer_load_dword v104, v97, s[0:3], 0 offen
	ds_read_b32 v105, v96
	s_waitcnt vmcnt(0) lgkmcnt(0)
	v_mul_f32_e32 v104, v104, v105
	s_cbranch_execz .LBB110_330
	s_branch .LBB110_331
.LBB110_329:
                                        ; implicit-def: $vgpr104
.LBB110_330:
	ds_read_b32 v104, v96
.LBB110_331:
	s_and_saveexec_b64 s[12:13], s[6:7]
	s_cbranch_execz .LBB110_335
; %bb.332:
	v_mov_b32_e32 v105, 0
	v_add_u32_e32 v105, 52, v105
	v_add_u32_e32 v106, -13, v0
	s_movk_i32 s14, 0xf4
	s_mov_b64 s[6:7], 0
.LBB110_333:                            ; =>This Inner Loop Header: Depth=1
	buffer_load_dword v107, v105, s[0:3], 0 offen
	v_mov_b32_e32 v108, s14
	ds_read_b32 v108, v108
	v_add_u32_e32 v106, -1, v106
	s_add_i32 s14, s14, 4
	v_cmp_eq_u32_e32 vcc, 0, v106
	v_add_u32_e32 v105, 4, v105
	s_or_b64 s[6:7], vcc, s[6:7]
	s_waitcnt vmcnt(0) lgkmcnt(0)
	v_fmac_f32_e32 v104, v107, v108
	s_andn2_b64 exec, exec, s[6:7]
	s_cbranch_execnz .LBB110_333
; %bb.334:
	s_or_b64 exec, exec, s[6:7]
.LBB110_335:
	s_or_b64 exec, exec, s[12:13]
	v_mov_b32_e32 v105, 0
	ds_read_b32 v105, v105 offset:48
	s_waitcnt lgkmcnt(0)
	v_mul_f32_e32 v104, v104, v105
	buffer_store_dword v104, off, s[0:3], 0 offset:48
.LBB110_336:
	s_or_b64 exec, exec, s[8:9]
	buffer_load_dword v104, off, s[0:3], 0 offset:44
	v_cmp_lt_u32_e64 s[6:7], 11, v0
	s_waitcnt vmcnt(0)
	ds_write_b32 v96, v104
	s_waitcnt lgkmcnt(0)
	; wave barrier
	s_waitcnt lgkmcnt(0)
	s_and_saveexec_b64 s[8:9], s[6:7]
	s_cbranch_execz .LBB110_346
; %bb.337:
	s_andn2_b64 vcc, exec, s[10:11]
	s_cbranch_vccnz .LBB110_339
; %bb.338:
	buffer_load_dword v104, v97, s[0:3], 0 offen
	ds_read_b32 v105, v96
	s_waitcnt vmcnt(0) lgkmcnt(0)
	v_mul_f32_e32 v104, v104, v105
	s_cbranch_execz .LBB110_340
	s_branch .LBB110_341
.LBB110_339:
                                        ; implicit-def: $vgpr104
.LBB110_340:
	ds_read_b32 v104, v96
.LBB110_341:
	s_and_saveexec_b64 s[12:13], s[4:5]
	s_cbranch_execz .LBB110_345
; %bb.342:
	v_add_u32_e32 v105, -12, v0
	s_movk_i32 s14, 0xf0
	s_mov_b64 s[4:5], 0
.LBB110_343:                            ; =>This Inner Loop Header: Depth=1
	buffer_load_dword v106, v103, s[0:3], 0 offen
	v_mov_b32_e32 v107, s14
	ds_read_b32 v107, v107
	v_add_u32_e32 v105, -1, v105
	s_add_i32 s14, s14, 4
	v_cmp_eq_u32_e32 vcc, 0, v105
	v_add_u32_e32 v103, 4, v103
	s_or_b64 s[4:5], vcc, s[4:5]
	s_waitcnt vmcnt(0) lgkmcnt(0)
	v_fmac_f32_e32 v104, v106, v107
	s_andn2_b64 exec, exec, s[4:5]
	s_cbranch_execnz .LBB110_343
; %bb.344:
	s_or_b64 exec, exec, s[4:5]
.LBB110_345:
	s_or_b64 exec, exec, s[12:13]
	v_mov_b32_e32 v103, 0
	ds_read_b32 v103, v103 offset:44
	s_waitcnt lgkmcnt(0)
	v_mul_f32_e32 v103, v104, v103
	buffer_store_dword v103, off, s[0:3], 0 offset:44
.LBB110_346:
	s_or_b64 exec, exec, s[8:9]
	buffer_load_dword v103, off, s[0:3], 0 offset:40
	v_cmp_lt_u32_e64 s[4:5], 10, v0
	s_waitcnt vmcnt(0)
	ds_write_b32 v96, v103
	s_waitcnt lgkmcnt(0)
	; wave barrier
	s_waitcnt lgkmcnt(0)
	s_and_saveexec_b64 s[8:9], s[4:5]
	s_cbranch_execz .LBB110_356
; %bb.347:
	s_andn2_b64 vcc, exec, s[10:11]
	s_cbranch_vccnz .LBB110_349
; %bb.348:
	buffer_load_dword v103, v97, s[0:3], 0 offen
	ds_read_b32 v104, v96
	s_waitcnt vmcnt(0) lgkmcnt(0)
	v_mul_f32_e32 v103, v103, v104
	s_cbranch_execz .LBB110_350
	s_branch .LBB110_351
.LBB110_349:
                                        ; implicit-def: $vgpr103
.LBB110_350:
	ds_read_b32 v103, v96
.LBB110_351:
	s_and_saveexec_b64 s[12:13], s[6:7]
	s_cbranch_execz .LBB110_355
; %bb.352:
	v_mov_b32_e32 v104, 0
	v_add_u32_e32 v104, 44, v104
	v_add_u32_e32 v105, -11, v0
	s_movk_i32 s14, 0xec
	s_mov_b64 s[6:7], 0
.LBB110_353:                            ; =>This Inner Loop Header: Depth=1
	buffer_load_dword v106, v104, s[0:3], 0 offen
	v_mov_b32_e32 v107, s14
	ds_read_b32 v107, v107
	v_add_u32_e32 v105, -1, v105
	s_add_i32 s14, s14, 4
	v_cmp_eq_u32_e32 vcc, 0, v105
	v_add_u32_e32 v104, 4, v104
	s_or_b64 s[6:7], vcc, s[6:7]
	s_waitcnt vmcnt(0) lgkmcnt(0)
	v_fmac_f32_e32 v103, v106, v107
	s_andn2_b64 exec, exec, s[6:7]
	s_cbranch_execnz .LBB110_353
; %bb.354:
	s_or_b64 exec, exec, s[6:7]
.LBB110_355:
	s_or_b64 exec, exec, s[12:13]
	v_mov_b32_e32 v104, 0
	ds_read_b32 v104, v104 offset:40
	s_waitcnt lgkmcnt(0)
	v_mul_f32_e32 v103, v103, v104
	buffer_store_dword v103, off, s[0:3], 0 offset:40
.LBB110_356:
	s_or_b64 exec, exec, s[8:9]
	buffer_load_dword v103, off, s[0:3], 0 offset:36
	v_cmp_lt_u32_e64 s[6:7], 9, v0
	s_waitcnt vmcnt(0)
	ds_write_b32 v96, v103
	s_waitcnt lgkmcnt(0)
	; wave barrier
	s_waitcnt lgkmcnt(0)
	s_and_saveexec_b64 s[8:9], s[6:7]
	s_cbranch_execz .LBB110_366
; %bb.357:
	s_andn2_b64 vcc, exec, s[10:11]
	s_cbranch_vccnz .LBB110_359
; %bb.358:
	buffer_load_dword v103, v97, s[0:3], 0 offen
	ds_read_b32 v104, v96
	s_waitcnt vmcnt(0) lgkmcnt(0)
	v_mul_f32_e32 v103, v103, v104
	s_cbranch_execz .LBB110_360
	s_branch .LBB110_361
.LBB110_359:
                                        ; implicit-def: $vgpr103
.LBB110_360:
	ds_read_b32 v103, v96
.LBB110_361:
	s_and_saveexec_b64 s[12:13], s[4:5]
	s_cbranch_execz .LBB110_365
; %bb.362:
	v_add_u32_e32 v104, -10, v0
	s_movk_i32 s14, 0xe8
	s_mov_b64 s[4:5], 0
.LBB110_363:                            ; =>This Inner Loop Header: Depth=1
	buffer_load_dword v105, v102, s[0:3], 0 offen
	v_mov_b32_e32 v106, s14
	ds_read_b32 v106, v106
	v_add_u32_e32 v104, -1, v104
	s_add_i32 s14, s14, 4
	v_cmp_eq_u32_e32 vcc, 0, v104
	v_add_u32_e32 v102, 4, v102
	s_or_b64 s[4:5], vcc, s[4:5]
	s_waitcnt vmcnt(0) lgkmcnt(0)
	v_fmac_f32_e32 v103, v105, v106
	s_andn2_b64 exec, exec, s[4:5]
	s_cbranch_execnz .LBB110_363
; %bb.364:
	s_or_b64 exec, exec, s[4:5]
.LBB110_365:
	s_or_b64 exec, exec, s[12:13]
	v_mov_b32_e32 v102, 0
	ds_read_b32 v102, v102 offset:36
	s_waitcnt lgkmcnt(0)
	v_mul_f32_e32 v102, v103, v102
	buffer_store_dword v102, off, s[0:3], 0 offset:36
.LBB110_366:
	s_or_b64 exec, exec, s[8:9]
	buffer_load_dword v102, off, s[0:3], 0 offset:32
	v_cmp_lt_u32_e64 s[4:5], 8, v0
	s_waitcnt vmcnt(0)
	ds_write_b32 v96, v102
	s_waitcnt lgkmcnt(0)
	; wave barrier
	s_waitcnt lgkmcnt(0)
	s_and_saveexec_b64 s[8:9], s[4:5]
	s_cbranch_execz .LBB110_376
; %bb.367:
	s_andn2_b64 vcc, exec, s[10:11]
	s_cbranch_vccnz .LBB110_369
; %bb.368:
	buffer_load_dword v102, v97, s[0:3], 0 offen
	ds_read_b32 v103, v96
	s_waitcnt vmcnt(0) lgkmcnt(0)
	v_mul_f32_e32 v102, v102, v103
	s_cbranch_execz .LBB110_370
	s_branch .LBB110_371
.LBB110_369:
                                        ; implicit-def: $vgpr102
.LBB110_370:
	ds_read_b32 v102, v96
.LBB110_371:
	s_and_saveexec_b64 s[12:13], s[6:7]
	s_cbranch_execz .LBB110_375
; %bb.372:
	v_mov_b32_e32 v103, 0
	v_add_u32_e32 v103, 36, v103
	v_add_u32_e32 v104, -9, v0
	s_movk_i32 s14, 0xe4
	s_mov_b64 s[6:7], 0
.LBB110_373:                            ; =>This Inner Loop Header: Depth=1
	buffer_load_dword v105, v103, s[0:3], 0 offen
	v_mov_b32_e32 v106, s14
	ds_read_b32 v106, v106
	v_add_u32_e32 v104, -1, v104
	s_add_i32 s14, s14, 4
	v_cmp_eq_u32_e32 vcc, 0, v104
	v_add_u32_e32 v103, 4, v103
	s_or_b64 s[6:7], vcc, s[6:7]
	s_waitcnt vmcnt(0) lgkmcnt(0)
	v_fmac_f32_e32 v102, v105, v106
	s_andn2_b64 exec, exec, s[6:7]
	s_cbranch_execnz .LBB110_373
; %bb.374:
	s_or_b64 exec, exec, s[6:7]
.LBB110_375:
	s_or_b64 exec, exec, s[12:13]
	v_mov_b32_e32 v103, 0
	ds_read_b32 v103, v103 offset:32
	s_waitcnt lgkmcnt(0)
	v_mul_f32_e32 v102, v102, v103
	buffer_store_dword v102, off, s[0:3], 0 offset:32
.LBB110_376:
	s_or_b64 exec, exec, s[8:9]
	buffer_load_dword v102, off, s[0:3], 0 offset:28
	v_cmp_lt_u32_e64 s[6:7], 7, v0
	s_waitcnt vmcnt(0)
	ds_write_b32 v96, v102
	s_waitcnt lgkmcnt(0)
	; wave barrier
	s_waitcnt lgkmcnt(0)
	s_and_saveexec_b64 s[8:9], s[6:7]
	s_cbranch_execz .LBB110_386
; %bb.377:
	s_andn2_b64 vcc, exec, s[10:11]
	s_cbranch_vccnz .LBB110_379
; %bb.378:
	buffer_load_dword v102, v97, s[0:3], 0 offen
	ds_read_b32 v103, v96
	s_waitcnt vmcnt(0) lgkmcnt(0)
	v_mul_f32_e32 v102, v102, v103
	s_cbranch_execz .LBB110_380
	s_branch .LBB110_381
.LBB110_379:
                                        ; implicit-def: $vgpr102
.LBB110_380:
	ds_read_b32 v102, v96
.LBB110_381:
	s_and_saveexec_b64 s[12:13], s[4:5]
	s_cbranch_execz .LBB110_385
; %bb.382:
	v_add_u32_e32 v103, -8, v0
	s_movk_i32 s14, 0xe0
	s_mov_b64 s[4:5], 0
.LBB110_383:                            ; =>This Inner Loop Header: Depth=1
	buffer_load_dword v104, v101, s[0:3], 0 offen
	v_mov_b32_e32 v105, s14
	ds_read_b32 v105, v105
	v_add_u32_e32 v103, -1, v103
	s_add_i32 s14, s14, 4
	v_cmp_eq_u32_e32 vcc, 0, v103
	v_add_u32_e32 v101, 4, v101
	s_or_b64 s[4:5], vcc, s[4:5]
	s_waitcnt vmcnt(0) lgkmcnt(0)
	v_fmac_f32_e32 v102, v104, v105
	s_andn2_b64 exec, exec, s[4:5]
	s_cbranch_execnz .LBB110_383
; %bb.384:
	s_or_b64 exec, exec, s[4:5]
.LBB110_385:
	s_or_b64 exec, exec, s[12:13]
	v_mov_b32_e32 v101, 0
	ds_read_b32 v101, v101 offset:28
	s_waitcnt lgkmcnt(0)
	v_mul_f32_e32 v101, v102, v101
	buffer_store_dword v101, off, s[0:3], 0 offset:28
.LBB110_386:
	s_or_b64 exec, exec, s[8:9]
	buffer_load_dword v101, off, s[0:3], 0 offset:24
	v_cmp_lt_u32_e64 s[4:5], 6, v0
	s_waitcnt vmcnt(0)
	ds_write_b32 v96, v101
	s_waitcnt lgkmcnt(0)
	; wave barrier
	s_waitcnt lgkmcnt(0)
	s_and_saveexec_b64 s[8:9], s[4:5]
	s_cbranch_execz .LBB110_396
; %bb.387:
	s_andn2_b64 vcc, exec, s[10:11]
	s_cbranch_vccnz .LBB110_389
; %bb.388:
	buffer_load_dword v101, v97, s[0:3], 0 offen
	ds_read_b32 v102, v96
	s_waitcnt vmcnt(0) lgkmcnt(0)
	v_mul_f32_e32 v101, v101, v102
	s_cbranch_execz .LBB110_390
	s_branch .LBB110_391
.LBB110_389:
                                        ; implicit-def: $vgpr101
.LBB110_390:
	ds_read_b32 v101, v96
.LBB110_391:
	s_and_saveexec_b64 s[12:13], s[6:7]
	s_cbranch_execz .LBB110_395
; %bb.392:
	v_mov_b32_e32 v102, 0
	v_add_u32_e32 v102, 28, v102
	v_add_u32_e32 v103, -7, v0
	s_movk_i32 s14, 0xdc
	s_mov_b64 s[6:7], 0
.LBB110_393:                            ; =>This Inner Loop Header: Depth=1
	buffer_load_dword v104, v102, s[0:3], 0 offen
	v_mov_b32_e32 v105, s14
	ds_read_b32 v105, v105
	v_add_u32_e32 v103, -1, v103
	s_add_i32 s14, s14, 4
	v_cmp_eq_u32_e32 vcc, 0, v103
	v_add_u32_e32 v102, 4, v102
	s_or_b64 s[6:7], vcc, s[6:7]
	s_waitcnt vmcnt(0) lgkmcnt(0)
	v_fmac_f32_e32 v101, v104, v105
	s_andn2_b64 exec, exec, s[6:7]
	s_cbranch_execnz .LBB110_393
; %bb.394:
	s_or_b64 exec, exec, s[6:7]
.LBB110_395:
	s_or_b64 exec, exec, s[12:13]
	v_mov_b32_e32 v102, 0
	ds_read_b32 v102, v102 offset:24
	s_waitcnt lgkmcnt(0)
	v_mul_f32_e32 v101, v101, v102
	buffer_store_dword v101, off, s[0:3], 0 offset:24
.LBB110_396:
	s_or_b64 exec, exec, s[8:9]
	buffer_load_dword v101, off, s[0:3], 0 offset:20
	v_cmp_lt_u32_e64 s[6:7], 5, v0
	s_waitcnt vmcnt(0)
	ds_write_b32 v96, v101
	s_waitcnt lgkmcnt(0)
	; wave barrier
	s_waitcnt lgkmcnt(0)
	s_and_saveexec_b64 s[8:9], s[6:7]
	s_cbranch_execz .LBB110_406
; %bb.397:
	s_andn2_b64 vcc, exec, s[10:11]
	s_cbranch_vccnz .LBB110_399
; %bb.398:
	buffer_load_dword v101, v97, s[0:3], 0 offen
	ds_read_b32 v102, v96
	s_waitcnt vmcnt(0) lgkmcnt(0)
	v_mul_f32_e32 v101, v101, v102
	s_cbranch_execz .LBB110_400
	s_branch .LBB110_401
.LBB110_399:
                                        ; implicit-def: $vgpr101
.LBB110_400:
	ds_read_b32 v101, v96
.LBB110_401:
	s_and_saveexec_b64 s[12:13], s[4:5]
	s_cbranch_execz .LBB110_405
; %bb.402:
	v_add_u32_e32 v102, -6, v0
	s_movk_i32 s14, 0xd8
	s_mov_b64 s[4:5], 0
.LBB110_403:                            ; =>This Inner Loop Header: Depth=1
	buffer_load_dword v103, v100, s[0:3], 0 offen
	v_mov_b32_e32 v104, s14
	ds_read_b32 v104, v104
	v_add_u32_e32 v102, -1, v102
	s_add_i32 s14, s14, 4
	v_cmp_eq_u32_e32 vcc, 0, v102
	v_add_u32_e32 v100, 4, v100
	s_or_b64 s[4:5], vcc, s[4:5]
	s_waitcnt vmcnt(0) lgkmcnt(0)
	v_fmac_f32_e32 v101, v103, v104
	s_andn2_b64 exec, exec, s[4:5]
	s_cbranch_execnz .LBB110_403
; %bb.404:
	s_or_b64 exec, exec, s[4:5]
.LBB110_405:
	s_or_b64 exec, exec, s[12:13]
	v_mov_b32_e32 v100, 0
	ds_read_b32 v100, v100 offset:20
	s_waitcnt lgkmcnt(0)
	v_mul_f32_e32 v100, v101, v100
	buffer_store_dword v100, off, s[0:3], 0 offset:20
.LBB110_406:
	s_or_b64 exec, exec, s[8:9]
	buffer_load_dword v100, off, s[0:3], 0 offset:16
	v_cmp_lt_u32_e64 s[4:5], 4, v0
	s_waitcnt vmcnt(0)
	ds_write_b32 v96, v100
	s_waitcnt lgkmcnt(0)
	; wave barrier
	s_waitcnt lgkmcnt(0)
	s_and_saveexec_b64 s[8:9], s[4:5]
	s_cbranch_execz .LBB110_416
; %bb.407:
	s_andn2_b64 vcc, exec, s[10:11]
	s_cbranch_vccnz .LBB110_409
; %bb.408:
	buffer_load_dword v100, v97, s[0:3], 0 offen
	ds_read_b32 v101, v96
	s_waitcnt vmcnt(0) lgkmcnt(0)
	v_mul_f32_e32 v100, v100, v101
	s_cbranch_execz .LBB110_410
	s_branch .LBB110_411
.LBB110_409:
                                        ; implicit-def: $vgpr100
.LBB110_410:
	ds_read_b32 v100, v96
.LBB110_411:
	s_and_saveexec_b64 s[12:13], s[6:7]
	s_cbranch_execz .LBB110_415
; %bb.412:
	v_mov_b32_e32 v101, 0
	v_add_u32_e32 v101, 20, v101
	v_add_u32_e32 v102, -5, v0
	s_movk_i32 s14, 0xd4
	s_mov_b64 s[6:7], 0
.LBB110_413:                            ; =>This Inner Loop Header: Depth=1
	buffer_load_dword v103, v101, s[0:3], 0 offen
	v_mov_b32_e32 v104, s14
	ds_read_b32 v104, v104
	v_add_u32_e32 v102, -1, v102
	s_add_i32 s14, s14, 4
	v_cmp_eq_u32_e32 vcc, 0, v102
	v_add_u32_e32 v101, 4, v101
	s_or_b64 s[6:7], vcc, s[6:7]
	s_waitcnt vmcnt(0) lgkmcnt(0)
	v_fmac_f32_e32 v100, v103, v104
	s_andn2_b64 exec, exec, s[6:7]
	s_cbranch_execnz .LBB110_413
; %bb.414:
	s_or_b64 exec, exec, s[6:7]
.LBB110_415:
	s_or_b64 exec, exec, s[12:13]
	v_mov_b32_e32 v101, 0
	ds_read_b32 v101, v101 offset:16
	s_waitcnt lgkmcnt(0)
	v_mul_f32_e32 v100, v100, v101
	buffer_store_dword v100, off, s[0:3], 0 offset:16
.LBB110_416:
	s_or_b64 exec, exec, s[8:9]
	buffer_load_dword v100, off, s[0:3], 0 offset:12
	v_cmp_lt_u32_e64 s[6:7], 3, v0
	s_waitcnt vmcnt(0)
	ds_write_b32 v96, v100
	s_waitcnt lgkmcnt(0)
	; wave barrier
	s_waitcnt lgkmcnt(0)
	s_and_saveexec_b64 s[8:9], s[6:7]
	s_cbranch_execz .LBB110_426
; %bb.417:
	s_andn2_b64 vcc, exec, s[10:11]
	s_cbranch_vccnz .LBB110_419
; %bb.418:
	buffer_load_dword v100, v97, s[0:3], 0 offen
	ds_read_b32 v101, v96
	s_waitcnt vmcnt(0) lgkmcnt(0)
	v_mul_f32_e32 v100, v100, v101
	s_cbranch_execz .LBB110_420
	s_branch .LBB110_421
.LBB110_419:
                                        ; implicit-def: $vgpr100
.LBB110_420:
	ds_read_b32 v100, v96
.LBB110_421:
	s_and_saveexec_b64 s[12:13], s[4:5]
	s_cbranch_execz .LBB110_425
; %bb.422:
	v_add_u32_e32 v101, -4, v0
	s_movk_i32 s14, 0xd0
	s_mov_b64 s[4:5], 0
.LBB110_423:                            ; =>This Inner Loop Header: Depth=1
	buffer_load_dword v102, v99, s[0:3], 0 offen
	v_mov_b32_e32 v103, s14
	ds_read_b32 v103, v103
	v_add_u32_e32 v101, -1, v101
	s_add_i32 s14, s14, 4
	v_cmp_eq_u32_e32 vcc, 0, v101
	v_add_u32_e32 v99, 4, v99
	s_or_b64 s[4:5], vcc, s[4:5]
	s_waitcnt vmcnt(0) lgkmcnt(0)
	v_fmac_f32_e32 v100, v102, v103
	s_andn2_b64 exec, exec, s[4:5]
	s_cbranch_execnz .LBB110_423
; %bb.424:
	s_or_b64 exec, exec, s[4:5]
.LBB110_425:
	s_or_b64 exec, exec, s[12:13]
	v_mov_b32_e32 v99, 0
	ds_read_b32 v99, v99 offset:12
	s_waitcnt lgkmcnt(0)
	v_mul_f32_e32 v99, v100, v99
	buffer_store_dword v99, off, s[0:3], 0 offset:12
.LBB110_426:
	s_or_b64 exec, exec, s[8:9]
	buffer_load_dword v99, off, s[0:3], 0 offset:8
	v_cmp_lt_u32_e64 s[4:5], 2, v0
	s_waitcnt vmcnt(0)
	ds_write_b32 v96, v99
	s_waitcnt lgkmcnt(0)
	; wave barrier
	s_waitcnt lgkmcnt(0)
	s_and_saveexec_b64 s[8:9], s[4:5]
	s_cbranch_execz .LBB110_436
; %bb.427:
	s_andn2_b64 vcc, exec, s[10:11]
	s_cbranch_vccnz .LBB110_429
; %bb.428:
	buffer_load_dword v99, v97, s[0:3], 0 offen
	ds_read_b32 v100, v96
	s_waitcnt vmcnt(0) lgkmcnt(0)
	v_mul_f32_e32 v99, v99, v100
	s_cbranch_execz .LBB110_430
	s_branch .LBB110_431
.LBB110_429:
                                        ; implicit-def: $vgpr99
.LBB110_430:
	ds_read_b32 v99, v96
.LBB110_431:
	s_and_saveexec_b64 s[12:13], s[6:7]
	s_cbranch_execz .LBB110_435
; %bb.432:
	v_mov_b32_e32 v100, 0
	v_or_b32_e32 v100, 12, v100
	v_add_u32_e32 v101, -3, v0
	s_movk_i32 s14, 0xcc
	s_mov_b64 s[6:7], 0
.LBB110_433:                            ; =>This Inner Loop Header: Depth=1
	buffer_load_dword v102, v100, s[0:3], 0 offen
	v_mov_b32_e32 v103, s14
	ds_read_b32 v103, v103
	v_add_u32_e32 v101, -1, v101
	s_add_i32 s14, s14, 4
	v_cmp_eq_u32_e32 vcc, 0, v101
	v_add_u32_e32 v100, 4, v100
	s_or_b64 s[6:7], vcc, s[6:7]
	s_waitcnt vmcnt(0) lgkmcnt(0)
	v_fmac_f32_e32 v99, v102, v103
	s_andn2_b64 exec, exec, s[6:7]
	s_cbranch_execnz .LBB110_433
; %bb.434:
	s_or_b64 exec, exec, s[6:7]
.LBB110_435:
	s_or_b64 exec, exec, s[12:13]
	v_mov_b32_e32 v100, 0
	ds_read_b32 v100, v100 offset:8
	s_waitcnt lgkmcnt(0)
	v_mul_f32_e32 v99, v99, v100
	buffer_store_dword v99, off, s[0:3], 0 offset:8
.LBB110_436:
	s_or_b64 exec, exec, s[8:9]
	buffer_load_dword v99, off, s[0:3], 0 offset:4
	v_cmp_lt_u32_e64 s[6:7], 1, v0
	s_waitcnt vmcnt(0)
	ds_write_b32 v96, v99
	s_waitcnt lgkmcnt(0)
	; wave barrier
	s_waitcnt lgkmcnt(0)
	s_and_saveexec_b64 s[8:9], s[6:7]
	s_cbranch_execz .LBB110_446
; %bb.437:
	s_andn2_b64 vcc, exec, s[10:11]
	s_cbranch_vccnz .LBB110_439
; %bb.438:
	buffer_load_dword v99, v97, s[0:3], 0 offen
	ds_read_b32 v100, v96
	s_waitcnt vmcnt(0) lgkmcnt(0)
	v_mul_f32_e32 v99, v99, v100
	s_cbranch_execz .LBB110_440
	s_branch .LBB110_441
.LBB110_439:
                                        ; implicit-def: $vgpr99
.LBB110_440:
	ds_read_b32 v99, v96
.LBB110_441:
	s_and_saveexec_b64 s[12:13], s[4:5]
	s_cbranch_execz .LBB110_445
; %bb.442:
	v_add_u32_e32 v100, -2, v0
	s_movk_i32 s14, 0xc8
	s_mov_b64 s[4:5], 0
.LBB110_443:                            ; =>This Inner Loop Header: Depth=1
	buffer_load_dword v101, v98, s[0:3], 0 offen
	v_mov_b32_e32 v102, s14
	ds_read_b32 v102, v102
	v_add_u32_e32 v100, -1, v100
	s_add_i32 s14, s14, 4
	v_cmp_eq_u32_e32 vcc, 0, v100
	v_add_u32_e32 v98, 4, v98
	s_or_b64 s[4:5], vcc, s[4:5]
	s_waitcnt vmcnt(0) lgkmcnt(0)
	v_fmac_f32_e32 v99, v101, v102
	s_andn2_b64 exec, exec, s[4:5]
	s_cbranch_execnz .LBB110_443
; %bb.444:
	s_or_b64 exec, exec, s[4:5]
.LBB110_445:
	s_or_b64 exec, exec, s[12:13]
	v_mov_b32_e32 v98, 0
	ds_read_b32 v98, v98 offset:4
	s_waitcnt lgkmcnt(0)
	v_mul_f32_e32 v98, v99, v98
	buffer_store_dword v98, off, s[0:3], 0 offset:4
.LBB110_446:
	s_or_b64 exec, exec, s[8:9]
	buffer_load_dword v98, off, s[0:3], 0
	v_cmp_ne_u32_e32 vcc, 0, v0
	s_waitcnt vmcnt(0)
	ds_write_b32 v96, v98
	s_waitcnt lgkmcnt(0)
	; wave barrier
	s_waitcnt lgkmcnt(0)
	s_and_saveexec_b64 s[4:5], vcc
	s_cbranch_execz .LBB110_456
; %bb.447:
	s_andn2_b64 vcc, exec, s[10:11]
	s_cbranch_vccnz .LBB110_449
; %bb.448:
	buffer_load_dword v98, v97, s[0:3], 0 offen
	ds_read_b32 v99, v96
	s_waitcnt vmcnt(0) lgkmcnt(0)
	v_mul_f32_e32 v98, v98, v99
	s_cbranch_execz .LBB110_450
	s_branch .LBB110_451
.LBB110_449:
                                        ; implicit-def: $vgpr98
.LBB110_450:
	ds_read_b32 v98, v96
.LBB110_451:
	s_and_saveexec_b64 s[8:9], s[6:7]
	s_cbranch_execz .LBB110_455
; %bb.452:
	v_mov_b32_e32 v99, 0
	v_or_b32_e32 v99, 4, v99
	v_add_u32_e32 v100, -1, v0
	s_movk_i32 s12, 0xc4
	s_mov_b64 s[6:7], 0
.LBB110_453:                            ; =>This Inner Loop Header: Depth=1
	buffer_load_dword v101, v99, s[0:3], 0 offen
	v_mov_b32_e32 v102, s12
	ds_read_b32 v102, v102
	v_add_u32_e32 v100, -1, v100
	s_add_i32 s12, s12, 4
	v_cmp_eq_u32_e32 vcc, 0, v100
	v_add_u32_e32 v99, 4, v99
	s_or_b64 s[6:7], vcc, s[6:7]
	s_waitcnt vmcnt(0) lgkmcnt(0)
	v_fmac_f32_e32 v98, v101, v102
	s_andn2_b64 exec, exec, s[6:7]
	s_cbranch_execnz .LBB110_453
; %bb.454:
	s_or_b64 exec, exec, s[6:7]
.LBB110_455:
	s_or_b64 exec, exec, s[8:9]
	v_mov_b32_e32 v99, 0
	ds_read_b32 v99, v99
	s_waitcnt lgkmcnt(0)
	v_mul_f32_e32 v98, v98, v99
	buffer_store_dword v98, off, s[0:3], 0
.LBB110_456:
	s_or_b64 exec, exec, s[4:5]
	s_mov_b64 s[4:5], 0
.LBB110_457:
	s_and_b64 vcc, exec, s[4:5]
	s_cbranch_vccz .LBB110_911
; %bb.458:
	buffer_load_dword v98, off, s[0:3], 0 offset:4
	v_cmp_eq_u32_e64 s[6:7], 0, v0
	s_waitcnt vmcnt(0)
	ds_write_b32 v96, v98
	s_waitcnt lgkmcnt(0)
	; wave barrier
	s_waitcnt lgkmcnt(0)
	s_and_saveexec_b64 s[4:5], s[6:7]
	s_cbranch_execz .LBB110_464
; %bb.459:
	s_and_b64 vcc, exec, s[10:11]
	s_cbranch_vccz .LBB110_461
; %bb.460:
	buffer_load_dword v98, v97, s[0:3], 0 offen
	ds_read_b32 v99, v96
	s_waitcnt vmcnt(0) lgkmcnt(0)
	v_mul_f32_e32 v98, v98, v99
	s_cbranch_execz .LBB110_462
	s_branch .LBB110_463
.LBB110_461:
                                        ; implicit-def: $vgpr98
.LBB110_462:
	ds_read_b32 v98, v96
.LBB110_463:
	v_mov_b32_e32 v99, 0
	ds_read_b32 v99, v99 offset:4
	s_waitcnt lgkmcnt(0)
	v_mul_f32_e32 v98, v98, v99
	buffer_store_dword v98, off, s[0:3], 0 offset:4
.LBB110_464:
	s_or_b64 exec, exec, s[4:5]
	buffer_load_dword v98, off, s[0:3], 0 offset:8
	v_cndmask_b32_e64 v99, 0, 1, s[10:11]
	v_cmp_gt_u32_e32 vcc, 2, v0
	v_cmp_ne_u32_e64 s[4:5], 1, v99
	s_waitcnt vmcnt(0)
	ds_write_b32 v96, v98
	s_waitcnt lgkmcnt(0)
	; wave barrier
	s_waitcnt lgkmcnt(0)
	s_and_saveexec_b64 s[8:9], vcc
	s_cbranch_execz .LBB110_472
; %bb.465:
	s_and_b64 vcc, exec, s[4:5]
	s_cbranch_vccnz .LBB110_467
; %bb.466:
	buffer_load_dword v98, v97, s[0:3], 0 offen
	ds_read_b32 v99, v96
	s_waitcnt vmcnt(0) lgkmcnt(0)
	v_mul_f32_e32 v98, v98, v99
	s_cbranch_execz .LBB110_468
	s_branch .LBB110_469
.LBB110_467:
                                        ; implicit-def: $vgpr98
.LBB110_468:
	ds_read_b32 v98, v96
.LBB110_469:
	s_and_saveexec_b64 s[10:11], s[6:7]
	s_cbranch_execz .LBB110_471
; %bb.470:
	buffer_load_dword v99, v97, s[0:3], 0 offen offset:4
	ds_read_b32 v100, v96 offset:4
	s_waitcnt vmcnt(0) lgkmcnt(0)
	v_fmac_f32_e32 v98, v99, v100
.LBB110_471:
	s_or_b64 exec, exec, s[10:11]
	v_mov_b32_e32 v99, 0
	ds_read_b32 v99, v99 offset:8
	s_waitcnt lgkmcnt(0)
	v_mul_f32_e32 v98, v98, v99
	buffer_store_dword v98, off, s[0:3], 0 offset:8
.LBB110_472:
	s_or_b64 exec, exec, s[8:9]
	buffer_load_dword v98, off, s[0:3], 0 offset:12
	v_cmp_gt_u32_e32 vcc, 3, v0
	s_waitcnt vmcnt(0)
	ds_write_b32 v96, v98
	s_waitcnt lgkmcnt(0)
	; wave barrier
	s_waitcnt lgkmcnt(0)
	s_and_saveexec_b64 s[8:9], vcc
	s_cbranch_execz .LBB110_480
; %bb.473:
	s_and_b64 vcc, exec, s[4:5]
	s_cbranch_vccnz .LBB110_475
; %bb.474:
	buffer_load_dword v98, v97, s[0:3], 0 offen
	ds_read_b32 v99, v96
	s_waitcnt vmcnt(0) lgkmcnt(0)
	v_mul_f32_e32 v98, v98, v99
	s_cbranch_execz .LBB110_476
	s_branch .LBB110_477
.LBB110_475:
                                        ; implicit-def: $vgpr98
.LBB110_476:
	ds_read_b32 v98, v96
.LBB110_477:
	v_cmp_ne_u32_e32 vcc, 2, v0
	s_and_saveexec_b64 s[10:11], vcc
	s_cbranch_execz .LBB110_479
; %bb.478:
	buffer_load_dword v99, v97, s[0:3], 0 offen offset:4
	buffer_load_dword v100, off, s[0:3], 0 offset:8
	v_mov_b32_e32 v101, 0
	ds_read_b32 v102, v96 offset:4
	ds_read_b32 v101, v101 offset:200
	s_waitcnt vmcnt(1) lgkmcnt(1)
	v_fmac_f32_e32 v98, v99, v102
	s_waitcnt vmcnt(0) lgkmcnt(0)
	v_fma_f32 v99, v100, v101, v98
	v_cndmask_b32_e64 v98, v98, v99, s[6:7]
.LBB110_479:
	s_or_b64 exec, exec, s[10:11]
	v_mov_b32_e32 v99, 0
	ds_read_b32 v99, v99 offset:12
	s_waitcnt lgkmcnt(0)
	v_mul_f32_e32 v98, v98, v99
	buffer_store_dword v98, off, s[0:3], 0 offset:12
.LBB110_480:
	s_or_b64 exec, exec, s[8:9]
	buffer_load_dword v98, off, s[0:3], 0 offset:16
	v_cmp_gt_u32_e32 vcc, 4, v0
	s_waitcnt vmcnt(0)
	ds_write_b32 v96, v98
	s_waitcnt lgkmcnt(0)
	; wave barrier
	s_waitcnt lgkmcnt(0)
	s_and_saveexec_b64 s[6:7], vcc
	s_cbranch_execz .LBB110_490
; %bb.481:
	s_and_b64 vcc, exec, s[4:5]
	s_cbranch_vccnz .LBB110_483
; %bb.482:
	buffer_load_dword v98, v97, s[0:3], 0 offen
	ds_read_b32 v99, v96
	s_waitcnt vmcnt(0) lgkmcnt(0)
	v_mul_f32_e32 v98, v98, v99
	s_cbranch_execz .LBB110_484
	s_branch .LBB110_485
.LBB110_483:
                                        ; implicit-def: $vgpr98
.LBB110_484:
	ds_read_b32 v98, v96
.LBB110_485:
	v_cmp_ne_u32_e32 vcc, 3, v0
	s_and_saveexec_b64 s[8:9], vcc
	s_cbranch_execz .LBB110_489
; %bb.486:
	v_mov_b32_e32 v100, 0
	v_add_u32_e32 v99, 0xc4, v1
	v_add3_u32 v100, v1, v100, 4
	s_mov_b64 s[10:11], 0
	v_mov_b32_e32 v101, v0
.LBB110_487:                            ; =>This Inner Loop Header: Depth=1
	buffer_load_dword v102, v100, s[0:3], 0 offen
	ds_read_b32 v103, v99
	v_add_u32_e32 v101, 1, v101
	v_cmp_lt_u32_e32 vcc, 2, v101
	v_add_u32_e32 v99, 4, v99
	v_add_u32_e32 v100, 4, v100
	s_or_b64 s[10:11], vcc, s[10:11]
	s_waitcnt vmcnt(0) lgkmcnt(0)
	v_fmac_f32_e32 v98, v102, v103
	s_andn2_b64 exec, exec, s[10:11]
	s_cbranch_execnz .LBB110_487
; %bb.488:
	s_or_b64 exec, exec, s[10:11]
.LBB110_489:
	s_or_b64 exec, exec, s[8:9]
	v_mov_b32_e32 v99, 0
	ds_read_b32 v99, v99 offset:16
	s_waitcnt lgkmcnt(0)
	v_mul_f32_e32 v98, v98, v99
	buffer_store_dword v98, off, s[0:3], 0 offset:16
.LBB110_490:
	s_or_b64 exec, exec, s[6:7]
	buffer_load_dword v98, off, s[0:3], 0 offset:20
	v_cmp_gt_u32_e32 vcc, 5, v0
	s_waitcnt vmcnt(0)
	ds_write_b32 v96, v98
	s_waitcnt lgkmcnt(0)
	; wave barrier
	s_waitcnt lgkmcnt(0)
	s_and_saveexec_b64 s[6:7], vcc
	s_cbranch_execz .LBB110_500
; %bb.491:
	s_and_b64 vcc, exec, s[4:5]
	s_cbranch_vccnz .LBB110_493
; %bb.492:
	buffer_load_dword v98, v97, s[0:3], 0 offen
	ds_read_b32 v99, v96
	s_waitcnt vmcnt(0) lgkmcnt(0)
	v_mul_f32_e32 v98, v98, v99
	s_cbranch_execz .LBB110_494
	s_branch .LBB110_495
.LBB110_493:
                                        ; implicit-def: $vgpr98
.LBB110_494:
	ds_read_b32 v98, v96
.LBB110_495:
	v_cmp_ne_u32_e32 vcc, 4, v0
	s_and_saveexec_b64 s[8:9], vcc
	s_cbranch_execz .LBB110_499
; %bb.496:
	v_mov_b32_e32 v100, 0
	v_add_u32_e32 v99, 0xc4, v1
	v_add3_u32 v100, v1, v100, 4
	s_mov_b64 s[10:11], 0
	v_mov_b32_e32 v101, v0
.LBB110_497:                            ; =>This Inner Loop Header: Depth=1
	buffer_load_dword v102, v100, s[0:3], 0 offen
	ds_read_b32 v103, v99
	v_add_u32_e32 v101, 1, v101
	v_cmp_lt_u32_e32 vcc, 3, v101
	v_add_u32_e32 v99, 4, v99
	v_add_u32_e32 v100, 4, v100
	s_or_b64 s[10:11], vcc, s[10:11]
	s_waitcnt vmcnt(0) lgkmcnt(0)
	v_fmac_f32_e32 v98, v102, v103
	s_andn2_b64 exec, exec, s[10:11]
	s_cbranch_execnz .LBB110_497
; %bb.498:
	s_or_b64 exec, exec, s[10:11]
.LBB110_499:
	s_or_b64 exec, exec, s[8:9]
	v_mov_b32_e32 v99, 0
	ds_read_b32 v99, v99 offset:20
	s_waitcnt lgkmcnt(0)
	v_mul_f32_e32 v98, v98, v99
	buffer_store_dword v98, off, s[0:3], 0 offset:20
.LBB110_500:
	;; [unrolled: 56-line block ×41, first 2 shown]
	s_or_b64 exec, exec, s[6:7]
	buffer_load_dword v98, off, s[0:3], 0 offset:180
	v_cmp_gt_u32_e64 s[6:7], 45, v0
	s_waitcnt vmcnt(0)
	ds_write_b32 v96, v98
	s_waitcnt lgkmcnt(0)
	; wave barrier
	s_waitcnt lgkmcnt(0)
	s_and_saveexec_b64 s[8:9], s[6:7]
	s_cbranch_execz .LBB110_900
; %bb.891:
	s_and_b64 vcc, exec, s[4:5]
	s_cbranch_vccnz .LBB110_893
; %bb.892:
	buffer_load_dword v98, v97, s[0:3], 0 offen
	ds_read_b32 v99, v96
	s_waitcnt vmcnt(0) lgkmcnt(0)
	v_mul_f32_e32 v98, v98, v99
	s_cbranch_execz .LBB110_894
	s_branch .LBB110_895
.LBB110_893:
                                        ; implicit-def: $vgpr98
.LBB110_894:
	ds_read_b32 v98, v96
.LBB110_895:
	v_cmp_ne_u32_e32 vcc, 44, v0
	s_and_saveexec_b64 s[10:11], vcc
	s_cbranch_execz .LBB110_899
; %bb.896:
	v_mov_b32_e32 v100, 0
	v_add_u32_e32 v99, 0xc4, v1
	v_add3_u32 v100, v1, v100, 4
	s_mov_b64 s[12:13], 0
	v_mov_b32_e32 v101, v0
.LBB110_897:                            ; =>This Inner Loop Header: Depth=1
	buffer_load_dword v102, v100, s[0:3], 0 offen
	ds_read_b32 v103, v99
	v_add_u32_e32 v101, 1, v101
	v_cmp_lt_u32_e32 vcc, 43, v101
	v_add_u32_e32 v99, 4, v99
	v_add_u32_e32 v100, 4, v100
	s_or_b64 s[12:13], vcc, s[12:13]
	s_waitcnt vmcnt(0) lgkmcnt(0)
	v_fmac_f32_e32 v98, v102, v103
	s_andn2_b64 exec, exec, s[12:13]
	s_cbranch_execnz .LBB110_897
; %bb.898:
	s_or_b64 exec, exec, s[12:13]
.LBB110_899:
	s_or_b64 exec, exec, s[10:11]
	v_mov_b32_e32 v99, 0
	ds_read_b32 v99, v99 offset:180
	s_waitcnt lgkmcnt(0)
	v_mul_f32_e32 v98, v98, v99
	buffer_store_dword v98, off, s[0:3], 0 offset:180
.LBB110_900:
	s_or_b64 exec, exec, s[8:9]
	buffer_load_dword v98, off, s[0:3], 0 offset:184
	v_cmp_ne_u32_e32 vcc, 46, v0
	s_waitcnt vmcnt(0)
	ds_write_b32 v96, v98
	s_waitcnt lgkmcnt(0)
	; wave barrier
	s_waitcnt lgkmcnt(0)
	s_and_saveexec_b64 s[8:9], vcc
	s_cbranch_execz .LBB110_910
; %bb.901:
	s_and_b64 vcc, exec, s[4:5]
	s_cbranch_vccnz .LBB110_903
; %bb.902:
	buffer_load_dword v97, v97, s[0:3], 0 offen
	ds_read_b32 v98, v96
	s_waitcnt vmcnt(0) lgkmcnt(0)
	v_mul_f32_e32 v97, v97, v98
	s_cbranch_execz .LBB110_904
	s_branch .LBB110_905
.LBB110_903:
                                        ; implicit-def: $vgpr97
.LBB110_904:
	ds_read_b32 v97, v96
.LBB110_905:
	s_and_saveexec_b64 s[4:5], s[6:7]
	s_cbranch_execz .LBB110_909
; %bb.906:
	v_mov_b32_e32 v98, 0
	v_add_u32_e32 v96, 0xc4, v1
	v_add3_u32 v1, v1, v98, 4
	s_mov_b64 s[6:7], 0
.LBB110_907:                            ; =>This Inner Loop Header: Depth=1
	buffer_load_dword v98, v1, s[0:3], 0 offen
	ds_read_b32 v99, v96
	v_add_u32_e32 v0, 1, v0
	v_cmp_lt_u32_e32 vcc, 44, v0
	v_add_u32_e32 v96, 4, v96
	v_add_u32_e32 v1, 4, v1
	s_or_b64 s[6:7], vcc, s[6:7]
	s_waitcnt vmcnt(0) lgkmcnt(0)
	v_fmac_f32_e32 v97, v98, v99
	s_andn2_b64 exec, exec, s[6:7]
	s_cbranch_execnz .LBB110_907
; %bb.908:
	s_or_b64 exec, exec, s[6:7]
.LBB110_909:
	s_or_b64 exec, exec, s[4:5]
	v_mov_b32_e32 v0, 0
	ds_read_b32 v0, v0 offset:184
	s_waitcnt lgkmcnt(0)
	v_mul_f32_e32 v0, v97, v0
	buffer_store_dword v0, off, s[0:3], 0 offset:184
.LBB110_910:
	s_or_b64 exec, exec, s[8:9]
.LBB110_911:
	buffer_load_dword v0, off, s[0:3], 0
	buffer_load_dword v1, off, s[0:3], 0 offset:4
	buffer_load_dword v96, off, s[0:3], 0 offset:8
	;; [unrolled: 1-line block ×23, first 2 shown]
	s_waitcnt vmcnt(23)
	global_store_dword v[84:85], v0, off
	buffer_load_dword v0, off, s[0:3], 0 offset:96
	s_nop 0
	buffer_load_dword v84, off, s[0:3], 0 offset:100
	buffer_load_dword v85, off, s[0:3], 0 offset:104
	;; [unrolled: 1-line block ×7, first 2 shown]
	s_waitcnt vmcnt(31)
	global_store_dword v[82:83], v1, off
	s_waitcnt vmcnt(31)
	global_store_dword v[2:3], v96, off
	;; [unrolled: 2-line block ×3, first 2 shown]
	buffer_load_dword v1, off, s[0:3], 0 offset:128
	buffer_load_dword v2, off, s[0:3], 0 offset:132
	;; [unrolled: 1-line block ×3, first 2 shown]
	s_nop 0
	buffer_load_dword v6, off, s[0:3], 0 offset:140
	buffer_load_dword v7, off, s[0:3], 0 offset:144
	;; [unrolled: 1-line block ×5, first 2 shown]
	s_waitcnt vmcnt(39)
	global_store_dword v[4:5], v98, off
	s_waitcnt vmcnt(39)
	global_store_dword v[10:11], v99, off
	buffer_load_dword v4, off, s[0:3], 0 offset:160
	buffer_load_dword v5, off, s[0:3], 0 offset:164
	s_nop 0
	buffer_load_dword v10, off, s[0:3], 0 offset:168
	buffer_load_dword v11, off, s[0:3], 0 offset:172
	;; [unrolled: 1-line block ×5, first 2 shown]
	s_waitcnt vmcnt(46)
	global_store_dword v[8:9], v100, off
	s_waitcnt vmcnt(46)
	global_store_dword v[12:13], v101, off
	;; [unrolled: 2-line block ×41, first 2 shown]
.LBB110_912:
	s_endpgm
	.section	.rodata,"a",@progbits
	.p2align	6, 0x0
	.amdhsa_kernel _ZN9rocsolver6v33100L18trti2_kernel_smallILi47EfPKPfEEv13rocblas_fill_17rocblas_diagonal_T1_iil
		.amdhsa_group_segment_fixed_size 380
		.amdhsa_private_segment_fixed_size 192
		.amdhsa_kernarg_size 32
		.amdhsa_user_sgpr_count 8
		.amdhsa_user_sgpr_private_segment_buffer 1
		.amdhsa_user_sgpr_dispatch_ptr 0
		.amdhsa_user_sgpr_queue_ptr 0
		.amdhsa_user_sgpr_kernarg_segment_ptr 1
		.amdhsa_user_sgpr_dispatch_id 0
		.amdhsa_user_sgpr_flat_scratch_init 1
		.amdhsa_user_sgpr_kernarg_preload_length 0
		.amdhsa_user_sgpr_kernarg_preload_offset 0
		.amdhsa_user_sgpr_private_segment_size 0
		.amdhsa_uses_dynamic_stack 0
		.amdhsa_system_sgpr_private_segment_wavefront_offset 1
		.amdhsa_system_sgpr_workgroup_id_x 1
		.amdhsa_system_sgpr_workgroup_id_y 0
		.amdhsa_system_sgpr_workgroup_id_z 0
		.amdhsa_system_sgpr_workgroup_info 0
		.amdhsa_system_vgpr_workitem_id 0
		.amdhsa_next_free_vgpr 124
		.amdhsa_next_free_sgpr 16
		.amdhsa_accum_offset 124
		.amdhsa_reserve_vcc 1
		.amdhsa_reserve_flat_scratch 0
		.amdhsa_float_round_mode_32 0
		.amdhsa_float_round_mode_16_64 0
		.amdhsa_float_denorm_mode_32 3
		.amdhsa_float_denorm_mode_16_64 3
		.amdhsa_dx10_clamp 1
		.amdhsa_ieee_mode 1
		.amdhsa_fp16_overflow 0
		.amdhsa_tg_split 0
		.amdhsa_exception_fp_ieee_invalid_op 0
		.amdhsa_exception_fp_denorm_src 0
		.amdhsa_exception_fp_ieee_div_zero 0
		.amdhsa_exception_fp_ieee_overflow 0
		.amdhsa_exception_fp_ieee_underflow 0
		.amdhsa_exception_fp_ieee_inexact 0
		.amdhsa_exception_int_div_zero 0
	.end_amdhsa_kernel
	.section	.text._ZN9rocsolver6v33100L18trti2_kernel_smallILi47EfPKPfEEv13rocblas_fill_17rocblas_diagonal_T1_iil,"axG",@progbits,_ZN9rocsolver6v33100L18trti2_kernel_smallILi47EfPKPfEEv13rocblas_fill_17rocblas_diagonal_T1_iil,comdat
.Lfunc_end110:
	.size	_ZN9rocsolver6v33100L18trti2_kernel_smallILi47EfPKPfEEv13rocblas_fill_17rocblas_diagonal_T1_iil, .Lfunc_end110-_ZN9rocsolver6v33100L18trti2_kernel_smallILi47EfPKPfEEv13rocblas_fill_17rocblas_diagonal_T1_iil
                                        ; -- End function
	.section	.AMDGPU.csdata,"",@progbits
; Kernel info:
; codeLenInByte = 22996
; NumSgprs: 20
; NumVgprs: 124
; NumAgprs: 0
; TotalNumVgprs: 124
; ScratchSize: 192
; MemoryBound: 0
; FloatMode: 240
; IeeeMode: 1
; LDSByteSize: 380 bytes/workgroup (compile time only)
; SGPRBlocks: 2
; VGPRBlocks: 15
; NumSGPRsForWavesPerEU: 20
; NumVGPRsForWavesPerEU: 124
; AccumOffset: 124
; Occupancy: 4
; WaveLimiterHint : 1
; COMPUTE_PGM_RSRC2:SCRATCH_EN: 1
; COMPUTE_PGM_RSRC2:USER_SGPR: 8
; COMPUTE_PGM_RSRC2:TRAP_HANDLER: 0
; COMPUTE_PGM_RSRC2:TGID_X_EN: 1
; COMPUTE_PGM_RSRC2:TGID_Y_EN: 0
; COMPUTE_PGM_RSRC2:TGID_Z_EN: 0
; COMPUTE_PGM_RSRC2:TIDIG_COMP_CNT: 0
; COMPUTE_PGM_RSRC3_GFX90A:ACCUM_OFFSET: 30
; COMPUTE_PGM_RSRC3_GFX90A:TG_SPLIT: 0
	.section	.text._ZN9rocsolver6v33100L18trti2_kernel_smallILi48EfPKPfEEv13rocblas_fill_17rocblas_diagonal_T1_iil,"axG",@progbits,_ZN9rocsolver6v33100L18trti2_kernel_smallILi48EfPKPfEEv13rocblas_fill_17rocblas_diagonal_T1_iil,comdat
	.globl	_ZN9rocsolver6v33100L18trti2_kernel_smallILi48EfPKPfEEv13rocblas_fill_17rocblas_diagonal_T1_iil ; -- Begin function _ZN9rocsolver6v33100L18trti2_kernel_smallILi48EfPKPfEEv13rocblas_fill_17rocblas_diagonal_T1_iil
	.p2align	8
	.type	_ZN9rocsolver6v33100L18trti2_kernel_smallILi48EfPKPfEEv13rocblas_fill_17rocblas_diagonal_T1_iil,@function
_ZN9rocsolver6v33100L18trti2_kernel_smallILi48EfPKPfEEv13rocblas_fill_17rocblas_diagonal_T1_iil: ; @_ZN9rocsolver6v33100L18trti2_kernel_smallILi48EfPKPfEEv13rocblas_fill_17rocblas_diagonal_T1_iil
; %bb.0:
	s_add_u32 s0, s0, s9
	s_addc_u32 s1, s1, 0
	v_cmp_gt_u32_e32 vcc, 48, v0
	s_and_saveexec_b64 s[6:7], vcc
	s_cbranch_execz .LBB111_932
; %bb.1:
	s_load_dwordx2 s[6:7], s[4:5], 0x10
	s_load_dwordx4 s[12:15], s[4:5], 0x0
	s_ashr_i32 s9, s8, 31
	s_lshl_b64 s[4:5], s[8:9], 3
	s_waitcnt lgkmcnt(0)
	s_ashr_i32 s9, s6, 31
	s_add_u32 s4, s14, s4
	s_addc_u32 s5, s15, s5
	s_load_dwordx2 s[4:5], s[4:5], 0x0
	s_mov_b32 s8, s6
	s_lshl_b64 s[8:9], s[8:9], 2
	s_waitcnt lgkmcnt(0)
	s_add_u32 s4, s4, s8
	s_addc_u32 s5, s5, s9
	s_add_i32 s6, s7, s7
	v_add_u32_e32 v4, s6, v0
	v_ashrrev_i32_e32 v5, 31, v4
	v_lshlrev_b64 v[2:3], 2, v[4:5]
	v_add_u32_e32 v4, s7, v4
	v_mov_b32_e32 v1, s5
	v_add_co_u32_e32 v2, vcc, s4, v2
	v_ashrrev_i32_e32 v5, 31, v4
	v_addc_co_u32_e32 v3, vcc, v1, v3, vcc
	v_lshlrev_b64 v[6:7], 2, v[4:5]
	v_add_u32_e32 v8, s7, v4
	v_add_co_u32_e32 v6, vcc, s4, v6
	v_ashrrev_i32_e32 v9, 31, v8
	v_addc_co_u32_e32 v7, vcc, v1, v7, vcc
	v_lshlrev_b64 v[4:5], 2, v[8:9]
	v_add_u32_e32 v10, s7, v8
	v_add_co_u32_e32 v4, vcc, s4, v4
	v_ashrrev_i32_e32 v11, 31, v10
	v_addc_co_u32_e32 v5, vcc, v1, v5, vcc
	v_lshlrev_b64 v[8:9], 2, v[10:11]
	v_add_u32_e32 v10, s7, v10
	v_add_co_u32_e32 v8, vcc, s4, v8
	v_ashrrev_i32_e32 v11, 31, v10
	v_addc_co_u32_e32 v9, vcc, v1, v9, vcc
	v_lshlrev_b64 v[12:13], 2, v[10:11]
	v_add_u32_e32 v14, s7, v10
	v_add_co_u32_e32 v12, vcc, s4, v12
	v_ashrrev_i32_e32 v15, 31, v14
	v_addc_co_u32_e32 v13, vcc, v1, v13, vcc
	v_lshlrev_b64 v[10:11], 2, v[14:15]
	v_add_u32_e32 v16, s7, v14
	v_add_co_u32_e32 v10, vcc, s4, v10
	v_ashrrev_i32_e32 v17, 31, v16
	v_addc_co_u32_e32 v11, vcc, v1, v11, vcc
	v_lshlrev_b64 v[14:15], 2, v[16:17]
	v_add_u32_e32 v18, s7, v16
	v_add_co_u32_e32 v14, vcc, s4, v14
	v_ashrrev_i32_e32 v19, 31, v18
	v_addc_co_u32_e32 v15, vcc, v1, v15, vcc
	v_lshlrev_b64 v[16:17], 2, v[18:19]
	v_add_u32_e32 v20, s7, v18
	v_add_co_u32_e32 v16, vcc, s4, v16
	v_ashrrev_i32_e32 v21, 31, v20
	v_addc_co_u32_e32 v17, vcc, v1, v17, vcc
	v_lshlrev_b64 v[18:19], 2, v[20:21]
	v_add_u32_e32 v22, s7, v20
	v_add_co_u32_e32 v18, vcc, s4, v18
	v_ashrrev_i32_e32 v23, 31, v22
	v_addc_co_u32_e32 v19, vcc, v1, v19, vcc
	v_lshlrev_b64 v[20:21], 2, v[22:23]
	v_add_u32_e32 v24, s7, v22
	v_add_co_u32_e32 v20, vcc, s4, v20
	v_ashrrev_i32_e32 v25, 31, v24
	v_addc_co_u32_e32 v21, vcc, v1, v21, vcc
	v_lshlrev_b64 v[22:23], 2, v[24:25]
	v_add_u32_e32 v26, s7, v24
	v_add_co_u32_e32 v22, vcc, s4, v22
	v_ashrrev_i32_e32 v27, 31, v26
	v_addc_co_u32_e32 v23, vcc, v1, v23, vcc
	v_lshlrev_b64 v[24:25], 2, v[26:27]
	v_add_u32_e32 v28, s7, v26
	v_add_co_u32_e32 v24, vcc, s4, v24
	v_ashrrev_i32_e32 v29, 31, v28
	v_addc_co_u32_e32 v25, vcc, v1, v25, vcc
	v_lshlrev_b64 v[26:27], 2, v[28:29]
	v_add_u32_e32 v30, s7, v28
	v_add_co_u32_e32 v26, vcc, s4, v26
	v_ashrrev_i32_e32 v31, 31, v30
	v_addc_co_u32_e32 v27, vcc, v1, v27, vcc
	v_lshlrev_b64 v[28:29], 2, v[30:31]
	v_add_u32_e32 v32, s7, v30
	v_add_co_u32_e32 v28, vcc, s4, v28
	v_ashrrev_i32_e32 v33, 31, v32
	v_addc_co_u32_e32 v29, vcc, v1, v29, vcc
	v_lshlrev_b64 v[30:31], 2, v[32:33]
	v_add_u32_e32 v34, s7, v32
	v_add_co_u32_e32 v30, vcc, s4, v30
	v_ashrrev_i32_e32 v35, 31, v34
	v_addc_co_u32_e32 v31, vcc, v1, v31, vcc
	v_lshlrev_b64 v[32:33], 2, v[34:35]
	v_add_u32_e32 v36, s7, v34
	v_add_co_u32_e32 v32, vcc, s4, v32
	v_ashrrev_i32_e32 v37, 31, v36
	v_addc_co_u32_e32 v33, vcc, v1, v33, vcc
	v_lshlrev_b64 v[34:35], 2, v[36:37]
	v_add_u32_e32 v38, s7, v36
	v_add_co_u32_e32 v34, vcc, s4, v34
	v_ashrrev_i32_e32 v39, 31, v38
	v_addc_co_u32_e32 v35, vcc, v1, v35, vcc
	v_lshlrev_b64 v[36:37], 2, v[38:39]
	v_add_u32_e32 v40, s7, v38
	v_add_co_u32_e32 v36, vcc, s4, v36
	v_ashrrev_i32_e32 v41, 31, v40
	v_addc_co_u32_e32 v37, vcc, v1, v37, vcc
	v_lshlrev_b64 v[38:39], 2, v[40:41]
	v_add_u32_e32 v42, s7, v40
	v_add_co_u32_e32 v38, vcc, s4, v38
	v_ashrrev_i32_e32 v43, 31, v42
	v_addc_co_u32_e32 v39, vcc, v1, v39, vcc
	v_lshlrev_b64 v[40:41], 2, v[42:43]
	v_add_u32_e32 v44, s7, v42
	v_add_co_u32_e32 v40, vcc, s4, v40
	v_ashrrev_i32_e32 v45, 31, v44
	v_addc_co_u32_e32 v41, vcc, v1, v41, vcc
	v_lshlrev_b64 v[42:43], 2, v[44:45]
	v_add_u32_e32 v46, s7, v44
	v_add_co_u32_e32 v42, vcc, s4, v42
	v_ashrrev_i32_e32 v47, 31, v46
	v_addc_co_u32_e32 v43, vcc, v1, v43, vcc
	v_lshlrev_b64 v[44:45], 2, v[46:47]
	v_add_u32_e32 v48, s7, v46
	v_add_co_u32_e32 v44, vcc, s4, v44
	v_ashrrev_i32_e32 v49, 31, v48
	v_addc_co_u32_e32 v45, vcc, v1, v45, vcc
	v_lshlrev_b64 v[46:47], 2, v[48:49]
	v_add_u32_e32 v50, s7, v48
	v_add_co_u32_e32 v46, vcc, s4, v46
	v_ashrrev_i32_e32 v51, 31, v50
	v_addc_co_u32_e32 v47, vcc, v1, v47, vcc
	v_lshlrev_b64 v[48:49], 2, v[50:51]
	v_add_u32_e32 v52, s7, v50
	v_add_co_u32_e32 v48, vcc, s4, v48
	v_ashrrev_i32_e32 v53, 31, v52
	v_addc_co_u32_e32 v49, vcc, v1, v49, vcc
	v_lshlrev_b64 v[50:51], 2, v[52:53]
	v_add_u32_e32 v54, s7, v52
	v_add_co_u32_e32 v50, vcc, s4, v50
	v_ashrrev_i32_e32 v55, 31, v54
	v_addc_co_u32_e32 v51, vcc, v1, v51, vcc
	v_lshlrev_b64 v[52:53], 2, v[54:55]
	v_add_u32_e32 v56, s7, v54
	v_add_co_u32_e32 v52, vcc, s4, v52
	v_ashrrev_i32_e32 v57, 31, v56
	v_addc_co_u32_e32 v53, vcc, v1, v53, vcc
	v_lshlrev_b64 v[54:55], 2, v[56:57]
	v_add_u32_e32 v58, s7, v56
	v_add_co_u32_e32 v54, vcc, s4, v54
	v_ashrrev_i32_e32 v59, 31, v58
	v_addc_co_u32_e32 v55, vcc, v1, v55, vcc
	v_lshlrev_b64 v[56:57], 2, v[58:59]
	v_add_u32_e32 v60, s7, v58
	v_add_co_u32_e32 v56, vcc, s4, v56
	v_ashrrev_i32_e32 v61, 31, v60
	v_addc_co_u32_e32 v57, vcc, v1, v57, vcc
	v_lshlrev_b64 v[58:59], 2, v[60:61]
	v_add_u32_e32 v62, s7, v60
	v_add_co_u32_e32 v58, vcc, s4, v58
	v_ashrrev_i32_e32 v63, 31, v62
	v_addc_co_u32_e32 v59, vcc, v1, v59, vcc
	v_lshlrev_b64 v[60:61], 2, v[62:63]
	v_add_u32_e32 v64, s7, v62
	v_add_co_u32_e32 v60, vcc, s4, v60
	v_ashrrev_i32_e32 v65, 31, v64
	v_addc_co_u32_e32 v61, vcc, v1, v61, vcc
	v_lshlrev_b64 v[62:63], 2, v[64:65]
	v_add_u32_e32 v66, s7, v64
	v_add_co_u32_e32 v62, vcc, s4, v62
	v_ashrrev_i32_e32 v67, 31, v66
	v_addc_co_u32_e32 v63, vcc, v1, v63, vcc
	v_lshlrev_b64 v[64:65], 2, v[66:67]
	v_add_u32_e32 v68, s7, v66
	v_add_co_u32_e32 v64, vcc, s4, v64
	v_ashrrev_i32_e32 v69, 31, v68
	v_addc_co_u32_e32 v65, vcc, v1, v65, vcc
	v_lshlrev_b64 v[66:67], 2, v[68:69]
	v_add_u32_e32 v70, s7, v68
	v_add_co_u32_e32 v66, vcc, s4, v66
	v_ashrrev_i32_e32 v71, 31, v70
	v_addc_co_u32_e32 v67, vcc, v1, v67, vcc
	v_lshlrev_b64 v[68:69], 2, v[70:71]
	v_add_u32_e32 v72, s7, v70
	v_add_co_u32_e32 v68, vcc, s4, v68
	v_ashrrev_i32_e32 v73, 31, v72
	v_addc_co_u32_e32 v69, vcc, v1, v69, vcc
	v_lshlrev_b64 v[70:71], 2, v[72:73]
	v_add_u32_e32 v74, s7, v72
	v_add_co_u32_e32 v70, vcc, s4, v70
	v_ashrrev_i32_e32 v75, 31, v74
	v_addc_co_u32_e32 v71, vcc, v1, v71, vcc
	v_lshlrev_b64 v[72:73], 2, v[74:75]
	v_add_u32_e32 v76, s7, v74
	v_add_co_u32_e32 v72, vcc, s4, v72
	v_ashrrev_i32_e32 v77, 31, v76
	v_addc_co_u32_e32 v73, vcc, v1, v73, vcc
	v_lshlrev_b64 v[74:75], 2, v[76:77]
	v_add_u32_e32 v78, s7, v76
	v_add_co_u32_e32 v74, vcc, s4, v74
	v_ashrrev_i32_e32 v79, 31, v78
	v_addc_co_u32_e32 v75, vcc, v1, v75, vcc
	v_lshlrev_b64 v[76:77], 2, v[78:79]
	v_add_u32_e32 v80, s7, v78
	v_add_co_u32_e32 v76, vcc, s4, v76
	v_ashrrev_i32_e32 v81, 31, v80
	v_addc_co_u32_e32 v77, vcc, v1, v77, vcc
	v_lshlrev_b64 v[78:79], 2, v[80:81]
	v_add_u32_e32 v82, s7, v80
	v_add_co_u32_e32 v78, vcc, s4, v78
	v_ashrrev_i32_e32 v83, 31, v82
	v_addc_co_u32_e32 v79, vcc, v1, v79, vcc
	v_lshlrev_b64 v[80:81], 2, v[82:83]
	v_add_u32_e32 v84, s7, v82
	v_add_co_u32_e32 v80, vcc, s4, v80
	v_ashrrev_i32_e32 v85, 31, v84
	v_addc_co_u32_e32 v81, vcc, v1, v81, vcc
	v_lshlrev_b64 v[82:83], 2, v[84:85]
	v_add_u32_e32 v86, s7, v84
	v_add_co_u32_e32 v82, vcc, s4, v82
	v_ashrrev_i32_e32 v87, 31, v86
	v_addc_co_u32_e32 v83, vcc, v1, v83, vcc
	v_lshlrev_b64 v[84:85], 2, v[86:87]
	v_add_u32_e32 v88, s7, v86
	v_add_co_u32_e32 v84, vcc, s4, v84
	v_ashrrev_i32_e32 v89, 31, v88
	v_addc_co_u32_e32 v85, vcc, v1, v85, vcc
	v_lshlrev_b64 v[86:87], 2, v[88:89]
	v_add_co_u32_e32 v86, vcc, s4, v86
	v_add_u32_e32 v90, s7, v88
	v_addc_co_u32_e32 v87, vcc, v1, v87, vcc
	v_ashrrev_i32_e32 v91, 31, v90
	v_lshlrev_b32_e32 v1, 2, v0
	v_lshlrev_b64 v[88:89], 2, v[90:91]
	v_mov_b32_e32 v91, s5
	v_add_co_u32_e32 v94, vcc, s4, v1
	s_ashr_i32 s9, s7, 31
	s_mov_b32 s8, s7
	v_addc_co_u32_e32 v95, vcc, 0, v91, vcc
	s_lshl_b64 s[8:9], s[8:9], 2
	v_mov_b32_e32 v91, s9
	v_add_co_u32_e32 v96, vcc, s8, v94
	v_addc_co_u32_e32 v97, vcc, v95, v91, vcc
	v_mov_b32_e32 v92, s5
	v_add_co_u32_e32 v88, vcc, s4, v88
	v_addc_co_u32_e32 v89, vcc, v92, v89, vcc
	v_add_u32_e32 v92, s7, v90
	v_ashrrev_i32_e32 v93, 31, v92
	v_lshlrev_b64 v[90:91], 2, v[92:93]
	v_add_u32_e32 v92, s7, v92
	global_load_dword v98, v1, s[4:5]
	global_load_dword v99, v[96:97], off
	global_load_dword v100, v[2:3], off
	;; [unrolled: 1-line block ×18, first 2 shown]
	v_mov_b32_e32 v117, s5
	v_add_co_u32_e32 v90, vcc, s4, v90
	v_ashrrev_i32_e32 v93, 31, v92
	v_addc_co_u32_e32 v91, vcc, v117, v91, vcc
	v_lshlrev_b64 v[92:93], 2, v[92:93]
	v_add_co_u32_e32 v92, vcc, s4, v92
	v_addc_co_u32_e32 v93, vcc, v117, v93, vcc
	global_load_dword v117, v[36:37], off
	global_load_dword v118, v[46:47], off
	;; [unrolled: 1-line block ×7, first 2 shown]
	s_waitcnt vmcnt(25)
	buffer_store_dword v98, off, s[0:3], 0
	s_waitcnt vmcnt(25)
	buffer_store_dword v99, off, s[0:3], 0 offset:4
	s_waitcnt vmcnt(25)
	buffer_store_dword v100, off, s[0:3], 0 offset:8
	;; [unrolled: 2-line block ×11, first 2 shown]
	buffer_store_dword v108, off, s[0:3], 0 offset:48
	buffer_store_dword v109, off, s[0:3], 0 offset:52
	;; [unrolled: 1-line block ×5, first 2 shown]
	s_waitcnt vmcnt(25)
	buffer_store_dword v115, off, s[0:3], 0 offset:68
	s_waitcnt vmcnt(25)
	buffer_store_dword v116, off, s[0:3], 0 offset:72
	global_load_dword v98, v[48:49], off
	global_load_dword v99, v[62:63], off
	;; [unrolled: 1-line block ×16, first 2 shown]
	s_waitcnt vmcnt(41)
	buffer_store_dword v117, off, s[0:3], 0 offset:76
	s_waitcnt vmcnt(39)
	buffer_store_dword v120, off, s[0:3], 0 offset:84
	;; [unrolled: 2-line block ×3, first 2 shown]
	global_load_dword v114, v[80:81], off
	global_load_dword v115, v[90:91], off
	;; [unrolled: 1-line block ×6, first 2 shown]
	s_cmpk_lg_i32 s13, 0x84
	s_waitcnt vmcnt(45)
	buffer_store_dword v122, off, s[0:3], 0 offset:92
	buffer_store_dword v119, off, s[0:3], 0 offset:88
	s_waitcnt vmcnt(26)
	buffer_store_dword v98, off, s[0:3], 0 offset:100
	buffer_store_dword v118, off, s[0:3], 0 offset:96
	s_waitcnt vmcnt(22)
	buffer_store_dword v104, off, s[0:3], 0 offset:108
	s_waitcnt vmcnt(22)
	buffer_store_dword v105, off, s[0:3], 0 offset:104
	buffer_store_dword v102, off, s[0:3], 0 offset:116
	;; [unrolled: 1-line block ×5, first 2 shown]
	s_waitcnt vmcnt(26)
	buffer_store_dword v106, off, s[0:3], 0 offset:132
	buffer_store_dword v99, off, s[0:3], 0 offset:128
	s_waitcnt vmcnt(22)
	buffer_store_dword v112, off, s[0:3], 0 offset:140
	s_waitcnt vmcnt(22)
	buffer_store_dword v113, off, s[0:3], 0 offset:136
	buffer_store_dword v110, off, s[0:3], 0 offset:148
	;; [unrolled: 1-line block ×5, first 2 shown]
	s_waitcnt vmcnt(23)
	buffer_store_dword v114, off, s[0:3], 0 offset:164
	buffer_store_dword v107, off, s[0:3], 0 offset:160
	s_waitcnt vmcnt(22)
	buffer_store_dword v117, off, s[0:3], 0 offset:172
	s_waitcnt vmcnt(22)
	;; [unrolled: 2-line block ×3, first 2 shown]
	buffer_store_dword v121, off, s[0:3], 0 offset:180
	buffer_store_dword v116, off, s[0:3], 0 offset:176
	;; [unrolled: 1-line block ×4, first 2 shown]
	s_cselect_b64 s[8:9], -1, 0
	s_cmpk_eq_i32 s13, 0x84
	v_mov_b32_e32 v121, 0
	v_mov_b32_e32 v98, -1.0
	s_cbranch_scc1 .LBB111_3
; %bb.2:
	v_lshl_add_u32 v98, v0, 2, v121
	buffer_load_dword v99, v98, s[0:3], 0 offen
	s_waitcnt vmcnt(0)
	v_div_scale_f32 v100, s[4:5], v99, v99, 1.0
	v_rcp_f32_e32 v101, v100
	v_div_scale_f32 v102, vcc, 1.0, v99, 1.0
	v_fma_f32 v103, -v100, v101, 1.0
	v_fmac_f32_e32 v101, v103, v101
	v_mul_f32_e32 v103, v102, v101
	v_fma_f32 v104, -v100, v103, v102
	v_fmac_f32_e32 v103, v104, v101
	v_fma_f32 v100, -v100, v103, v102
	v_div_fmas_f32 v100, v100, v101, v103
	v_div_fixup_f32 v99, v100, v99, 1.0
	buffer_store_dword v99, v98, s[0:3], 0 offen
	v_xor_b32_e32 v98, 0x80000000, v99
.LBB111_3:
	ds_write_b32 v1, v98
	s_cmpk_eq_i32 s12, 0x79
	v_add_u32_e32 v98, 0xc0, v1
	v_add_u32_e32 v99, 0, v1
	s_mov_b64 s[4:5], -1
	s_cbranch_scc1 .LBB111_467
; %bb.4:
	buffer_load_dword v100, off, s[0:3], 0 offset:184
	v_cmp_eq_u32_e64 s[4:5], 47, v0
	s_waitcnt vmcnt(0)
	ds_write_b32 v98, v100
	s_waitcnt lgkmcnt(0)
	; wave barrier
	s_waitcnt lgkmcnt(0)
	s_and_saveexec_b64 s[6:7], s[4:5]
	s_cbranch_execz .LBB111_10
; %bb.5:
	s_and_b64 vcc, exec, s[8:9]
	s_cbranch_vccz .LBB111_7
; %bb.6:
	buffer_load_dword v100, v99, s[0:3], 0 offen
	ds_read_b32 v101, v98
	s_waitcnt vmcnt(0) lgkmcnt(0)
	v_mul_f32_e32 v100, v100, v101
	s_cbranch_execz .LBB111_8
	s_branch .LBB111_9
.LBB111_7:
                                        ; implicit-def: $vgpr100
.LBB111_8:
	ds_read_b32 v100, v98
.LBB111_9:
	v_mov_b32_e32 v101, 0
	ds_read_b32 v101, v101 offset:184
	s_waitcnt lgkmcnt(0)
	v_mul_f32_e32 v100, v100, v101
	buffer_store_dword v100, off, s[0:3], 0 offset:184
.LBB111_10:
	s_or_b64 exec, exec, s[6:7]
	buffer_load_dword v122, off, s[0:3], 0 offset:180
	v_or_b32_e32 v100, 8, v121
	v_add_u32_e32 v101, 16, v121
	v_add_u32_e32 v102, 24, v121
	;; [unrolled: 1-line block ×21, first 2 shown]
	v_cmp_lt_u32_e64 s[6:7], 45, v0
	s_waitcnt vmcnt(0)
	ds_write_b32 v98, v122
	s_waitcnt lgkmcnt(0)
	; wave barrier
	s_waitcnt lgkmcnt(0)
	s_and_saveexec_b64 s[10:11], s[6:7]
	s_cbranch_execz .LBB111_16
; %bb.11:
	s_andn2_b64 vcc, exec, s[8:9]
	s_cbranch_vccnz .LBB111_13
; %bb.12:
	buffer_load_dword v122, v99, s[0:3], 0 offen
	ds_read_b32 v123, v98
	s_waitcnt vmcnt(0) lgkmcnt(0)
	v_mul_f32_e32 v122, v122, v123
	s_cbranch_execz .LBB111_14
	s_branch .LBB111_15
.LBB111_13:
                                        ; implicit-def: $vgpr122
.LBB111_14:
	ds_read_b32 v122, v98
.LBB111_15:
	buffer_load_dword v123, off, s[0:3], 0 offset:184
	v_mov_b32_e32 v124, 0
	ds_read2_b32 v[124:125], v124 offset0:45 offset1:94
	s_waitcnt vmcnt(0) lgkmcnt(0)
	v_fma_f32 v123, v123, v125, v122
	v_cndmask_b32_e64 v122, v122, v123, s[4:5]
	v_mul_f32_e32 v122, v122, v124
	buffer_store_dword v122, off, s[0:3], 0 offset:180
.LBB111_16:
	s_or_b64 exec, exec, s[10:11]
	buffer_load_dword v122, off, s[0:3], 0 offset:176
	v_cmp_lt_u32_e64 s[4:5], 44, v0
	s_waitcnt vmcnt(0)
	ds_write_b32 v98, v122
	s_waitcnt lgkmcnt(0)
	; wave barrier
	s_waitcnt lgkmcnt(0)
	s_and_saveexec_b64 s[10:11], s[4:5]
	s_cbranch_execz .LBB111_26
; %bb.17:
	s_andn2_b64 vcc, exec, s[8:9]
	s_cbranch_vccnz .LBB111_19
; %bb.18:
	buffer_load_dword v122, v99, s[0:3], 0 offen
	ds_read_b32 v123, v98
	s_waitcnt vmcnt(0) lgkmcnt(0)
	v_mul_f32_e32 v122, v122, v123
	s_cbranch_execz .LBB111_20
	s_branch .LBB111_21
.LBB111_19:
                                        ; implicit-def: $vgpr122
.LBB111_20:
	ds_read_b32 v122, v98
.LBB111_21:
	s_and_saveexec_b64 s[12:13], s[6:7]
	s_cbranch_execz .LBB111_25
; %bb.22:
	v_mov_b32_e32 v123, 0
	v_add_u32_e32 v123, 0xb4, v123
	v_subrev_u32_e32 v124, 45, v0
	s_movk_i32 s14, 0x174
	s_mov_b64 s[6:7], 0
.LBB111_23:                             ; =>This Inner Loop Header: Depth=1
	buffer_load_dword v125, v123, s[0:3], 0 offen
	v_mov_b32_e32 v126, s14
	ds_read_b32 v126, v126
	v_add_u32_e32 v124, -1, v124
	s_add_i32 s14, s14, 4
	v_cmp_eq_u32_e32 vcc, 0, v124
	v_add_u32_e32 v123, 4, v123
	s_or_b64 s[6:7], vcc, s[6:7]
	s_waitcnt vmcnt(0) lgkmcnt(0)
	v_fmac_f32_e32 v122, v125, v126
	s_andn2_b64 exec, exec, s[6:7]
	s_cbranch_execnz .LBB111_23
; %bb.24:
	s_or_b64 exec, exec, s[6:7]
.LBB111_25:
	s_or_b64 exec, exec, s[12:13]
	v_mov_b32_e32 v123, 0
	ds_read_b32 v123, v123 offset:176
	s_waitcnt lgkmcnt(0)
	v_mul_f32_e32 v122, v122, v123
	buffer_store_dword v122, off, s[0:3], 0 offset:176
.LBB111_26:
	s_or_b64 exec, exec, s[10:11]
	buffer_load_dword v122, off, s[0:3], 0 offset:172
	v_cmp_lt_u32_e64 s[6:7], 43, v0
	s_waitcnt vmcnt(0)
	ds_write_b32 v98, v122
	s_waitcnt lgkmcnt(0)
	; wave barrier
	s_waitcnt lgkmcnt(0)
	s_and_saveexec_b64 s[10:11], s[6:7]
	s_cbranch_execz .LBB111_36
; %bb.27:
	s_andn2_b64 vcc, exec, s[8:9]
	s_cbranch_vccnz .LBB111_29
; %bb.28:
	buffer_load_dword v122, v99, s[0:3], 0 offen
	ds_read_b32 v123, v98
	s_waitcnt vmcnt(0) lgkmcnt(0)
	v_mul_f32_e32 v122, v122, v123
	s_cbranch_execz .LBB111_30
	s_branch .LBB111_31
.LBB111_29:
                                        ; implicit-def: $vgpr122
.LBB111_30:
	ds_read_b32 v122, v98
.LBB111_31:
	s_and_saveexec_b64 s[12:13], s[4:5]
	s_cbranch_execz .LBB111_35
; %bb.32:
	v_subrev_u32_e32 v123, 44, v0
	s_movk_i32 s14, 0x170
	s_mov_b64 s[4:5], 0
.LBB111_33:                             ; =>This Inner Loop Header: Depth=1
	buffer_load_dword v124, v121, s[0:3], 0 offen
	v_mov_b32_e32 v125, s14
	ds_read_b32 v125, v125
	v_add_u32_e32 v123, -1, v123
	s_add_i32 s14, s14, 4
	v_cmp_eq_u32_e32 vcc, 0, v123
	v_add_u32_e32 v121, 4, v121
	s_or_b64 s[4:5], vcc, s[4:5]
	s_waitcnt vmcnt(0) lgkmcnt(0)
	v_fmac_f32_e32 v122, v124, v125
	s_andn2_b64 exec, exec, s[4:5]
	s_cbranch_execnz .LBB111_33
; %bb.34:
	s_or_b64 exec, exec, s[4:5]
.LBB111_35:
	s_or_b64 exec, exec, s[12:13]
	v_mov_b32_e32 v121, 0
	ds_read_b32 v121, v121 offset:172
	s_waitcnt lgkmcnt(0)
	v_mul_f32_e32 v121, v122, v121
	buffer_store_dword v121, off, s[0:3], 0 offset:172
.LBB111_36:
	s_or_b64 exec, exec, s[10:11]
	buffer_load_dword v121, off, s[0:3], 0 offset:168
	v_cmp_lt_u32_e64 s[4:5], 42, v0
	s_waitcnt vmcnt(0)
	ds_write_b32 v98, v121
	s_waitcnt lgkmcnt(0)
	; wave barrier
	s_waitcnt lgkmcnt(0)
	s_and_saveexec_b64 s[10:11], s[4:5]
	s_cbranch_execz .LBB111_46
; %bb.37:
	s_andn2_b64 vcc, exec, s[8:9]
	s_cbranch_vccnz .LBB111_39
; %bb.38:
	buffer_load_dword v121, v99, s[0:3], 0 offen
	ds_read_b32 v122, v98
	s_waitcnt vmcnt(0) lgkmcnt(0)
	v_mul_f32_e32 v121, v121, v122
	s_cbranch_execz .LBB111_40
	s_branch .LBB111_41
.LBB111_39:
                                        ; implicit-def: $vgpr121
.LBB111_40:
	ds_read_b32 v121, v98
.LBB111_41:
	s_and_saveexec_b64 s[12:13], s[6:7]
	s_cbranch_execz .LBB111_45
; %bb.42:
	v_mov_b32_e32 v122, 0
	v_add_u32_e32 v122, 0xac, v122
	v_subrev_u32_e32 v123, 43, v0
	s_movk_i32 s14, 0x16c
	s_mov_b64 s[6:7], 0
.LBB111_43:                             ; =>This Inner Loop Header: Depth=1
	buffer_load_dword v124, v122, s[0:3], 0 offen
	v_mov_b32_e32 v125, s14
	ds_read_b32 v125, v125
	v_add_u32_e32 v123, -1, v123
	s_add_i32 s14, s14, 4
	v_cmp_eq_u32_e32 vcc, 0, v123
	v_add_u32_e32 v122, 4, v122
	s_or_b64 s[6:7], vcc, s[6:7]
	s_waitcnt vmcnt(0) lgkmcnt(0)
	v_fmac_f32_e32 v121, v124, v125
	s_andn2_b64 exec, exec, s[6:7]
	s_cbranch_execnz .LBB111_43
; %bb.44:
	s_or_b64 exec, exec, s[6:7]
.LBB111_45:
	s_or_b64 exec, exec, s[12:13]
	v_mov_b32_e32 v122, 0
	ds_read_b32 v122, v122 offset:168
	s_waitcnt lgkmcnt(0)
	v_mul_f32_e32 v121, v121, v122
	buffer_store_dword v121, off, s[0:3], 0 offset:168
.LBB111_46:
	s_or_b64 exec, exec, s[10:11]
	buffer_load_dword v121, off, s[0:3], 0 offset:164
	v_cmp_lt_u32_e64 s[6:7], 41, v0
	s_waitcnt vmcnt(0)
	ds_write_b32 v98, v121
	s_waitcnt lgkmcnt(0)
	; wave barrier
	s_waitcnt lgkmcnt(0)
	s_and_saveexec_b64 s[10:11], s[6:7]
	s_cbranch_execz .LBB111_56
; %bb.47:
	s_andn2_b64 vcc, exec, s[8:9]
	s_cbranch_vccnz .LBB111_49
; %bb.48:
	buffer_load_dword v121, v99, s[0:3], 0 offen
	ds_read_b32 v122, v98
	s_waitcnt vmcnt(0) lgkmcnt(0)
	v_mul_f32_e32 v121, v121, v122
	s_cbranch_execz .LBB111_50
	s_branch .LBB111_51
.LBB111_49:
                                        ; implicit-def: $vgpr121
.LBB111_50:
	ds_read_b32 v121, v98
.LBB111_51:
	s_and_saveexec_b64 s[12:13], s[4:5]
	s_cbranch_execz .LBB111_55
; %bb.52:
	v_subrev_u32_e32 v122, 42, v0
	s_movk_i32 s14, 0x168
	s_mov_b64 s[4:5], 0
.LBB111_53:                             ; =>This Inner Loop Header: Depth=1
	buffer_load_dword v123, v120, s[0:3], 0 offen
	v_mov_b32_e32 v124, s14
	ds_read_b32 v124, v124
	v_add_u32_e32 v122, -1, v122
	s_add_i32 s14, s14, 4
	v_cmp_eq_u32_e32 vcc, 0, v122
	v_add_u32_e32 v120, 4, v120
	s_or_b64 s[4:5], vcc, s[4:5]
	s_waitcnt vmcnt(0) lgkmcnt(0)
	v_fmac_f32_e32 v121, v123, v124
	s_andn2_b64 exec, exec, s[4:5]
	s_cbranch_execnz .LBB111_53
; %bb.54:
	s_or_b64 exec, exec, s[4:5]
.LBB111_55:
	s_or_b64 exec, exec, s[12:13]
	v_mov_b32_e32 v120, 0
	ds_read_b32 v120, v120 offset:164
	s_waitcnt lgkmcnt(0)
	v_mul_f32_e32 v120, v121, v120
	buffer_store_dword v120, off, s[0:3], 0 offset:164
.LBB111_56:
	s_or_b64 exec, exec, s[10:11]
	buffer_load_dword v120, off, s[0:3], 0 offset:160
	v_cmp_lt_u32_e64 s[4:5], 40, v0
	s_waitcnt vmcnt(0)
	ds_write_b32 v98, v120
	s_waitcnt lgkmcnt(0)
	; wave barrier
	s_waitcnt lgkmcnt(0)
	s_and_saveexec_b64 s[10:11], s[4:5]
	s_cbranch_execz .LBB111_66
; %bb.57:
	s_andn2_b64 vcc, exec, s[8:9]
	s_cbranch_vccnz .LBB111_59
; %bb.58:
	buffer_load_dword v120, v99, s[0:3], 0 offen
	ds_read_b32 v121, v98
	s_waitcnt vmcnt(0) lgkmcnt(0)
	v_mul_f32_e32 v120, v120, v121
	s_cbranch_execz .LBB111_60
	s_branch .LBB111_61
.LBB111_59:
                                        ; implicit-def: $vgpr120
.LBB111_60:
	ds_read_b32 v120, v98
.LBB111_61:
	s_and_saveexec_b64 s[12:13], s[6:7]
	s_cbranch_execz .LBB111_65
; %bb.62:
	v_mov_b32_e32 v121, 0
	v_add_u32_e32 v121, 0xa4, v121
	v_subrev_u32_e32 v122, 41, v0
	s_movk_i32 s14, 0x164
	s_mov_b64 s[6:7], 0
.LBB111_63:                             ; =>This Inner Loop Header: Depth=1
	buffer_load_dword v123, v121, s[0:3], 0 offen
	v_mov_b32_e32 v124, s14
	ds_read_b32 v124, v124
	v_add_u32_e32 v122, -1, v122
	s_add_i32 s14, s14, 4
	v_cmp_eq_u32_e32 vcc, 0, v122
	v_add_u32_e32 v121, 4, v121
	s_or_b64 s[6:7], vcc, s[6:7]
	s_waitcnt vmcnt(0) lgkmcnt(0)
	v_fmac_f32_e32 v120, v123, v124
	s_andn2_b64 exec, exec, s[6:7]
	s_cbranch_execnz .LBB111_63
; %bb.64:
	s_or_b64 exec, exec, s[6:7]
.LBB111_65:
	s_or_b64 exec, exec, s[12:13]
	v_mov_b32_e32 v121, 0
	ds_read_b32 v121, v121 offset:160
	s_waitcnt lgkmcnt(0)
	v_mul_f32_e32 v120, v120, v121
	buffer_store_dword v120, off, s[0:3], 0 offset:160
.LBB111_66:
	s_or_b64 exec, exec, s[10:11]
	buffer_load_dword v120, off, s[0:3], 0 offset:156
	v_cmp_lt_u32_e64 s[6:7], 39, v0
	s_waitcnt vmcnt(0)
	ds_write_b32 v98, v120
	s_waitcnt lgkmcnt(0)
	; wave barrier
	s_waitcnt lgkmcnt(0)
	s_and_saveexec_b64 s[10:11], s[6:7]
	s_cbranch_execz .LBB111_76
; %bb.67:
	s_andn2_b64 vcc, exec, s[8:9]
	s_cbranch_vccnz .LBB111_69
; %bb.68:
	buffer_load_dword v120, v99, s[0:3], 0 offen
	ds_read_b32 v121, v98
	s_waitcnt vmcnt(0) lgkmcnt(0)
	v_mul_f32_e32 v120, v120, v121
	s_cbranch_execz .LBB111_70
	s_branch .LBB111_71
.LBB111_69:
                                        ; implicit-def: $vgpr120
.LBB111_70:
	ds_read_b32 v120, v98
.LBB111_71:
	s_and_saveexec_b64 s[12:13], s[4:5]
	s_cbranch_execz .LBB111_75
; %bb.72:
	v_subrev_u32_e32 v121, 40, v0
	s_movk_i32 s14, 0x160
	s_mov_b64 s[4:5], 0
.LBB111_73:                             ; =>This Inner Loop Header: Depth=1
	buffer_load_dword v122, v119, s[0:3], 0 offen
	v_mov_b32_e32 v123, s14
	ds_read_b32 v123, v123
	v_add_u32_e32 v121, -1, v121
	s_add_i32 s14, s14, 4
	v_cmp_eq_u32_e32 vcc, 0, v121
	v_add_u32_e32 v119, 4, v119
	s_or_b64 s[4:5], vcc, s[4:5]
	s_waitcnt vmcnt(0) lgkmcnt(0)
	v_fmac_f32_e32 v120, v122, v123
	s_andn2_b64 exec, exec, s[4:5]
	s_cbranch_execnz .LBB111_73
; %bb.74:
	s_or_b64 exec, exec, s[4:5]
.LBB111_75:
	s_or_b64 exec, exec, s[12:13]
	v_mov_b32_e32 v119, 0
	ds_read_b32 v119, v119 offset:156
	s_waitcnt lgkmcnt(0)
	v_mul_f32_e32 v119, v120, v119
	buffer_store_dword v119, off, s[0:3], 0 offset:156
.LBB111_76:
	s_or_b64 exec, exec, s[10:11]
	buffer_load_dword v119, off, s[0:3], 0 offset:152
	v_cmp_lt_u32_e64 s[4:5], 38, v0
	s_waitcnt vmcnt(0)
	ds_write_b32 v98, v119
	s_waitcnt lgkmcnt(0)
	; wave barrier
	s_waitcnt lgkmcnt(0)
	s_and_saveexec_b64 s[10:11], s[4:5]
	s_cbranch_execz .LBB111_86
; %bb.77:
	s_andn2_b64 vcc, exec, s[8:9]
	s_cbranch_vccnz .LBB111_79
; %bb.78:
	buffer_load_dword v119, v99, s[0:3], 0 offen
	ds_read_b32 v120, v98
	s_waitcnt vmcnt(0) lgkmcnt(0)
	v_mul_f32_e32 v119, v119, v120
	s_cbranch_execz .LBB111_80
	s_branch .LBB111_81
.LBB111_79:
                                        ; implicit-def: $vgpr119
.LBB111_80:
	ds_read_b32 v119, v98
.LBB111_81:
	s_and_saveexec_b64 s[12:13], s[6:7]
	s_cbranch_execz .LBB111_85
; %bb.82:
	v_mov_b32_e32 v120, 0
	v_add_u32_e32 v120, 0x9c, v120
	v_subrev_u32_e32 v121, 39, v0
	s_movk_i32 s14, 0x15c
	s_mov_b64 s[6:7], 0
.LBB111_83:                             ; =>This Inner Loop Header: Depth=1
	buffer_load_dword v122, v120, s[0:3], 0 offen
	v_mov_b32_e32 v123, s14
	ds_read_b32 v123, v123
	v_add_u32_e32 v121, -1, v121
	s_add_i32 s14, s14, 4
	v_cmp_eq_u32_e32 vcc, 0, v121
	v_add_u32_e32 v120, 4, v120
	s_or_b64 s[6:7], vcc, s[6:7]
	s_waitcnt vmcnt(0) lgkmcnt(0)
	v_fmac_f32_e32 v119, v122, v123
	s_andn2_b64 exec, exec, s[6:7]
	s_cbranch_execnz .LBB111_83
; %bb.84:
	s_or_b64 exec, exec, s[6:7]
.LBB111_85:
	s_or_b64 exec, exec, s[12:13]
	v_mov_b32_e32 v120, 0
	ds_read_b32 v120, v120 offset:152
	s_waitcnt lgkmcnt(0)
	v_mul_f32_e32 v119, v119, v120
	buffer_store_dword v119, off, s[0:3], 0 offset:152
.LBB111_86:
	s_or_b64 exec, exec, s[10:11]
	buffer_load_dword v119, off, s[0:3], 0 offset:148
	v_cmp_lt_u32_e64 s[6:7], 37, v0
	s_waitcnt vmcnt(0)
	ds_write_b32 v98, v119
	s_waitcnt lgkmcnt(0)
	; wave barrier
	s_waitcnt lgkmcnt(0)
	s_and_saveexec_b64 s[10:11], s[6:7]
	s_cbranch_execz .LBB111_96
; %bb.87:
	s_andn2_b64 vcc, exec, s[8:9]
	s_cbranch_vccnz .LBB111_89
; %bb.88:
	buffer_load_dword v119, v99, s[0:3], 0 offen
	ds_read_b32 v120, v98
	s_waitcnt vmcnt(0) lgkmcnt(0)
	v_mul_f32_e32 v119, v119, v120
	s_cbranch_execz .LBB111_90
	s_branch .LBB111_91
.LBB111_89:
                                        ; implicit-def: $vgpr119
.LBB111_90:
	ds_read_b32 v119, v98
.LBB111_91:
	s_and_saveexec_b64 s[12:13], s[4:5]
	s_cbranch_execz .LBB111_95
; %bb.92:
	v_subrev_u32_e32 v120, 38, v0
	s_movk_i32 s14, 0x158
	s_mov_b64 s[4:5], 0
.LBB111_93:                             ; =>This Inner Loop Header: Depth=1
	buffer_load_dword v121, v118, s[0:3], 0 offen
	v_mov_b32_e32 v122, s14
	ds_read_b32 v122, v122
	v_add_u32_e32 v120, -1, v120
	s_add_i32 s14, s14, 4
	v_cmp_eq_u32_e32 vcc, 0, v120
	v_add_u32_e32 v118, 4, v118
	s_or_b64 s[4:5], vcc, s[4:5]
	s_waitcnt vmcnt(0) lgkmcnt(0)
	v_fmac_f32_e32 v119, v121, v122
	s_andn2_b64 exec, exec, s[4:5]
	s_cbranch_execnz .LBB111_93
; %bb.94:
	s_or_b64 exec, exec, s[4:5]
.LBB111_95:
	s_or_b64 exec, exec, s[12:13]
	v_mov_b32_e32 v118, 0
	ds_read_b32 v118, v118 offset:148
	s_waitcnt lgkmcnt(0)
	v_mul_f32_e32 v118, v119, v118
	buffer_store_dword v118, off, s[0:3], 0 offset:148
.LBB111_96:
	s_or_b64 exec, exec, s[10:11]
	buffer_load_dword v118, off, s[0:3], 0 offset:144
	v_cmp_lt_u32_e64 s[4:5], 36, v0
	s_waitcnt vmcnt(0)
	ds_write_b32 v98, v118
	s_waitcnt lgkmcnt(0)
	; wave barrier
	s_waitcnt lgkmcnt(0)
	s_and_saveexec_b64 s[10:11], s[4:5]
	s_cbranch_execz .LBB111_106
; %bb.97:
	s_andn2_b64 vcc, exec, s[8:9]
	s_cbranch_vccnz .LBB111_99
; %bb.98:
	buffer_load_dword v118, v99, s[0:3], 0 offen
	ds_read_b32 v119, v98
	s_waitcnt vmcnt(0) lgkmcnt(0)
	v_mul_f32_e32 v118, v118, v119
	s_cbranch_execz .LBB111_100
	s_branch .LBB111_101
.LBB111_99:
                                        ; implicit-def: $vgpr118
.LBB111_100:
	ds_read_b32 v118, v98
.LBB111_101:
	s_and_saveexec_b64 s[12:13], s[6:7]
	s_cbranch_execz .LBB111_105
; %bb.102:
	v_mov_b32_e32 v119, 0
	v_add_u32_e32 v119, 0x94, v119
	v_subrev_u32_e32 v120, 37, v0
	s_movk_i32 s14, 0x154
	s_mov_b64 s[6:7], 0
.LBB111_103:                            ; =>This Inner Loop Header: Depth=1
	buffer_load_dword v121, v119, s[0:3], 0 offen
	v_mov_b32_e32 v122, s14
	ds_read_b32 v122, v122
	v_add_u32_e32 v120, -1, v120
	s_add_i32 s14, s14, 4
	v_cmp_eq_u32_e32 vcc, 0, v120
	v_add_u32_e32 v119, 4, v119
	s_or_b64 s[6:7], vcc, s[6:7]
	s_waitcnt vmcnt(0) lgkmcnt(0)
	v_fmac_f32_e32 v118, v121, v122
	s_andn2_b64 exec, exec, s[6:7]
	s_cbranch_execnz .LBB111_103
; %bb.104:
	s_or_b64 exec, exec, s[6:7]
.LBB111_105:
	s_or_b64 exec, exec, s[12:13]
	v_mov_b32_e32 v119, 0
	ds_read_b32 v119, v119 offset:144
	s_waitcnt lgkmcnt(0)
	v_mul_f32_e32 v118, v118, v119
	buffer_store_dword v118, off, s[0:3], 0 offset:144
.LBB111_106:
	s_or_b64 exec, exec, s[10:11]
	buffer_load_dword v118, off, s[0:3], 0 offset:140
	v_cmp_lt_u32_e64 s[6:7], 35, v0
	s_waitcnt vmcnt(0)
	ds_write_b32 v98, v118
	s_waitcnt lgkmcnt(0)
	; wave barrier
	s_waitcnt lgkmcnt(0)
	s_and_saveexec_b64 s[10:11], s[6:7]
	s_cbranch_execz .LBB111_116
; %bb.107:
	s_andn2_b64 vcc, exec, s[8:9]
	s_cbranch_vccnz .LBB111_109
; %bb.108:
	buffer_load_dword v118, v99, s[0:3], 0 offen
	ds_read_b32 v119, v98
	s_waitcnt vmcnt(0) lgkmcnt(0)
	v_mul_f32_e32 v118, v118, v119
	s_cbranch_execz .LBB111_110
	s_branch .LBB111_111
.LBB111_109:
                                        ; implicit-def: $vgpr118
.LBB111_110:
	ds_read_b32 v118, v98
.LBB111_111:
	s_and_saveexec_b64 s[12:13], s[4:5]
	s_cbranch_execz .LBB111_115
; %bb.112:
	v_subrev_u32_e32 v119, 36, v0
	s_movk_i32 s14, 0x150
	s_mov_b64 s[4:5], 0
.LBB111_113:                            ; =>This Inner Loop Header: Depth=1
	buffer_load_dword v120, v117, s[0:3], 0 offen
	v_mov_b32_e32 v121, s14
	ds_read_b32 v121, v121
	v_add_u32_e32 v119, -1, v119
	s_add_i32 s14, s14, 4
	v_cmp_eq_u32_e32 vcc, 0, v119
	v_add_u32_e32 v117, 4, v117
	s_or_b64 s[4:5], vcc, s[4:5]
	s_waitcnt vmcnt(0) lgkmcnt(0)
	v_fmac_f32_e32 v118, v120, v121
	s_andn2_b64 exec, exec, s[4:5]
	s_cbranch_execnz .LBB111_113
; %bb.114:
	s_or_b64 exec, exec, s[4:5]
.LBB111_115:
	s_or_b64 exec, exec, s[12:13]
	v_mov_b32_e32 v117, 0
	ds_read_b32 v117, v117 offset:140
	s_waitcnt lgkmcnt(0)
	v_mul_f32_e32 v117, v118, v117
	buffer_store_dword v117, off, s[0:3], 0 offset:140
.LBB111_116:
	s_or_b64 exec, exec, s[10:11]
	buffer_load_dword v117, off, s[0:3], 0 offset:136
	v_cmp_lt_u32_e64 s[4:5], 34, v0
	s_waitcnt vmcnt(0)
	ds_write_b32 v98, v117
	s_waitcnt lgkmcnt(0)
	; wave barrier
	s_waitcnt lgkmcnt(0)
	s_and_saveexec_b64 s[10:11], s[4:5]
	s_cbranch_execz .LBB111_126
; %bb.117:
	s_andn2_b64 vcc, exec, s[8:9]
	s_cbranch_vccnz .LBB111_119
; %bb.118:
	buffer_load_dword v117, v99, s[0:3], 0 offen
	ds_read_b32 v118, v98
	s_waitcnt vmcnt(0) lgkmcnt(0)
	v_mul_f32_e32 v117, v117, v118
	s_cbranch_execz .LBB111_120
	s_branch .LBB111_121
.LBB111_119:
                                        ; implicit-def: $vgpr117
.LBB111_120:
	ds_read_b32 v117, v98
.LBB111_121:
	s_and_saveexec_b64 s[12:13], s[6:7]
	s_cbranch_execz .LBB111_125
; %bb.122:
	v_mov_b32_e32 v118, 0
	v_add_u32_e32 v118, 0x8c, v118
	v_subrev_u32_e32 v119, 35, v0
	s_movk_i32 s14, 0x14c
	s_mov_b64 s[6:7], 0
.LBB111_123:                            ; =>This Inner Loop Header: Depth=1
	buffer_load_dword v120, v118, s[0:3], 0 offen
	v_mov_b32_e32 v121, s14
	ds_read_b32 v121, v121
	v_add_u32_e32 v119, -1, v119
	s_add_i32 s14, s14, 4
	v_cmp_eq_u32_e32 vcc, 0, v119
	v_add_u32_e32 v118, 4, v118
	s_or_b64 s[6:7], vcc, s[6:7]
	s_waitcnt vmcnt(0) lgkmcnt(0)
	v_fmac_f32_e32 v117, v120, v121
	s_andn2_b64 exec, exec, s[6:7]
	s_cbranch_execnz .LBB111_123
; %bb.124:
	s_or_b64 exec, exec, s[6:7]
.LBB111_125:
	s_or_b64 exec, exec, s[12:13]
	v_mov_b32_e32 v118, 0
	ds_read_b32 v118, v118 offset:136
	s_waitcnt lgkmcnt(0)
	v_mul_f32_e32 v117, v117, v118
	buffer_store_dword v117, off, s[0:3], 0 offset:136
.LBB111_126:
	s_or_b64 exec, exec, s[10:11]
	buffer_load_dword v117, off, s[0:3], 0 offset:132
	v_cmp_lt_u32_e64 s[6:7], 33, v0
	s_waitcnt vmcnt(0)
	ds_write_b32 v98, v117
	s_waitcnt lgkmcnt(0)
	; wave barrier
	s_waitcnt lgkmcnt(0)
	s_and_saveexec_b64 s[10:11], s[6:7]
	s_cbranch_execz .LBB111_136
; %bb.127:
	s_andn2_b64 vcc, exec, s[8:9]
	s_cbranch_vccnz .LBB111_129
; %bb.128:
	buffer_load_dword v117, v99, s[0:3], 0 offen
	ds_read_b32 v118, v98
	s_waitcnt vmcnt(0) lgkmcnt(0)
	v_mul_f32_e32 v117, v117, v118
	s_cbranch_execz .LBB111_130
	s_branch .LBB111_131
.LBB111_129:
                                        ; implicit-def: $vgpr117
.LBB111_130:
	ds_read_b32 v117, v98
.LBB111_131:
	s_and_saveexec_b64 s[12:13], s[4:5]
	s_cbranch_execz .LBB111_135
; %bb.132:
	v_subrev_u32_e32 v118, 34, v0
	s_movk_i32 s14, 0x148
	s_mov_b64 s[4:5], 0
.LBB111_133:                            ; =>This Inner Loop Header: Depth=1
	buffer_load_dword v119, v116, s[0:3], 0 offen
	v_mov_b32_e32 v120, s14
	ds_read_b32 v120, v120
	v_add_u32_e32 v118, -1, v118
	s_add_i32 s14, s14, 4
	v_cmp_eq_u32_e32 vcc, 0, v118
	v_add_u32_e32 v116, 4, v116
	s_or_b64 s[4:5], vcc, s[4:5]
	s_waitcnt vmcnt(0) lgkmcnt(0)
	v_fmac_f32_e32 v117, v119, v120
	s_andn2_b64 exec, exec, s[4:5]
	s_cbranch_execnz .LBB111_133
; %bb.134:
	s_or_b64 exec, exec, s[4:5]
.LBB111_135:
	s_or_b64 exec, exec, s[12:13]
	v_mov_b32_e32 v116, 0
	ds_read_b32 v116, v116 offset:132
	s_waitcnt lgkmcnt(0)
	v_mul_f32_e32 v116, v117, v116
	buffer_store_dword v116, off, s[0:3], 0 offset:132
.LBB111_136:
	s_or_b64 exec, exec, s[10:11]
	buffer_load_dword v116, off, s[0:3], 0 offset:128
	v_cmp_lt_u32_e64 s[4:5], 32, v0
	s_waitcnt vmcnt(0)
	ds_write_b32 v98, v116
	s_waitcnt lgkmcnt(0)
	; wave barrier
	s_waitcnt lgkmcnt(0)
	s_and_saveexec_b64 s[10:11], s[4:5]
	s_cbranch_execz .LBB111_146
; %bb.137:
	s_andn2_b64 vcc, exec, s[8:9]
	s_cbranch_vccnz .LBB111_139
; %bb.138:
	buffer_load_dword v116, v99, s[0:3], 0 offen
	ds_read_b32 v117, v98
	s_waitcnt vmcnt(0) lgkmcnt(0)
	v_mul_f32_e32 v116, v116, v117
	s_cbranch_execz .LBB111_140
	s_branch .LBB111_141
.LBB111_139:
                                        ; implicit-def: $vgpr116
.LBB111_140:
	ds_read_b32 v116, v98
.LBB111_141:
	s_and_saveexec_b64 s[12:13], s[6:7]
	s_cbranch_execz .LBB111_145
; %bb.142:
	v_mov_b32_e32 v117, 0
	v_add_u32_e32 v117, 0x84, v117
	v_subrev_u32_e32 v118, 33, v0
	s_movk_i32 s14, 0x144
	s_mov_b64 s[6:7], 0
.LBB111_143:                            ; =>This Inner Loop Header: Depth=1
	buffer_load_dword v119, v117, s[0:3], 0 offen
	v_mov_b32_e32 v120, s14
	ds_read_b32 v120, v120
	v_add_u32_e32 v118, -1, v118
	s_add_i32 s14, s14, 4
	v_cmp_eq_u32_e32 vcc, 0, v118
	v_add_u32_e32 v117, 4, v117
	s_or_b64 s[6:7], vcc, s[6:7]
	s_waitcnt vmcnt(0) lgkmcnt(0)
	v_fmac_f32_e32 v116, v119, v120
	s_andn2_b64 exec, exec, s[6:7]
	s_cbranch_execnz .LBB111_143
; %bb.144:
	s_or_b64 exec, exec, s[6:7]
.LBB111_145:
	s_or_b64 exec, exec, s[12:13]
	v_mov_b32_e32 v117, 0
	ds_read_b32 v117, v117 offset:128
	s_waitcnt lgkmcnt(0)
	v_mul_f32_e32 v116, v116, v117
	buffer_store_dword v116, off, s[0:3], 0 offset:128
.LBB111_146:
	s_or_b64 exec, exec, s[10:11]
	buffer_load_dword v116, off, s[0:3], 0 offset:124
	v_cmp_lt_u32_e64 s[6:7], 31, v0
	s_waitcnt vmcnt(0)
	ds_write_b32 v98, v116
	s_waitcnt lgkmcnt(0)
	; wave barrier
	s_waitcnt lgkmcnt(0)
	s_and_saveexec_b64 s[10:11], s[6:7]
	s_cbranch_execz .LBB111_156
; %bb.147:
	s_andn2_b64 vcc, exec, s[8:9]
	s_cbranch_vccnz .LBB111_149
; %bb.148:
	buffer_load_dword v116, v99, s[0:3], 0 offen
	ds_read_b32 v117, v98
	s_waitcnt vmcnt(0) lgkmcnt(0)
	v_mul_f32_e32 v116, v116, v117
	s_cbranch_execz .LBB111_150
	s_branch .LBB111_151
.LBB111_149:
                                        ; implicit-def: $vgpr116
.LBB111_150:
	ds_read_b32 v116, v98
.LBB111_151:
	s_and_saveexec_b64 s[12:13], s[4:5]
	s_cbranch_execz .LBB111_155
; %bb.152:
	v_subrev_u32_e32 v117, 32, v0
	s_movk_i32 s14, 0x140
	s_mov_b64 s[4:5], 0
.LBB111_153:                            ; =>This Inner Loop Header: Depth=1
	buffer_load_dword v118, v115, s[0:3], 0 offen
	v_mov_b32_e32 v119, s14
	ds_read_b32 v119, v119
	v_add_u32_e32 v117, -1, v117
	s_add_i32 s14, s14, 4
	v_cmp_eq_u32_e32 vcc, 0, v117
	v_add_u32_e32 v115, 4, v115
	s_or_b64 s[4:5], vcc, s[4:5]
	s_waitcnt vmcnt(0) lgkmcnt(0)
	v_fmac_f32_e32 v116, v118, v119
	s_andn2_b64 exec, exec, s[4:5]
	s_cbranch_execnz .LBB111_153
; %bb.154:
	s_or_b64 exec, exec, s[4:5]
.LBB111_155:
	s_or_b64 exec, exec, s[12:13]
	v_mov_b32_e32 v115, 0
	ds_read_b32 v115, v115 offset:124
	s_waitcnt lgkmcnt(0)
	v_mul_f32_e32 v115, v116, v115
	buffer_store_dword v115, off, s[0:3], 0 offset:124
.LBB111_156:
	s_or_b64 exec, exec, s[10:11]
	buffer_load_dword v115, off, s[0:3], 0 offset:120
	v_cmp_lt_u32_e64 s[4:5], 30, v0
	s_waitcnt vmcnt(0)
	ds_write_b32 v98, v115
	s_waitcnt lgkmcnt(0)
	; wave barrier
	s_waitcnt lgkmcnt(0)
	s_and_saveexec_b64 s[10:11], s[4:5]
	s_cbranch_execz .LBB111_166
; %bb.157:
	s_andn2_b64 vcc, exec, s[8:9]
	s_cbranch_vccnz .LBB111_159
; %bb.158:
	buffer_load_dword v115, v99, s[0:3], 0 offen
	ds_read_b32 v116, v98
	s_waitcnt vmcnt(0) lgkmcnt(0)
	v_mul_f32_e32 v115, v115, v116
	s_cbranch_execz .LBB111_160
	s_branch .LBB111_161
.LBB111_159:
                                        ; implicit-def: $vgpr115
.LBB111_160:
	ds_read_b32 v115, v98
.LBB111_161:
	s_and_saveexec_b64 s[12:13], s[6:7]
	s_cbranch_execz .LBB111_165
; %bb.162:
	v_mov_b32_e32 v116, 0
	v_add_u32_e32 v116, 0x7c, v116
	v_subrev_u32_e32 v117, 31, v0
	s_movk_i32 s14, 0x13c
	s_mov_b64 s[6:7], 0
.LBB111_163:                            ; =>This Inner Loop Header: Depth=1
	buffer_load_dword v118, v116, s[0:3], 0 offen
	v_mov_b32_e32 v119, s14
	ds_read_b32 v119, v119
	v_add_u32_e32 v117, -1, v117
	s_add_i32 s14, s14, 4
	v_cmp_eq_u32_e32 vcc, 0, v117
	v_add_u32_e32 v116, 4, v116
	s_or_b64 s[6:7], vcc, s[6:7]
	s_waitcnt vmcnt(0) lgkmcnt(0)
	v_fmac_f32_e32 v115, v118, v119
	s_andn2_b64 exec, exec, s[6:7]
	s_cbranch_execnz .LBB111_163
; %bb.164:
	s_or_b64 exec, exec, s[6:7]
.LBB111_165:
	s_or_b64 exec, exec, s[12:13]
	v_mov_b32_e32 v116, 0
	ds_read_b32 v116, v116 offset:120
	s_waitcnt lgkmcnt(0)
	v_mul_f32_e32 v115, v115, v116
	buffer_store_dword v115, off, s[0:3], 0 offset:120
.LBB111_166:
	s_or_b64 exec, exec, s[10:11]
	buffer_load_dword v115, off, s[0:3], 0 offset:116
	v_cmp_lt_u32_e64 s[6:7], 29, v0
	s_waitcnt vmcnt(0)
	ds_write_b32 v98, v115
	s_waitcnt lgkmcnt(0)
	; wave barrier
	s_waitcnt lgkmcnt(0)
	s_and_saveexec_b64 s[10:11], s[6:7]
	s_cbranch_execz .LBB111_176
; %bb.167:
	s_andn2_b64 vcc, exec, s[8:9]
	s_cbranch_vccnz .LBB111_169
; %bb.168:
	buffer_load_dword v115, v99, s[0:3], 0 offen
	ds_read_b32 v116, v98
	s_waitcnt vmcnt(0) lgkmcnt(0)
	v_mul_f32_e32 v115, v115, v116
	s_cbranch_execz .LBB111_170
	s_branch .LBB111_171
.LBB111_169:
                                        ; implicit-def: $vgpr115
.LBB111_170:
	ds_read_b32 v115, v98
.LBB111_171:
	s_and_saveexec_b64 s[12:13], s[4:5]
	s_cbranch_execz .LBB111_175
; %bb.172:
	v_subrev_u32_e32 v116, 30, v0
	s_movk_i32 s14, 0x138
	s_mov_b64 s[4:5], 0
.LBB111_173:                            ; =>This Inner Loop Header: Depth=1
	buffer_load_dword v117, v114, s[0:3], 0 offen
	v_mov_b32_e32 v118, s14
	ds_read_b32 v118, v118
	v_add_u32_e32 v116, -1, v116
	s_add_i32 s14, s14, 4
	v_cmp_eq_u32_e32 vcc, 0, v116
	v_add_u32_e32 v114, 4, v114
	s_or_b64 s[4:5], vcc, s[4:5]
	s_waitcnt vmcnt(0) lgkmcnt(0)
	v_fmac_f32_e32 v115, v117, v118
	s_andn2_b64 exec, exec, s[4:5]
	s_cbranch_execnz .LBB111_173
; %bb.174:
	s_or_b64 exec, exec, s[4:5]
.LBB111_175:
	s_or_b64 exec, exec, s[12:13]
	v_mov_b32_e32 v114, 0
	ds_read_b32 v114, v114 offset:116
	s_waitcnt lgkmcnt(0)
	v_mul_f32_e32 v114, v115, v114
	buffer_store_dword v114, off, s[0:3], 0 offset:116
.LBB111_176:
	s_or_b64 exec, exec, s[10:11]
	buffer_load_dword v114, off, s[0:3], 0 offset:112
	v_cmp_lt_u32_e64 s[4:5], 28, v0
	s_waitcnt vmcnt(0)
	ds_write_b32 v98, v114
	s_waitcnt lgkmcnt(0)
	; wave barrier
	s_waitcnt lgkmcnt(0)
	s_and_saveexec_b64 s[10:11], s[4:5]
	s_cbranch_execz .LBB111_186
; %bb.177:
	s_andn2_b64 vcc, exec, s[8:9]
	s_cbranch_vccnz .LBB111_179
; %bb.178:
	buffer_load_dword v114, v99, s[0:3], 0 offen
	ds_read_b32 v115, v98
	s_waitcnt vmcnt(0) lgkmcnt(0)
	v_mul_f32_e32 v114, v114, v115
	s_cbranch_execz .LBB111_180
	s_branch .LBB111_181
.LBB111_179:
                                        ; implicit-def: $vgpr114
.LBB111_180:
	ds_read_b32 v114, v98
.LBB111_181:
	s_and_saveexec_b64 s[12:13], s[6:7]
	s_cbranch_execz .LBB111_185
; %bb.182:
	v_mov_b32_e32 v115, 0
	v_add_u32_e32 v115, 0x74, v115
	v_subrev_u32_e32 v116, 29, v0
	s_movk_i32 s14, 0x134
	s_mov_b64 s[6:7], 0
.LBB111_183:                            ; =>This Inner Loop Header: Depth=1
	buffer_load_dword v117, v115, s[0:3], 0 offen
	v_mov_b32_e32 v118, s14
	ds_read_b32 v118, v118
	v_add_u32_e32 v116, -1, v116
	s_add_i32 s14, s14, 4
	v_cmp_eq_u32_e32 vcc, 0, v116
	v_add_u32_e32 v115, 4, v115
	s_or_b64 s[6:7], vcc, s[6:7]
	s_waitcnt vmcnt(0) lgkmcnt(0)
	v_fmac_f32_e32 v114, v117, v118
	s_andn2_b64 exec, exec, s[6:7]
	s_cbranch_execnz .LBB111_183
; %bb.184:
	s_or_b64 exec, exec, s[6:7]
.LBB111_185:
	s_or_b64 exec, exec, s[12:13]
	v_mov_b32_e32 v115, 0
	ds_read_b32 v115, v115 offset:112
	s_waitcnt lgkmcnt(0)
	v_mul_f32_e32 v114, v114, v115
	buffer_store_dword v114, off, s[0:3], 0 offset:112
.LBB111_186:
	s_or_b64 exec, exec, s[10:11]
	buffer_load_dword v114, off, s[0:3], 0 offset:108
	v_cmp_lt_u32_e64 s[6:7], 27, v0
	s_waitcnt vmcnt(0)
	ds_write_b32 v98, v114
	s_waitcnt lgkmcnt(0)
	; wave barrier
	s_waitcnt lgkmcnt(0)
	s_and_saveexec_b64 s[10:11], s[6:7]
	s_cbranch_execz .LBB111_196
; %bb.187:
	s_andn2_b64 vcc, exec, s[8:9]
	s_cbranch_vccnz .LBB111_189
; %bb.188:
	buffer_load_dword v114, v99, s[0:3], 0 offen
	ds_read_b32 v115, v98
	s_waitcnt vmcnt(0) lgkmcnt(0)
	v_mul_f32_e32 v114, v114, v115
	s_cbranch_execz .LBB111_190
	s_branch .LBB111_191
.LBB111_189:
                                        ; implicit-def: $vgpr114
.LBB111_190:
	ds_read_b32 v114, v98
.LBB111_191:
	s_and_saveexec_b64 s[12:13], s[4:5]
	s_cbranch_execz .LBB111_195
; %bb.192:
	v_subrev_u32_e32 v115, 28, v0
	s_movk_i32 s14, 0x130
	s_mov_b64 s[4:5], 0
.LBB111_193:                            ; =>This Inner Loop Header: Depth=1
	buffer_load_dword v116, v113, s[0:3], 0 offen
	v_mov_b32_e32 v117, s14
	ds_read_b32 v117, v117
	v_add_u32_e32 v115, -1, v115
	s_add_i32 s14, s14, 4
	v_cmp_eq_u32_e32 vcc, 0, v115
	v_add_u32_e32 v113, 4, v113
	s_or_b64 s[4:5], vcc, s[4:5]
	s_waitcnt vmcnt(0) lgkmcnt(0)
	v_fmac_f32_e32 v114, v116, v117
	s_andn2_b64 exec, exec, s[4:5]
	s_cbranch_execnz .LBB111_193
; %bb.194:
	s_or_b64 exec, exec, s[4:5]
.LBB111_195:
	s_or_b64 exec, exec, s[12:13]
	v_mov_b32_e32 v113, 0
	ds_read_b32 v113, v113 offset:108
	s_waitcnt lgkmcnt(0)
	v_mul_f32_e32 v113, v114, v113
	buffer_store_dword v113, off, s[0:3], 0 offset:108
.LBB111_196:
	s_or_b64 exec, exec, s[10:11]
	buffer_load_dword v113, off, s[0:3], 0 offset:104
	v_cmp_lt_u32_e64 s[4:5], 26, v0
	s_waitcnt vmcnt(0)
	ds_write_b32 v98, v113
	s_waitcnt lgkmcnt(0)
	; wave barrier
	s_waitcnt lgkmcnt(0)
	s_and_saveexec_b64 s[10:11], s[4:5]
	s_cbranch_execz .LBB111_206
; %bb.197:
	s_andn2_b64 vcc, exec, s[8:9]
	s_cbranch_vccnz .LBB111_199
; %bb.198:
	buffer_load_dword v113, v99, s[0:3], 0 offen
	ds_read_b32 v114, v98
	s_waitcnt vmcnt(0) lgkmcnt(0)
	v_mul_f32_e32 v113, v113, v114
	s_cbranch_execz .LBB111_200
	s_branch .LBB111_201
.LBB111_199:
                                        ; implicit-def: $vgpr113
.LBB111_200:
	ds_read_b32 v113, v98
.LBB111_201:
	s_and_saveexec_b64 s[12:13], s[6:7]
	s_cbranch_execz .LBB111_205
; %bb.202:
	v_mov_b32_e32 v114, 0
	v_add_u32_e32 v114, 0x6c, v114
	v_subrev_u32_e32 v115, 27, v0
	s_movk_i32 s14, 0x12c
	s_mov_b64 s[6:7], 0
.LBB111_203:                            ; =>This Inner Loop Header: Depth=1
	buffer_load_dword v116, v114, s[0:3], 0 offen
	v_mov_b32_e32 v117, s14
	ds_read_b32 v117, v117
	v_add_u32_e32 v115, -1, v115
	s_add_i32 s14, s14, 4
	v_cmp_eq_u32_e32 vcc, 0, v115
	v_add_u32_e32 v114, 4, v114
	s_or_b64 s[6:7], vcc, s[6:7]
	s_waitcnt vmcnt(0) lgkmcnt(0)
	v_fmac_f32_e32 v113, v116, v117
	s_andn2_b64 exec, exec, s[6:7]
	s_cbranch_execnz .LBB111_203
; %bb.204:
	s_or_b64 exec, exec, s[6:7]
.LBB111_205:
	s_or_b64 exec, exec, s[12:13]
	v_mov_b32_e32 v114, 0
	ds_read_b32 v114, v114 offset:104
	s_waitcnt lgkmcnt(0)
	v_mul_f32_e32 v113, v113, v114
	buffer_store_dword v113, off, s[0:3], 0 offset:104
.LBB111_206:
	s_or_b64 exec, exec, s[10:11]
	buffer_load_dword v113, off, s[0:3], 0 offset:100
	v_cmp_lt_u32_e64 s[6:7], 25, v0
	s_waitcnt vmcnt(0)
	ds_write_b32 v98, v113
	s_waitcnt lgkmcnt(0)
	; wave barrier
	s_waitcnt lgkmcnt(0)
	s_and_saveexec_b64 s[10:11], s[6:7]
	s_cbranch_execz .LBB111_216
; %bb.207:
	s_andn2_b64 vcc, exec, s[8:9]
	s_cbranch_vccnz .LBB111_209
; %bb.208:
	buffer_load_dword v113, v99, s[0:3], 0 offen
	ds_read_b32 v114, v98
	s_waitcnt vmcnt(0) lgkmcnt(0)
	v_mul_f32_e32 v113, v113, v114
	s_cbranch_execz .LBB111_210
	s_branch .LBB111_211
.LBB111_209:
                                        ; implicit-def: $vgpr113
.LBB111_210:
	ds_read_b32 v113, v98
.LBB111_211:
	s_and_saveexec_b64 s[12:13], s[4:5]
	s_cbranch_execz .LBB111_215
; %bb.212:
	v_subrev_u32_e32 v114, 26, v0
	s_movk_i32 s14, 0x128
	s_mov_b64 s[4:5], 0
.LBB111_213:                            ; =>This Inner Loop Header: Depth=1
	buffer_load_dword v115, v112, s[0:3], 0 offen
	v_mov_b32_e32 v116, s14
	ds_read_b32 v116, v116
	v_add_u32_e32 v114, -1, v114
	s_add_i32 s14, s14, 4
	v_cmp_eq_u32_e32 vcc, 0, v114
	v_add_u32_e32 v112, 4, v112
	s_or_b64 s[4:5], vcc, s[4:5]
	s_waitcnt vmcnt(0) lgkmcnt(0)
	v_fmac_f32_e32 v113, v115, v116
	s_andn2_b64 exec, exec, s[4:5]
	s_cbranch_execnz .LBB111_213
; %bb.214:
	s_or_b64 exec, exec, s[4:5]
.LBB111_215:
	s_or_b64 exec, exec, s[12:13]
	v_mov_b32_e32 v112, 0
	ds_read_b32 v112, v112 offset:100
	s_waitcnt lgkmcnt(0)
	v_mul_f32_e32 v112, v113, v112
	buffer_store_dword v112, off, s[0:3], 0 offset:100
.LBB111_216:
	s_or_b64 exec, exec, s[10:11]
	buffer_load_dword v112, off, s[0:3], 0 offset:96
	v_cmp_lt_u32_e64 s[4:5], 24, v0
	s_waitcnt vmcnt(0)
	ds_write_b32 v98, v112
	s_waitcnt lgkmcnt(0)
	; wave barrier
	s_waitcnt lgkmcnt(0)
	s_and_saveexec_b64 s[10:11], s[4:5]
	s_cbranch_execz .LBB111_226
; %bb.217:
	s_andn2_b64 vcc, exec, s[8:9]
	s_cbranch_vccnz .LBB111_219
; %bb.218:
	buffer_load_dword v112, v99, s[0:3], 0 offen
	ds_read_b32 v113, v98
	s_waitcnt vmcnt(0) lgkmcnt(0)
	v_mul_f32_e32 v112, v112, v113
	s_cbranch_execz .LBB111_220
	s_branch .LBB111_221
.LBB111_219:
                                        ; implicit-def: $vgpr112
.LBB111_220:
	ds_read_b32 v112, v98
.LBB111_221:
	s_and_saveexec_b64 s[12:13], s[6:7]
	s_cbranch_execz .LBB111_225
; %bb.222:
	v_mov_b32_e32 v113, 0
	v_add_u32_e32 v113, 0x64, v113
	v_subrev_u32_e32 v114, 25, v0
	s_movk_i32 s14, 0x124
	s_mov_b64 s[6:7], 0
.LBB111_223:                            ; =>This Inner Loop Header: Depth=1
	buffer_load_dword v115, v113, s[0:3], 0 offen
	v_mov_b32_e32 v116, s14
	ds_read_b32 v116, v116
	v_add_u32_e32 v114, -1, v114
	s_add_i32 s14, s14, 4
	v_cmp_eq_u32_e32 vcc, 0, v114
	v_add_u32_e32 v113, 4, v113
	s_or_b64 s[6:7], vcc, s[6:7]
	s_waitcnt vmcnt(0) lgkmcnt(0)
	v_fmac_f32_e32 v112, v115, v116
	s_andn2_b64 exec, exec, s[6:7]
	s_cbranch_execnz .LBB111_223
; %bb.224:
	s_or_b64 exec, exec, s[6:7]
.LBB111_225:
	s_or_b64 exec, exec, s[12:13]
	v_mov_b32_e32 v113, 0
	ds_read_b32 v113, v113 offset:96
	s_waitcnt lgkmcnt(0)
	v_mul_f32_e32 v112, v112, v113
	buffer_store_dword v112, off, s[0:3], 0 offset:96
.LBB111_226:
	s_or_b64 exec, exec, s[10:11]
	buffer_load_dword v112, off, s[0:3], 0 offset:92
	v_cmp_lt_u32_e64 s[6:7], 23, v0
	s_waitcnt vmcnt(0)
	ds_write_b32 v98, v112
	s_waitcnt lgkmcnt(0)
	; wave barrier
	s_waitcnt lgkmcnt(0)
	s_and_saveexec_b64 s[10:11], s[6:7]
	s_cbranch_execz .LBB111_236
; %bb.227:
	s_andn2_b64 vcc, exec, s[8:9]
	s_cbranch_vccnz .LBB111_229
; %bb.228:
	buffer_load_dword v112, v99, s[0:3], 0 offen
	ds_read_b32 v113, v98
	s_waitcnt vmcnt(0) lgkmcnt(0)
	v_mul_f32_e32 v112, v112, v113
	s_cbranch_execz .LBB111_230
	s_branch .LBB111_231
.LBB111_229:
                                        ; implicit-def: $vgpr112
.LBB111_230:
	ds_read_b32 v112, v98
.LBB111_231:
	s_and_saveexec_b64 s[12:13], s[4:5]
	s_cbranch_execz .LBB111_235
; %bb.232:
	v_subrev_u32_e32 v113, 24, v0
	s_movk_i32 s14, 0x120
	s_mov_b64 s[4:5], 0
.LBB111_233:                            ; =>This Inner Loop Header: Depth=1
	buffer_load_dword v114, v111, s[0:3], 0 offen
	v_mov_b32_e32 v115, s14
	ds_read_b32 v115, v115
	v_add_u32_e32 v113, -1, v113
	s_add_i32 s14, s14, 4
	v_cmp_eq_u32_e32 vcc, 0, v113
	v_add_u32_e32 v111, 4, v111
	s_or_b64 s[4:5], vcc, s[4:5]
	s_waitcnt vmcnt(0) lgkmcnt(0)
	v_fmac_f32_e32 v112, v114, v115
	s_andn2_b64 exec, exec, s[4:5]
	s_cbranch_execnz .LBB111_233
; %bb.234:
	s_or_b64 exec, exec, s[4:5]
.LBB111_235:
	s_or_b64 exec, exec, s[12:13]
	v_mov_b32_e32 v111, 0
	ds_read_b32 v111, v111 offset:92
	s_waitcnt lgkmcnt(0)
	v_mul_f32_e32 v111, v112, v111
	buffer_store_dword v111, off, s[0:3], 0 offset:92
.LBB111_236:
	s_or_b64 exec, exec, s[10:11]
	buffer_load_dword v111, off, s[0:3], 0 offset:88
	v_cmp_lt_u32_e64 s[4:5], 22, v0
	s_waitcnt vmcnt(0)
	ds_write_b32 v98, v111
	s_waitcnt lgkmcnt(0)
	; wave barrier
	s_waitcnt lgkmcnt(0)
	s_and_saveexec_b64 s[10:11], s[4:5]
	s_cbranch_execz .LBB111_246
; %bb.237:
	s_andn2_b64 vcc, exec, s[8:9]
	s_cbranch_vccnz .LBB111_239
; %bb.238:
	buffer_load_dword v111, v99, s[0:3], 0 offen
	ds_read_b32 v112, v98
	s_waitcnt vmcnt(0) lgkmcnt(0)
	v_mul_f32_e32 v111, v111, v112
	s_cbranch_execz .LBB111_240
	s_branch .LBB111_241
.LBB111_239:
                                        ; implicit-def: $vgpr111
.LBB111_240:
	ds_read_b32 v111, v98
.LBB111_241:
	s_and_saveexec_b64 s[12:13], s[6:7]
	s_cbranch_execz .LBB111_245
; %bb.242:
	v_mov_b32_e32 v112, 0
	v_add_u32_e32 v112, 0x5c, v112
	v_subrev_u32_e32 v113, 23, v0
	s_movk_i32 s14, 0x11c
	s_mov_b64 s[6:7], 0
.LBB111_243:                            ; =>This Inner Loop Header: Depth=1
	buffer_load_dword v114, v112, s[0:3], 0 offen
	v_mov_b32_e32 v115, s14
	ds_read_b32 v115, v115
	v_add_u32_e32 v113, -1, v113
	s_add_i32 s14, s14, 4
	v_cmp_eq_u32_e32 vcc, 0, v113
	v_add_u32_e32 v112, 4, v112
	s_or_b64 s[6:7], vcc, s[6:7]
	s_waitcnt vmcnt(0) lgkmcnt(0)
	v_fmac_f32_e32 v111, v114, v115
	s_andn2_b64 exec, exec, s[6:7]
	s_cbranch_execnz .LBB111_243
; %bb.244:
	s_or_b64 exec, exec, s[6:7]
.LBB111_245:
	s_or_b64 exec, exec, s[12:13]
	v_mov_b32_e32 v112, 0
	ds_read_b32 v112, v112 offset:88
	s_waitcnt lgkmcnt(0)
	v_mul_f32_e32 v111, v111, v112
	buffer_store_dword v111, off, s[0:3], 0 offset:88
.LBB111_246:
	s_or_b64 exec, exec, s[10:11]
	buffer_load_dword v111, off, s[0:3], 0 offset:84
	v_cmp_lt_u32_e64 s[6:7], 21, v0
	s_waitcnt vmcnt(0)
	ds_write_b32 v98, v111
	s_waitcnt lgkmcnt(0)
	; wave barrier
	s_waitcnt lgkmcnt(0)
	s_and_saveexec_b64 s[10:11], s[6:7]
	s_cbranch_execz .LBB111_256
; %bb.247:
	s_andn2_b64 vcc, exec, s[8:9]
	s_cbranch_vccnz .LBB111_249
; %bb.248:
	buffer_load_dword v111, v99, s[0:3], 0 offen
	ds_read_b32 v112, v98
	s_waitcnt vmcnt(0) lgkmcnt(0)
	v_mul_f32_e32 v111, v111, v112
	s_cbranch_execz .LBB111_250
	s_branch .LBB111_251
.LBB111_249:
                                        ; implicit-def: $vgpr111
.LBB111_250:
	ds_read_b32 v111, v98
.LBB111_251:
	s_and_saveexec_b64 s[12:13], s[4:5]
	s_cbranch_execz .LBB111_255
; %bb.252:
	v_subrev_u32_e32 v112, 22, v0
	s_movk_i32 s14, 0x118
	s_mov_b64 s[4:5], 0
.LBB111_253:                            ; =>This Inner Loop Header: Depth=1
	buffer_load_dword v113, v110, s[0:3], 0 offen
	v_mov_b32_e32 v114, s14
	ds_read_b32 v114, v114
	v_add_u32_e32 v112, -1, v112
	s_add_i32 s14, s14, 4
	v_cmp_eq_u32_e32 vcc, 0, v112
	v_add_u32_e32 v110, 4, v110
	s_or_b64 s[4:5], vcc, s[4:5]
	s_waitcnt vmcnt(0) lgkmcnt(0)
	v_fmac_f32_e32 v111, v113, v114
	s_andn2_b64 exec, exec, s[4:5]
	s_cbranch_execnz .LBB111_253
; %bb.254:
	s_or_b64 exec, exec, s[4:5]
.LBB111_255:
	s_or_b64 exec, exec, s[12:13]
	v_mov_b32_e32 v110, 0
	ds_read_b32 v110, v110 offset:84
	s_waitcnt lgkmcnt(0)
	v_mul_f32_e32 v110, v111, v110
	buffer_store_dword v110, off, s[0:3], 0 offset:84
.LBB111_256:
	s_or_b64 exec, exec, s[10:11]
	buffer_load_dword v110, off, s[0:3], 0 offset:80
	v_cmp_lt_u32_e64 s[4:5], 20, v0
	s_waitcnt vmcnt(0)
	ds_write_b32 v98, v110
	s_waitcnt lgkmcnt(0)
	; wave barrier
	s_waitcnt lgkmcnt(0)
	s_and_saveexec_b64 s[10:11], s[4:5]
	s_cbranch_execz .LBB111_266
; %bb.257:
	s_andn2_b64 vcc, exec, s[8:9]
	s_cbranch_vccnz .LBB111_259
; %bb.258:
	buffer_load_dword v110, v99, s[0:3], 0 offen
	ds_read_b32 v111, v98
	s_waitcnt vmcnt(0) lgkmcnt(0)
	v_mul_f32_e32 v110, v110, v111
	s_cbranch_execz .LBB111_260
	s_branch .LBB111_261
.LBB111_259:
                                        ; implicit-def: $vgpr110
.LBB111_260:
	ds_read_b32 v110, v98
.LBB111_261:
	s_and_saveexec_b64 s[12:13], s[6:7]
	s_cbranch_execz .LBB111_265
; %bb.262:
	v_mov_b32_e32 v111, 0
	v_add_u32_e32 v111, 0x54, v111
	v_subrev_u32_e32 v112, 21, v0
	s_movk_i32 s14, 0x114
	s_mov_b64 s[6:7], 0
.LBB111_263:                            ; =>This Inner Loop Header: Depth=1
	buffer_load_dword v113, v111, s[0:3], 0 offen
	v_mov_b32_e32 v114, s14
	ds_read_b32 v114, v114
	v_add_u32_e32 v112, -1, v112
	s_add_i32 s14, s14, 4
	v_cmp_eq_u32_e32 vcc, 0, v112
	v_add_u32_e32 v111, 4, v111
	s_or_b64 s[6:7], vcc, s[6:7]
	s_waitcnt vmcnt(0) lgkmcnt(0)
	v_fmac_f32_e32 v110, v113, v114
	s_andn2_b64 exec, exec, s[6:7]
	s_cbranch_execnz .LBB111_263
; %bb.264:
	s_or_b64 exec, exec, s[6:7]
.LBB111_265:
	s_or_b64 exec, exec, s[12:13]
	v_mov_b32_e32 v111, 0
	ds_read_b32 v111, v111 offset:80
	s_waitcnt lgkmcnt(0)
	v_mul_f32_e32 v110, v110, v111
	buffer_store_dword v110, off, s[0:3], 0 offset:80
.LBB111_266:
	s_or_b64 exec, exec, s[10:11]
	buffer_load_dword v110, off, s[0:3], 0 offset:76
	v_cmp_lt_u32_e64 s[6:7], 19, v0
	s_waitcnt vmcnt(0)
	ds_write_b32 v98, v110
	s_waitcnt lgkmcnt(0)
	; wave barrier
	s_waitcnt lgkmcnt(0)
	s_and_saveexec_b64 s[10:11], s[6:7]
	s_cbranch_execz .LBB111_276
; %bb.267:
	s_andn2_b64 vcc, exec, s[8:9]
	s_cbranch_vccnz .LBB111_269
; %bb.268:
	buffer_load_dword v110, v99, s[0:3], 0 offen
	ds_read_b32 v111, v98
	s_waitcnt vmcnt(0) lgkmcnt(0)
	v_mul_f32_e32 v110, v110, v111
	s_cbranch_execz .LBB111_270
	s_branch .LBB111_271
.LBB111_269:
                                        ; implicit-def: $vgpr110
.LBB111_270:
	ds_read_b32 v110, v98
.LBB111_271:
	s_and_saveexec_b64 s[12:13], s[4:5]
	s_cbranch_execz .LBB111_275
; %bb.272:
	v_subrev_u32_e32 v111, 20, v0
	s_movk_i32 s14, 0x110
	s_mov_b64 s[4:5], 0
.LBB111_273:                            ; =>This Inner Loop Header: Depth=1
	buffer_load_dword v112, v109, s[0:3], 0 offen
	v_mov_b32_e32 v113, s14
	ds_read_b32 v113, v113
	v_add_u32_e32 v111, -1, v111
	s_add_i32 s14, s14, 4
	v_cmp_eq_u32_e32 vcc, 0, v111
	v_add_u32_e32 v109, 4, v109
	s_or_b64 s[4:5], vcc, s[4:5]
	s_waitcnt vmcnt(0) lgkmcnt(0)
	v_fmac_f32_e32 v110, v112, v113
	s_andn2_b64 exec, exec, s[4:5]
	s_cbranch_execnz .LBB111_273
; %bb.274:
	s_or_b64 exec, exec, s[4:5]
.LBB111_275:
	s_or_b64 exec, exec, s[12:13]
	v_mov_b32_e32 v109, 0
	ds_read_b32 v109, v109 offset:76
	s_waitcnt lgkmcnt(0)
	v_mul_f32_e32 v109, v110, v109
	buffer_store_dword v109, off, s[0:3], 0 offset:76
.LBB111_276:
	s_or_b64 exec, exec, s[10:11]
	buffer_load_dword v109, off, s[0:3], 0 offset:72
	v_cmp_lt_u32_e64 s[4:5], 18, v0
	s_waitcnt vmcnt(0)
	ds_write_b32 v98, v109
	s_waitcnt lgkmcnt(0)
	; wave barrier
	s_waitcnt lgkmcnt(0)
	s_and_saveexec_b64 s[10:11], s[4:5]
	s_cbranch_execz .LBB111_286
; %bb.277:
	s_andn2_b64 vcc, exec, s[8:9]
	s_cbranch_vccnz .LBB111_279
; %bb.278:
	buffer_load_dword v109, v99, s[0:3], 0 offen
	ds_read_b32 v110, v98
	s_waitcnt vmcnt(0) lgkmcnt(0)
	v_mul_f32_e32 v109, v109, v110
	s_cbranch_execz .LBB111_280
	s_branch .LBB111_281
.LBB111_279:
                                        ; implicit-def: $vgpr109
.LBB111_280:
	ds_read_b32 v109, v98
.LBB111_281:
	s_and_saveexec_b64 s[12:13], s[6:7]
	s_cbranch_execz .LBB111_285
; %bb.282:
	v_mov_b32_e32 v110, 0
	v_add_u32_e32 v110, 0x4c, v110
	v_subrev_u32_e32 v111, 19, v0
	s_movk_i32 s14, 0x10c
	s_mov_b64 s[6:7], 0
.LBB111_283:                            ; =>This Inner Loop Header: Depth=1
	buffer_load_dword v112, v110, s[0:3], 0 offen
	v_mov_b32_e32 v113, s14
	ds_read_b32 v113, v113
	v_add_u32_e32 v111, -1, v111
	s_add_i32 s14, s14, 4
	v_cmp_eq_u32_e32 vcc, 0, v111
	v_add_u32_e32 v110, 4, v110
	s_or_b64 s[6:7], vcc, s[6:7]
	s_waitcnt vmcnt(0) lgkmcnt(0)
	v_fmac_f32_e32 v109, v112, v113
	s_andn2_b64 exec, exec, s[6:7]
	s_cbranch_execnz .LBB111_283
; %bb.284:
	s_or_b64 exec, exec, s[6:7]
.LBB111_285:
	s_or_b64 exec, exec, s[12:13]
	v_mov_b32_e32 v110, 0
	ds_read_b32 v110, v110 offset:72
	s_waitcnt lgkmcnt(0)
	v_mul_f32_e32 v109, v109, v110
	buffer_store_dword v109, off, s[0:3], 0 offset:72
.LBB111_286:
	s_or_b64 exec, exec, s[10:11]
	buffer_load_dword v109, off, s[0:3], 0 offset:68
	v_cmp_lt_u32_e64 s[6:7], 17, v0
	s_waitcnt vmcnt(0)
	ds_write_b32 v98, v109
	s_waitcnt lgkmcnt(0)
	; wave barrier
	s_waitcnt lgkmcnt(0)
	s_and_saveexec_b64 s[10:11], s[6:7]
	s_cbranch_execz .LBB111_296
; %bb.287:
	s_andn2_b64 vcc, exec, s[8:9]
	s_cbranch_vccnz .LBB111_289
; %bb.288:
	buffer_load_dword v109, v99, s[0:3], 0 offen
	ds_read_b32 v110, v98
	s_waitcnt vmcnt(0) lgkmcnt(0)
	v_mul_f32_e32 v109, v109, v110
	s_cbranch_execz .LBB111_290
	s_branch .LBB111_291
.LBB111_289:
                                        ; implicit-def: $vgpr109
.LBB111_290:
	ds_read_b32 v109, v98
.LBB111_291:
	s_and_saveexec_b64 s[12:13], s[4:5]
	s_cbranch_execz .LBB111_295
; %bb.292:
	v_subrev_u32_e32 v110, 18, v0
	s_movk_i32 s14, 0x108
	s_mov_b64 s[4:5], 0
.LBB111_293:                            ; =>This Inner Loop Header: Depth=1
	buffer_load_dword v111, v108, s[0:3], 0 offen
	v_mov_b32_e32 v112, s14
	ds_read_b32 v112, v112
	v_add_u32_e32 v110, -1, v110
	s_add_i32 s14, s14, 4
	v_cmp_eq_u32_e32 vcc, 0, v110
	v_add_u32_e32 v108, 4, v108
	s_or_b64 s[4:5], vcc, s[4:5]
	s_waitcnt vmcnt(0) lgkmcnt(0)
	v_fmac_f32_e32 v109, v111, v112
	s_andn2_b64 exec, exec, s[4:5]
	s_cbranch_execnz .LBB111_293
; %bb.294:
	s_or_b64 exec, exec, s[4:5]
.LBB111_295:
	s_or_b64 exec, exec, s[12:13]
	v_mov_b32_e32 v108, 0
	ds_read_b32 v108, v108 offset:68
	s_waitcnt lgkmcnt(0)
	v_mul_f32_e32 v108, v109, v108
	buffer_store_dword v108, off, s[0:3], 0 offset:68
.LBB111_296:
	s_or_b64 exec, exec, s[10:11]
	buffer_load_dword v108, off, s[0:3], 0 offset:64
	v_cmp_lt_u32_e64 s[4:5], 16, v0
	s_waitcnt vmcnt(0)
	ds_write_b32 v98, v108
	s_waitcnt lgkmcnt(0)
	; wave barrier
	s_waitcnt lgkmcnt(0)
	s_and_saveexec_b64 s[10:11], s[4:5]
	s_cbranch_execz .LBB111_306
; %bb.297:
	s_andn2_b64 vcc, exec, s[8:9]
	s_cbranch_vccnz .LBB111_299
; %bb.298:
	buffer_load_dword v108, v99, s[0:3], 0 offen
	ds_read_b32 v109, v98
	s_waitcnt vmcnt(0) lgkmcnt(0)
	v_mul_f32_e32 v108, v108, v109
	s_cbranch_execz .LBB111_300
	s_branch .LBB111_301
.LBB111_299:
                                        ; implicit-def: $vgpr108
.LBB111_300:
	ds_read_b32 v108, v98
.LBB111_301:
	s_and_saveexec_b64 s[12:13], s[6:7]
	s_cbranch_execz .LBB111_305
; %bb.302:
	v_mov_b32_e32 v109, 0
	v_add_u32_e32 v109, 0x44, v109
	v_subrev_u32_e32 v110, 17, v0
	s_movk_i32 s14, 0x104
	s_mov_b64 s[6:7], 0
.LBB111_303:                            ; =>This Inner Loop Header: Depth=1
	buffer_load_dword v111, v109, s[0:3], 0 offen
	v_mov_b32_e32 v112, s14
	ds_read_b32 v112, v112
	v_add_u32_e32 v110, -1, v110
	s_add_i32 s14, s14, 4
	v_cmp_eq_u32_e32 vcc, 0, v110
	v_add_u32_e32 v109, 4, v109
	s_or_b64 s[6:7], vcc, s[6:7]
	s_waitcnt vmcnt(0) lgkmcnt(0)
	v_fmac_f32_e32 v108, v111, v112
	s_andn2_b64 exec, exec, s[6:7]
	s_cbranch_execnz .LBB111_303
; %bb.304:
	s_or_b64 exec, exec, s[6:7]
.LBB111_305:
	s_or_b64 exec, exec, s[12:13]
	v_mov_b32_e32 v109, 0
	ds_read_b32 v109, v109 offset:64
	s_waitcnt lgkmcnt(0)
	v_mul_f32_e32 v108, v108, v109
	buffer_store_dword v108, off, s[0:3], 0 offset:64
.LBB111_306:
	s_or_b64 exec, exec, s[10:11]
	buffer_load_dword v108, off, s[0:3], 0 offset:60
	v_cmp_lt_u32_e64 s[6:7], 15, v0
	s_waitcnt vmcnt(0)
	ds_write_b32 v98, v108
	s_waitcnt lgkmcnt(0)
	; wave barrier
	s_waitcnt lgkmcnt(0)
	s_and_saveexec_b64 s[10:11], s[6:7]
	s_cbranch_execz .LBB111_316
; %bb.307:
	s_andn2_b64 vcc, exec, s[8:9]
	s_cbranch_vccnz .LBB111_309
; %bb.308:
	buffer_load_dword v108, v99, s[0:3], 0 offen
	ds_read_b32 v109, v98
	s_waitcnt vmcnt(0) lgkmcnt(0)
	v_mul_f32_e32 v108, v108, v109
	s_cbranch_execz .LBB111_310
	s_branch .LBB111_311
.LBB111_309:
                                        ; implicit-def: $vgpr108
.LBB111_310:
	ds_read_b32 v108, v98
.LBB111_311:
	s_and_saveexec_b64 s[12:13], s[4:5]
	s_cbranch_execz .LBB111_315
; %bb.312:
	v_add_u32_e32 v109, -16, v0
	s_movk_i32 s14, 0x100
	s_mov_b64 s[4:5], 0
.LBB111_313:                            ; =>This Inner Loop Header: Depth=1
	buffer_load_dword v110, v107, s[0:3], 0 offen
	v_mov_b32_e32 v111, s14
	ds_read_b32 v111, v111
	v_add_u32_e32 v109, -1, v109
	s_add_i32 s14, s14, 4
	v_cmp_eq_u32_e32 vcc, 0, v109
	v_add_u32_e32 v107, 4, v107
	s_or_b64 s[4:5], vcc, s[4:5]
	s_waitcnt vmcnt(0) lgkmcnt(0)
	v_fmac_f32_e32 v108, v110, v111
	s_andn2_b64 exec, exec, s[4:5]
	s_cbranch_execnz .LBB111_313
; %bb.314:
	s_or_b64 exec, exec, s[4:5]
.LBB111_315:
	s_or_b64 exec, exec, s[12:13]
	v_mov_b32_e32 v107, 0
	ds_read_b32 v107, v107 offset:60
	s_waitcnt lgkmcnt(0)
	v_mul_f32_e32 v107, v108, v107
	buffer_store_dword v107, off, s[0:3], 0 offset:60
.LBB111_316:
	s_or_b64 exec, exec, s[10:11]
	buffer_load_dword v107, off, s[0:3], 0 offset:56
	v_cmp_lt_u32_e64 s[4:5], 14, v0
	s_waitcnt vmcnt(0)
	ds_write_b32 v98, v107
	s_waitcnt lgkmcnt(0)
	; wave barrier
	s_waitcnt lgkmcnt(0)
	s_and_saveexec_b64 s[10:11], s[4:5]
	s_cbranch_execz .LBB111_326
; %bb.317:
	s_andn2_b64 vcc, exec, s[8:9]
	s_cbranch_vccnz .LBB111_319
; %bb.318:
	buffer_load_dword v107, v99, s[0:3], 0 offen
	ds_read_b32 v108, v98
	s_waitcnt vmcnt(0) lgkmcnt(0)
	v_mul_f32_e32 v107, v107, v108
	s_cbranch_execz .LBB111_320
	s_branch .LBB111_321
.LBB111_319:
                                        ; implicit-def: $vgpr107
.LBB111_320:
	ds_read_b32 v107, v98
.LBB111_321:
	s_and_saveexec_b64 s[12:13], s[6:7]
	s_cbranch_execz .LBB111_325
; %bb.322:
	v_mov_b32_e32 v108, 0
	v_add_u32_e32 v108, 60, v108
	v_add_u32_e32 v109, -15, v0
	s_movk_i32 s14, 0xfc
	s_mov_b64 s[6:7], 0
.LBB111_323:                            ; =>This Inner Loop Header: Depth=1
	buffer_load_dword v110, v108, s[0:3], 0 offen
	v_mov_b32_e32 v111, s14
	ds_read_b32 v111, v111
	v_add_u32_e32 v109, -1, v109
	s_add_i32 s14, s14, 4
	v_cmp_eq_u32_e32 vcc, 0, v109
	v_add_u32_e32 v108, 4, v108
	s_or_b64 s[6:7], vcc, s[6:7]
	s_waitcnt vmcnt(0) lgkmcnt(0)
	v_fmac_f32_e32 v107, v110, v111
	s_andn2_b64 exec, exec, s[6:7]
	s_cbranch_execnz .LBB111_323
; %bb.324:
	s_or_b64 exec, exec, s[6:7]
.LBB111_325:
	s_or_b64 exec, exec, s[12:13]
	v_mov_b32_e32 v108, 0
	ds_read_b32 v108, v108 offset:56
	s_waitcnt lgkmcnt(0)
	v_mul_f32_e32 v107, v107, v108
	buffer_store_dword v107, off, s[0:3], 0 offset:56
.LBB111_326:
	s_or_b64 exec, exec, s[10:11]
	buffer_load_dword v107, off, s[0:3], 0 offset:52
	v_cmp_lt_u32_e64 s[6:7], 13, v0
	s_waitcnt vmcnt(0)
	ds_write_b32 v98, v107
	s_waitcnt lgkmcnt(0)
	; wave barrier
	s_waitcnt lgkmcnt(0)
	s_and_saveexec_b64 s[10:11], s[6:7]
	s_cbranch_execz .LBB111_336
; %bb.327:
	s_andn2_b64 vcc, exec, s[8:9]
	s_cbranch_vccnz .LBB111_329
; %bb.328:
	buffer_load_dword v107, v99, s[0:3], 0 offen
	ds_read_b32 v108, v98
	s_waitcnt vmcnt(0) lgkmcnt(0)
	v_mul_f32_e32 v107, v107, v108
	s_cbranch_execz .LBB111_330
	s_branch .LBB111_331
.LBB111_329:
                                        ; implicit-def: $vgpr107
.LBB111_330:
	ds_read_b32 v107, v98
.LBB111_331:
	s_and_saveexec_b64 s[12:13], s[4:5]
	s_cbranch_execz .LBB111_335
; %bb.332:
	v_add_u32_e32 v108, -14, v0
	s_movk_i32 s14, 0xf8
	s_mov_b64 s[4:5], 0
.LBB111_333:                            ; =>This Inner Loop Header: Depth=1
	buffer_load_dword v109, v106, s[0:3], 0 offen
	v_mov_b32_e32 v110, s14
	ds_read_b32 v110, v110
	v_add_u32_e32 v108, -1, v108
	s_add_i32 s14, s14, 4
	v_cmp_eq_u32_e32 vcc, 0, v108
	v_add_u32_e32 v106, 4, v106
	s_or_b64 s[4:5], vcc, s[4:5]
	s_waitcnt vmcnt(0) lgkmcnt(0)
	v_fmac_f32_e32 v107, v109, v110
	s_andn2_b64 exec, exec, s[4:5]
	s_cbranch_execnz .LBB111_333
; %bb.334:
	s_or_b64 exec, exec, s[4:5]
.LBB111_335:
	s_or_b64 exec, exec, s[12:13]
	v_mov_b32_e32 v106, 0
	ds_read_b32 v106, v106 offset:52
	s_waitcnt lgkmcnt(0)
	v_mul_f32_e32 v106, v107, v106
	buffer_store_dword v106, off, s[0:3], 0 offset:52
.LBB111_336:
	s_or_b64 exec, exec, s[10:11]
	buffer_load_dword v106, off, s[0:3], 0 offset:48
	v_cmp_lt_u32_e64 s[4:5], 12, v0
	s_waitcnt vmcnt(0)
	ds_write_b32 v98, v106
	s_waitcnt lgkmcnt(0)
	; wave barrier
	s_waitcnt lgkmcnt(0)
	s_and_saveexec_b64 s[10:11], s[4:5]
	s_cbranch_execz .LBB111_346
; %bb.337:
	s_andn2_b64 vcc, exec, s[8:9]
	s_cbranch_vccnz .LBB111_339
; %bb.338:
	buffer_load_dword v106, v99, s[0:3], 0 offen
	ds_read_b32 v107, v98
	s_waitcnt vmcnt(0) lgkmcnt(0)
	v_mul_f32_e32 v106, v106, v107
	s_cbranch_execz .LBB111_340
	s_branch .LBB111_341
.LBB111_339:
                                        ; implicit-def: $vgpr106
.LBB111_340:
	ds_read_b32 v106, v98
.LBB111_341:
	s_and_saveexec_b64 s[12:13], s[6:7]
	s_cbranch_execz .LBB111_345
; %bb.342:
	v_mov_b32_e32 v107, 0
	v_add_u32_e32 v107, 52, v107
	v_add_u32_e32 v108, -13, v0
	s_movk_i32 s14, 0xf4
	s_mov_b64 s[6:7], 0
.LBB111_343:                            ; =>This Inner Loop Header: Depth=1
	buffer_load_dword v109, v107, s[0:3], 0 offen
	v_mov_b32_e32 v110, s14
	ds_read_b32 v110, v110
	v_add_u32_e32 v108, -1, v108
	s_add_i32 s14, s14, 4
	v_cmp_eq_u32_e32 vcc, 0, v108
	v_add_u32_e32 v107, 4, v107
	s_or_b64 s[6:7], vcc, s[6:7]
	s_waitcnt vmcnt(0) lgkmcnt(0)
	v_fmac_f32_e32 v106, v109, v110
	s_andn2_b64 exec, exec, s[6:7]
	s_cbranch_execnz .LBB111_343
; %bb.344:
	s_or_b64 exec, exec, s[6:7]
.LBB111_345:
	s_or_b64 exec, exec, s[12:13]
	v_mov_b32_e32 v107, 0
	ds_read_b32 v107, v107 offset:48
	s_waitcnt lgkmcnt(0)
	v_mul_f32_e32 v106, v106, v107
	buffer_store_dword v106, off, s[0:3], 0 offset:48
.LBB111_346:
	s_or_b64 exec, exec, s[10:11]
	buffer_load_dword v106, off, s[0:3], 0 offset:44
	v_cmp_lt_u32_e64 s[6:7], 11, v0
	s_waitcnt vmcnt(0)
	ds_write_b32 v98, v106
	s_waitcnt lgkmcnt(0)
	; wave barrier
	s_waitcnt lgkmcnt(0)
	s_and_saveexec_b64 s[10:11], s[6:7]
	s_cbranch_execz .LBB111_356
; %bb.347:
	s_andn2_b64 vcc, exec, s[8:9]
	s_cbranch_vccnz .LBB111_349
; %bb.348:
	buffer_load_dword v106, v99, s[0:3], 0 offen
	ds_read_b32 v107, v98
	s_waitcnt vmcnt(0) lgkmcnt(0)
	v_mul_f32_e32 v106, v106, v107
	s_cbranch_execz .LBB111_350
	s_branch .LBB111_351
.LBB111_349:
                                        ; implicit-def: $vgpr106
.LBB111_350:
	ds_read_b32 v106, v98
.LBB111_351:
	s_and_saveexec_b64 s[12:13], s[4:5]
	s_cbranch_execz .LBB111_355
; %bb.352:
	v_add_u32_e32 v107, -12, v0
	s_movk_i32 s14, 0xf0
	s_mov_b64 s[4:5], 0
.LBB111_353:                            ; =>This Inner Loop Header: Depth=1
	buffer_load_dword v108, v105, s[0:3], 0 offen
	v_mov_b32_e32 v109, s14
	ds_read_b32 v109, v109
	v_add_u32_e32 v107, -1, v107
	s_add_i32 s14, s14, 4
	v_cmp_eq_u32_e32 vcc, 0, v107
	v_add_u32_e32 v105, 4, v105
	s_or_b64 s[4:5], vcc, s[4:5]
	s_waitcnt vmcnt(0) lgkmcnt(0)
	v_fmac_f32_e32 v106, v108, v109
	s_andn2_b64 exec, exec, s[4:5]
	s_cbranch_execnz .LBB111_353
; %bb.354:
	s_or_b64 exec, exec, s[4:5]
.LBB111_355:
	s_or_b64 exec, exec, s[12:13]
	v_mov_b32_e32 v105, 0
	ds_read_b32 v105, v105 offset:44
	s_waitcnt lgkmcnt(0)
	v_mul_f32_e32 v105, v106, v105
	buffer_store_dword v105, off, s[0:3], 0 offset:44
.LBB111_356:
	s_or_b64 exec, exec, s[10:11]
	buffer_load_dword v105, off, s[0:3], 0 offset:40
	v_cmp_lt_u32_e64 s[4:5], 10, v0
	s_waitcnt vmcnt(0)
	ds_write_b32 v98, v105
	s_waitcnt lgkmcnt(0)
	; wave barrier
	s_waitcnt lgkmcnt(0)
	s_and_saveexec_b64 s[10:11], s[4:5]
	s_cbranch_execz .LBB111_366
; %bb.357:
	s_andn2_b64 vcc, exec, s[8:9]
	s_cbranch_vccnz .LBB111_359
; %bb.358:
	buffer_load_dword v105, v99, s[0:3], 0 offen
	ds_read_b32 v106, v98
	s_waitcnt vmcnt(0) lgkmcnt(0)
	v_mul_f32_e32 v105, v105, v106
	s_cbranch_execz .LBB111_360
	s_branch .LBB111_361
.LBB111_359:
                                        ; implicit-def: $vgpr105
.LBB111_360:
	ds_read_b32 v105, v98
.LBB111_361:
	s_and_saveexec_b64 s[12:13], s[6:7]
	s_cbranch_execz .LBB111_365
; %bb.362:
	v_mov_b32_e32 v106, 0
	v_add_u32_e32 v106, 44, v106
	v_add_u32_e32 v107, -11, v0
	s_movk_i32 s14, 0xec
	s_mov_b64 s[6:7], 0
.LBB111_363:                            ; =>This Inner Loop Header: Depth=1
	buffer_load_dword v108, v106, s[0:3], 0 offen
	v_mov_b32_e32 v109, s14
	ds_read_b32 v109, v109
	v_add_u32_e32 v107, -1, v107
	s_add_i32 s14, s14, 4
	v_cmp_eq_u32_e32 vcc, 0, v107
	v_add_u32_e32 v106, 4, v106
	s_or_b64 s[6:7], vcc, s[6:7]
	s_waitcnt vmcnt(0) lgkmcnt(0)
	v_fmac_f32_e32 v105, v108, v109
	s_andn2_b64 exec, exec, s[6:7]
	s_cbranch_execnz .LBB111_363
; %bb.364:
	s_or_b64 exec, exec, s[6:7]
.LBB111_365:
	s_or_b64 exec, exec, s[12:13]
	v_mov_b32_e32 v106, 0
	ds_read_b32 v106, v106 offset:40
	s_waitcnt lgkmcnt(0)
	v_mul_f32_e32 v105, v105, v106
	buffer_store_dword v105, off, s[0:3], 0 offset:40
.LBB111_366:
	s_or_b64 exec, exec, s[10:11]
	buffer_load_dword v105, off, s[0:3], 0 offset:36
	v_cmp_lt_u32_e64 s[6:7], 9, v0
	s_waitcnt vmcnt(0)
	ds_write_b32 v98, v105
	s_waitcnt lgkmcnt(0)
	; wave barrier
	s_waitcnt lgkmcnt(0)
	s_and_saveexec_b64 s[10:11], s[6:7]
	s_cbranch_execz .LBB111_376
; %bb.367:
	s_andn2_b64 vcc, exec, s[8:9]
	s_cbranch_vccnz .LBB111_369
; %bb.368:
	buffer_load_dword v105, v99, s[0:3], 0 offen
	ds_read_b32 v106, v98
	s_waitcnt vmcnt(0) lgkmcnt(0)
	v_mul_f32_e32 v105, v105, v106
	s_cbranch_execz .LBB111_370
	s_branch .LBB111_371
.LBB111_369:
                                        ; implicit-def: $vgpr105
.LBB111_370:
	ds_read_b32 v105, v98
.LBB111_371:
	s_and_saveexec_b64 s[12:13], s[4:5]
	s_cbranch_execz .LBB111_375
; %bb.372:
	v_add_u32_e32 v106, -10, v0
	s_movk_i32 s14, 0xe8
	s_mov_b64 s[4:5], 0
.LBB111_373:                            ; =>This Inner Loop Header: Depth=1
	buffer_load_dword v107, v104, s[0:3], 0 offen
	v_mov_b32_e32 v108, s14
	ds_read_b32 v108, v108
	v_add_u32_e32 v106, -1, v106
	s_add_i32 s14, s14, 4
	v_cmp_eq_u32_e32 vcc, 0, v106
	v_add_u32_e32 v104, 4, v104
	s_or_b64 s[4:5], vcc, s[4:5]
	s_waitcnt vmcnt(0) lgkmcnt(0)
	v_fmac_f32_e32 v105, v107, v108
	s_andn2_b64 exec, exec, s[4:5]
	s_cbranch_execnz .LBB111_373
; %bb.374:
	s_or_b64 exec, exec, s[4:5]
.LBB111_375:
	s_or_b64 exec, exec, s[12:13]
	v_mov_b32_e32 v104, 0
	ds_read_b32 v104, v104 offset:36
	s_waitcnt lgkmcnt(0)
	v_mul_f32_e32 v104, v105, v104
	buffer_store_dword v104, off, s[0:3], 0 offset:36
.LBB111_376:
	s_or_b64 exec, exec, s[10:11]
	buffer_load_dword v104, off, s[0:3], 0 offset:32
	v_cmp_lt_u32_e64 s[4:5], 8, v0
	s_waitcnt vmcnt(0)
	ds_write_b32 v98, v104
	s_waitcnt lgkmcnt(0)
	; wave barrier
	s_waitcnt lgkmcnt(0)
	s_and_saveexec_b64 s[10:11], s[4:5]
	s_cbranch_execz .LBB111_386
; %bb.377:
	s_andn2_b64 vcc, exec, s[8:9]
	s_cbranch_vccnz .LBB111_379
; %bb.378:
	buffer_load_dword v104, v99, s[0:3], 0 offen
	ds_read_b32 v105, v98
	s_waitcnt vmcnt(0) lgkmcnt(0)
	v_mul_f32_e32 v104, v104, v105
	s_cbranch_execz .LBB111_380
	s_branch .LBB111_381
.LBB111_379:
                                        ; implicit-def: $vgpr104
.LBB111_380:
	ds_read_b32 v104, v98
.LBB111_381:
	s_and_saveexec_b64 s[12:13], s[6:7]
	s_cbranch_execz .LBB111_385
; %bb.382:
	v_mov_b32_e32 v105, 0
	v_add_u32_e32 v105, 36, v105
	v_add_u32_e32 v106, -9, v0
	s_movk_i32 s14, 0xe4
	s_mov_b64 s[6:7], 0
.LBB111_383:                            ; =>This Inner Loop Header: Depth=1
	buffer_load_dword v107, v105, s[0:3], 0 offen
	v_mov_b32_e32 v108, s14
	ds_read_b32 v108, v108
	v_add_u32_e32 v106, -1, v106
	s_add_i32 s14, s14, 4
	v_cmp_eq_u32_e32 vcc, 0, v106
	v_add_u32_e32 v105, 4, v105
	s_or_b64 s[6:7], vcc, s[6:7]
	s_waitcnt vmcnt(0) lgkmcnt(0)
	v_fmac_f32_e32 v104, v107, v108
	s_andn2_b64 exec, exec, s[6:7]
	s_cbranch_execnz .LBB111_383
; %bb.384:
	s_or_b64 exec, exec, s[6:7]
.LBB111_385:
	s_or_b64 exec, exec, s[12:13]
	v_mov_b32_e32 v105, 0
	ds_read_b32 v105, v105 offset:32
	s_waitcnt lgkmcnt(0)
	v_mul_f32_e32 v104, v104, v105
	buffer_store_dword v104, off, s[0:3], 0 offset:32
.LBB111_386:
	s_or_b64 exec, exec, s[10:11]
	buffer_load_dword v104, off, s[0:3], 0 offset:28
	v_cmp_lt_u32_e64 s[6:7], 7, v0
	s_waitcnt vmcnt(0)
	ds_write_b32 v98, v104
	s_waitcnt lgkmcnt(0)
	; wave barrier
	s_waitcnt lgkmcnt(0)
	s_and_saveexec_b64 s[10:11], s[6:7]
	s_cbranch_execz .LBB111_396
; %bb.387:
	s_andn2_b64 vcc, exec, s[8:9]
	s_cbranch_vccnz .LBB111_389
; %bb.388:
	buffer_load_dword v104, v99, s[0:3], 0 offen
	ds_read_b32 v105, v98
	s_waitcnt vmcnt(0) lgkmcnt(0)
	v_mul_f32_e32 v104, v104, v105
	s_cbranch_execz .LBB111_390
	s_branch .LBB111_391
.LBB111_389:
                                        ; implicit-def: $vgpr104
.LBB111_390:
	ds_read_b32 v104, v98
.LBB111_391:
	s_and_saveexec_b64 s[12:13], s[4:5]
	s_cbranch_execz .LBB111_395
; %bb.392:
	v_add_u32_e32 v105, -8, v0
	s_movk_i32 s14, 0xe0
	s_mov_b64 s[4:5], 0
.LBB111_393:                            ; =>This Inner Loop Header: Depth=1
	buffer_load_dword v106, v103, s[0:3], 0 offen
	v_mov_b32_e32 v107, s14
	ds_read_b32 v107, v107
	v_add_u32_e32 v105, -1, v105
	s_add_i32 s14, s14, 4
	v_cmp_eq_u32_e32 vcc, 0, v105
	v_add_u32_e32 v103, 4, v103
	s_or_b64 s[4:5], vcc, s[4:5]
	s_waitcnt vmcnt(0) lgkmcnt(0)
	v_fmac_f32_e32 v104, v106, v107
	s_andn2_b64 exec, exec, s[4:5]
	s_cbranch_execnz .LBB111_393
; %bb.394:
	s_or_b64 exec, exec, s[4:5]
.LBB111_395:
	s_or_b64 exec, exec, s[12:13]
	v_mov_b32_e32 v103, 0
	ds_read_b32 v103, v103 offset:28
	s_waitcnt lgkmcnt(0)
	v_mul_f32_e32 v103, v104, v103
	buffer_store_dword v103, off, s[0:3], 0 offset:28
.LBB111_396:
	s_or_b64 exec, exec, s[10:11]
	buffer_load_dword v103, off, s[0:3], 0 offset:24
	v_cmp_lt_u32_e64 s[4:5], 6, v0
	s_waitcnt vmcnt(0)
	ds_write_b32 v98, v103
	s_waitcnt lgkmcnt(0)
	; wave barrier
	s_waitcnt lgkmcnt(0)
	s_and_saveexec_b64 s[10:11], s[4:5]
	s_cbranch_execz .LBB111_406
; %bb.397:
	s_andn2_b64 vcc, exec, s[8:9]
	s_cbranch_vccnz .LBB111_399
; %bb.398:
	buffer_load_dword v103, v99, s[0:3], 0 offen
	ds_read_b32 v104, v98
	s_waitcnt vmcnt(0) lgkmcnt(0)
	v_mul_f32_e32 v103, v103, v104
	s_cbranch_execz .LBB111_400
	s_branch .LBB111_401
.LBB111_399:
                                        ; implicit-def: $vgpr103
.LBB111_400:
	ds_read_b32 v103, v98
.LBB111_401:
	s_and_saveexec_b64 s[12:13], s[6:7]
	s_cbranch_execz .LBB111_405
; %bb.402:
	v_mov_b32_e32 v104, 0
	v_add_u32_e32 v104, 28, v104
	v_add_u32_e32 v105, -7, v0
	s_movk_i32 s14, 0xdc
	s_mov_b64 s[6:7], 0
.LBB111_403:                            ; =>This Inner Loop Header: Depth=1
	buffer_load_dword v106, v104, s[0:3], 0 offen
	v_mov_b32_e32 v107, s14
	ds_read_b32 v107, v107
	v_add_u32_e32 v105, -1, v105
	s_add_i32 s14, s14, 4
	v_cmp_eq_u32_e32 vcc, 0, v105
	v_add_u32_e32 v104, 4, v104
	s_or_b64 s[6:7], vcc, s[6:7]
	s_waitcnt vmcnt(0) lgkmcnt(0)
	v_fmac_f32_e32 v103, v106, v107
	s_andn2_b64 exec, exec, s[6:7]
	s_cbranch_execnz .LBB111_403
; %bb.404:
	s_or_b64 exec, exec, s[6:7]
.LBB111_405:
	s_or_b64 exec, exec, s[12:13]
	v_mov_b32_e32 v104, 0
	ds_read_b32 v104, v104 offset:24
	s_waitcnt lgkmcnt(0)
	v_mul_f32_e32 v103, v103, v104
	buffer_store_dword v103, off, s[0:3], 0 offset:24
.LBB111_406:
	s_or_b64 exec, exec, s[10:11]
	buffer_load_dword v103, off, s[0:3], 0 offset:20
	v_cmp_lt_u32_e64 s[6:7], 5, v0
	s_waitcnt vmcnt(0)
	ds_write_b32 v98, v103
	s_waitcnt lgkmcnt(0)
	; wave barrier
	s_waitcnt lgkmcnt(0)
	s_and_saveexec_b64 s[10:11], s[6:7]
	s_cbranch_execz .LBB111_416
; %bb.407:
	s_andn2_b64 vcc, exec, s[8:9]
	s_cbranch_vccnz .LBB111_409
; %bb.408:
	buffer_load_dword v103, v99, s[0:3], 0 offen
	ds_read_b32 v104, v98
	s_waitcnt vmcnt(0) lgkmcnt(0)
	v_mul_f32_e32 v103, v103, v104
	s_cbranch_execz .LBB111_410
	s_branch .LBB111_411
.LBB111_409:
                                        ; implicit-def: $vgpr103
.LBB111_410:
	ds_read_b32 v103, v98
.LBB111_411:
	s_and_saveexec_b64 s[12:13], s[4:5]
	s_cbranch_execz .LBB111_415
; %bb.412:
	v_add_u32_e32 v104, -6, v0
	s_movk_i32 s14, 0xd8
	s_mov_b64 s[4:5], 0
.LBB111_413:                            ; =>This Inner Loop Header: Depth=1
	buffer_load_dword v105, v102, s[0:3], 0 offen
	v_mov_b32_e32 v106, s14
	ds_read_b32 v106, v106
	v_add_u32_e32 v104, -1, v104
	s_add_i32 s14, s14, 4
	v_cmp_eq_u32_e32 vcc, 0, v104
	v_add_u32_e32 v102, 4, v102
	s_or_b64 s[4:5], vcc, s[4:5]
	s_waitcnt vmcnt(0) lgkmcnt(0)
	v_fmac_f32_e32 v103, v105, v106
	s_andn2_b64 exec, exec, s[4:5]
	s_cbranch_execnz .LBB111_413
; %bb.414:
	s_or_b64 exec, exec, s[4:5]
.LBB111_415:
	s_or_b64 exec, exec, s[12:13]
	v_mov_b32_e32 v102, 0
	ds_read_b32 v102, v102 offset:20
	s_waitcnt lgkmcnt(0)
	v_mul_f32_e32 v102, v103, v102
	buffer_store_dword v102, off, s[0:3], 0 offset:20
.LBB111_416:
	s_or_b64 exec, exec, s[10:11]
	buffer_load_dword v102, off, s[0:3], 0 offset:16
	v_cmp_lt_u32_e64 s[4:5], 4, v0
	s_waitcnt vmcnt(0)
	ds_write_b32 v98, v102
	s_waitcnt lgkmcnt(0)
	; wave barrier
	s_waitcnt lgkmcnt(0)
	s_and_saveexec_b64 s[10:11], s[4:5]
	s_cbranch_execz .LBB111_426
; %bb.417:
	s_andn2_b64 vcc, exec, s[8:9]
	s_cbranch_vccnz .LBB111_419
; %bb.418:
	buffer_load_dword v102, v99, s[0:3], 0 offen
	ds_read_b32 v103, v98
	s_waitcnt vmcnt(0) lgkmcnt(0)
	v_mul_f32_e32 v102, v102, v103
	s_cbranch_execz .LBB111_420
	s_branch .LBB111_421
.LBB111_419:
                                        ; implicit-def: $vgpr102
.LBB111_420:
	ds_read_b32 v102, v98
.LBB111_421:
	s_and_saveexec_b64 s[12:13], s[6:7]
	s_cbranch_execz .LBB111_425
; %bb.422:
	v_mov_b32_e32 v103, 0
	v_add_u32_e32 v103, 20, v103
	v_add_u32_e32 v104, -5, v0
	s_movk_i32 s14, 0xd4
	s_mov_b64 s[6:7], 0
.LBB111_423:                            ; =>This Inner Loop Header: Depth=1
	buffer_load_dword v105, v103, s[0:3], 0 offen
	v_mov_b32_e32 v106, s14
	ds_read_b32 v106, v106
	v_add_u32_e32 v104, -1, v104
	s_add_i32 s14, s14, 4
	v_cmp_eq_u32_e32 vcc, 0, v104
	v_add_u32_e32 v103, 4, v103
	s_or_b64 s[6:7], vcc, s[6:7]
	s_waitcnt vmcnt(0) lgkmcnt(0)
	v_fmac_f32_e32 v102, v105, v106
	s_andn2_b64 exec, exec, s[6:7]
	s_cbranch_execnz .LBB111_423
; %bb.424:
	s_or_b64 exec, exec, s[6:7]
.LBB111_425:
	s_or_b64 exec, exec, s[12:13]
	v_mov_b32_e32 v103, 0
	ds_read_b32 v103, v103 offset:16
	s_waitcnt lgkmcnt(0)
	v_mul_f32_e32 v102, v102, v103
	buffer_store_dword v102, off, s[0:3], 0 offset:16
.LBB111_426:
	s_or_b64 exec, exec, s[10:11]
	buffer_load_dword v102, off, s[0:3], 0 offset:12
	v_cmp_lt_u32_e64 s[6:7], 3, v0
	s_waitcnt vmcnt(0)
	ds_write_b32 v98, v102
	s_waitcnt lgkmcnt(0)
	; wave barrier
	s_waitcnt lgkmcnt(0)
	s_and_saveexec_b64 s[10:11], s[6:7]
	s_cbranch_execz .LBB111_436
; %bb.427:
	s_andn2_b64 vcc, exec, s[8:9]
	s_cbranch_vccnz .LBB111_429
; %bb.428:
	buffer_load_dword v102, v99, s[0:3], 0 offen
	ds_read_b32 v103, v98
	s_waitcnt vmcnt(0) lgkmcnt(0)
	v_mul_f32_e32 v102, v102, v103
	s_cbranch_execz .LBB111_430
	s_branch .LBB111_431
.LBB111_429:
                                        ; implicit-def: $vgpr102
.LBB111_430:
	ds_read_b32 v102, v98
.LBB111_431:
	s_and_saveexec_b64 s[12:13], s[4:5]
	s_cbranch_execz .LBB111_435
; %bb.432:
	v_add_u32_e32 v103, -4, v0
	s_movk_i32 s14, 0xd0
	s_mov_b64 s[4:5], 0
.LBB111_433:                            ; =>This Inner Loop Header: Depth=1
	buffer_load_dword v104, v101, s[0:3], 0 offen
	v_mov_b32_e32 v105, s14
	ds_read_b32 v105, v105
	v_add_u32_e32 v103, -1, v103
	s_add_i32 s14, s14, 4
	v_cmp_eq_u32_e32 vcc, 0, v103
	v_add_u32_e32 v101, 4, v101
	s_or_b64 s[4:5], vcc, s[4:5]
	s_waitcnt vmcnt(0) lgkmcnt(0)
	v_fmac_f32_e32 v102, v104, v105
	s_andn2_b64 exec, exec, s[4:5]
	s_cbranch_execnz .LBB111_433
; %bb.434:
	s_or_b64 exec, exec, s[4:5]
.LBB111_435:
	s_or_b64 exec, exec, s[12:13]
	v_mov_b32_e32 v101, 0
	ds_read_b32 v101, v101 offset:12
	s_waitcnt lgkmcnt(0)
	v_mul_f32_e32 v101, v102, v101
	buffer_store_dword v101, off, s[0:3], 0 offset:12
.LBB111_436:
	s_or_b64 exec, exec, s[10:11]
	buffer_load_dword v101, off, s[0:3], 0 offset:8
	v_cmp_lt_u32_e64 s[4:5], 2, v0
	s_waitcnt vmcnt(0)
	ds_write_b32 v98, v101
	s_waitcnt lgkmcnt(0)
	; wave barrier
	s_waitcnt lgkmcnt(0)
	s_and_saveexec_b64 s[10:11], s[4:5]
	s_cbranch_execz .LBB111_446
; %bb.437:
	s_andn2_b64 vcc, exec, s[8:9]
	s_cbranch_vccnz .LBB111_439
; %bb.438:
	buffer_load_dword v101, v99, s[0:3], 0 offen
	ds_read_b32 v102, v98
	s_waitcnt vmcnt(0) lgkmcnt(0)
	v_mul_f32_e32 v101, v101, v102
	s_cbranch_execz .LBB111_440
	s_branch .LBB111_441
.LBB111_439:
                                        ; implicit-def: $vgpr101
.LBB111_440:
	ds_read_b32 v101, v98
.LBB111_441:
	s_and_saveexec_b64 s[12:13], s[6:7]
	s_cbranch_execz .LBB111_445
; %bb.442:
	v_mov_b32_e32 v102, 0
	v_or_b32_e32 v102, 12, v102
	v_add_u32_e32 v103, -3, v0
	s_movk_i32 s14, 0xcc
	s_mov_b64 s[6:7], 0
.LBB111_443:                            ; =>This Inner Loop Header: Depth=1
	buffer_load_dword v104, v102, s[0:3], 0 offen
	v_mov_b32_e32 v105, s14
	ds_read_b32 v105, v105
	v_add_u32_e32 v103, -1, v103
	s_add_i32 s14, s14, 4
	v_cmp_eq_u32_e32 vcc, 0, v103
	v_add_u32_e32 v102, 4, v102
	s_or_b64 s[6:7], vcc, s[6:7]
	s_waitcnt vmcnt(0) lgkmcnt(0)
	v_fmac_f32_e32 v101, v104, v105
	s_andn2_b64 exec, exec, s[6:7]
	s_cbranch_execnz .LBB111_443
; %bb.444:
	s_or_b64 exec, exec, s[6:7]
.LBB111_445:
	s_or_b64 exec, exec, s[12:13]
	v_mov_b32_e32 v102, 0
	ds_read_b32 v102, v102 offset:8
	s_waitcnt lgkmcnt(0)
	v_mul_f32_e32 v101, v101, v102
	buffer_store_dword v101, off, s[0:3], 0 offset:8
.LBB111_446:
	s_or_b64 exec, exec, s[10:11]
	buffer_load_dword v101, off, s[0:3], 0 offset:4
	v_cmp_lt_u32_e64 s[6:7], 1, v0
	s_waitcnt vmcnt(0)
	ds_write_b32 v98, v101
	s_waitcnt lgkmcnt(0)
	; wave barrier
	s_waitcnt lgkmcnt(0)
	s_and_saveexec_b64 s[10:11], s[6:7]
	s_cbranch_execz .LBB111_456
; %bb.447:
	s_andn2_b64 vcc, exec, s[8:9]
	s_cbranch_vccnz .LBB111_449
; %bb.448:
	buffer_load_dword v101, v99, s[0:3], 0 offen
	ds_read_b32 v102, v98
	s_waitcnt vmcnt(0) lgkmcnt(0)
	v_mul_f32_e32 v101, v101, v102
	s_cbranch_execz .LBB111_450
	s_branch .LBB111_451
.LBB111_449:
                                        ; implicit-def: $vgpr101
.LBB111_450:
	ds_read_b32 v101, v98
.LBB111_451:
	s_and_saveexec_b64 s[12:13], s[4:5]
	s_cbranch_execz .LBB111_455
; %bb.452:
	v_add_u32_e32 v102, -2, v0
	s_movk_i32 s14, 0xc8
	s_mov_b64 s[4:5], 0
.LBB111_453:                            ; =>This Inner Loop Header: Depth=1
	buffer_load_dword v103, v100, s[0:3], 0 offen
	v_mov_b32_e32 v104, s14
	ds_read_b32 v104, v104
	v_add_u32_e32 v102, -1, v102
	s_add_i32 s14, s14, 4
	v_cmp_eq_u32_e32 vcc, 0, v102
	v_add_u32_e32 v100, 4, v100
	s_or_b64 s[4:5], vcc, s[4:5]
	s_waitcnt vmcnt(0) lgkmcnt(0)
	v_fmac_f32_e32 v101, v103, v104
	s_andn2_b64 exec, exec, s[4:5]
	s_cbranch_execnz .LBB111_453
; %bb.454:
	s_or_b64 exec, exec, s[4:5]
.LBB111_455:
	s_or_b64 exec, exec, s[12:13]
	v_mov_b32_e32 v100, 0
	ds_read_b32 v100, v100 offset:4
	s_waitcnt lgkmcnt(0)
	v_mul_f32_e32 v100, v101, v100
	buffer_store_dword v100, off, s[0:3], 0 offset:4
.LBB111_456:
	s_or_b64 exec, exec, s[10:11]
	buffer_load_dword v100, off, s[0:3], 0
	v_cmp_ne_u32_e32 vcc, 0, v0
	s_waitcnt vmcnt(0)
	ds_write_b32 v98, v100
	s_waitcnt lgkmcnt(0)
	; wave barrier
	s_waitcnt lgkmcnt(0)
	s_and_saveexec_b64 s[4:5], vcc
	s_cbranch_execz .LBB111_466
; %bb.457:
	s_andn2_b64 vcc, exec, s[8:9]
	s_cbranch_vccnz .LBB111_459
; %bb.458:
	buffer_load_dword v100, v99, s[0:3], 0 offen
	ds_read_b32 v101, v98
	s_waitcnt vmcnt(0) lgkmcnt(0)
	v_mul_f32_e32 v100, v100, v101
	s_cbranch_execz .LBB111_460
	s_branch .LBB111_461
.LBB111_459:
                                        ; implicit-def: $vgpr100
.LBB111_460:
	ds_read_b32 v100, v98
.LBB111_461:
	s_and_saveexec_b64 s[10:11], s[6:7]
	s_cbranch_execz .LBB111_465
; %bb.462:
	v_mov_b32_e32 v101, 0
	v_or_b32_e32 v101, 4, v101
	v_add_u32_e32 v102, -1, v0
	s_movk_i32 s12, 0xc4
	s_mov_b64 s[6:7], 0
.LBB111_463:                            ; =>This Inner Loop Header: Depth=1
	buffer_load_dword v103, v101, s[0:3], 0 offen
	v_mov_b32_e32 v104, s12
	ds_read_b32 v104, v104
	v_add_u32_e32 v102, -1, v102
	s_add_i32 s12, s12, 4
	v_cmp_eq_u32_e32 vcc, 0, v102
	v_add_u32_e32 v101, 4, v101
	s_or_b64 s[6:7], vcc, s[6:7]
	s_waitcnt vmcnt(0) lgkmcnt(0)
	v_fmac_f32_e32 v100, v103, v104
	s_andn2_b64 exec, exec, s[6:7]
	s_cbranch_execnz .LBB111_463
; %bb.464:
	s_or_b64 exec, exec, s[6:7]
.LBB111_465:
	s_or_b64 exec, exec, s[10:11]
	v_mov_b32_e32 v101, 0
	ds_read_b32 v101, v101
	s_waitcnt lgkmcnt(0)
	v_mul_f32_e32 v100, v100, v101
	buffer_store_dword v100, off, s[0:3], 0
.LBB111_466:
	s_or_b64 exec, exec, s[4:5]
	s_mov_b64 s[4:5], 0
.LBB111_467:
	s_and_b64 vcc, exec, s[4:5]
	s_cbranch_vccz .LBB111_931
; %bb.468:
	buffer_load_dword v100, off, s[0:3], 0 offset:4
	v_cmp_eq_u32_e64 s[6:7], 0, v0
	s_waitcnt vmcnt(0)
	ds_write_b32 v98, v100
	s_waitcnt lgkmcnt(0)
	; wave barrier
	s_waitcnt lgkmcnt(0)
	s_and_saveexec_b64 s[4:5], s[6:7]
	s_cbranch_execz .LBB111_474
; %bb.469:
	s_and_b64 vcc, exec, s[8:9]
	s_cbranch_vccz .LBB111_471
; %bb.470:
	buffer_load_dword v100, v99, s[0:3], 0 offen
	ds_read_b32 v101, v98
	s_waitcnt vmcnt(0) lgkmcnt(0)
	v_mul_f32_e32 v100, v100, v101
	s_cbranch_execz .LBB111_472
	s_branch .LBB111_473
.LBB111_471:
                                        ; implicit-def: $vgpr100
.LBB111_472:
	ds_read_b32 v100, v98
.LBB111_473:
	v_mov_b32_e32 v101, 0
	ds_read_b32 v101, v101 offset:4
	s_waitcnt lgkmcnt(0)
	v_mul_f32_e32 v100, v100, v101
	buffer_store_dword v100, off, s[0:3], 0 offset:4
.LBB111_474:
	s_or_b64 exec, exec, s[4:5]
	buffer_load_dword v100, off, s[0:3], 0 offset:8
	v_cndmask_b32_e64 v101, 0, 1, s[8:9]
	v_cmp_gt_u32_e32 vcc, 2, v0
	v_cmp_ne_u32_e64 s[4:5], 1, v101
	s_waitcnt vmcnt(0)
	ds_write_b32 v98, v100
	s_waitcnt lgkmcnt(0)
	; wave barrier
	s_waitcnt lgkmcnt(0)
	s_and_saveexec_b64 s[8:9], vcc
	s_cbranch_execz .LBB111_482
; %bb.475:
	s_and_b64 vcc, exec, s[4:5]
	s_cbranch_vccnz .LBB111_477
; %bb.476:
	buffer_load_dword v100, v99, s[0:3], 0 offen
	ds_read_b32 v101, v98
	s_waitcnt vmcnt(0) lgkmcnt(0)
	v_mul_f32_e32 v100, v100, v101
	s_cbranch_execz .LBB111_478
	s_branch .LBB111_479
.LBB111_477:
                                        ; implicit-def: $vgpr100
.LBB111_478:
	ds_read_b32 v100, v98
.LBB111_479:
	s_and_saveexec_b64 s[10:11], s[6:7]
	s_cbranch_execz .LBB111_481
; %bb.480:
	buffer_load_dword v101, v99, s[0:3], 0 offen offset:4
	ds_read_b32 v102, v98 offset:4
	s_waitcnt vmcnt(0) lgkmcnt(0)
	v_fmac_f32_e32 v100, v101, v102
.LBB111_481:
	s_or_b64 exec, exec, s[10:11]
	v_mov_b32_e32 v101, 0
	ds_read_b32 v101, v101 offset:8
	s_waitcnt lgkmcnt(0)
	v_mul_f32_e32 v100, v100, v101
	buffer_store_dword v100, off, s[0:3], 0 offset:8
.LBB111_482:
	s_or_b64 exec, exec, s[8:9]
	buffer_load_dword v100, off, s[0:3], 0 offset:12
	v_cmp_gt_u32_e32 vcc, 3, v0
	s_waitcnt vmcnt(0)
	ds_write_b32 v98, v100
	s_waitcnt lgkmcnt(0)
	; wave barrier
	s_waitcnt lgkmcnt(0)
	s_and_saveexec_b64 s[8:9], vcc
	s_cbranch_execz .LBB111_490
; %bb.483:
	s_and_b64 vcc, exec, s[4:5]
	s_cbranch_vccnz .LBB111_485
; %bb.484:
	buffer_load_dword v100, v99, s[0:3], 0 offen
	ds_read_b32 v101, v98
	s_waitcnt vmcnt(0) lgkmcnt(0)
	v_mul_f32_e32 v100, v100, v101
	s_cbranch_execz .LBB111_486
	s_branch .LBB111_487
.LBB111_485:
                                        ; implicit-def: $vgpr100
.LBB111_486:
	ds_read_b32 v100, v98
.LBB111_487:
	v_cmp_ne_u32_e32 vcc, 2, v0
	s_and_saveexec_b64 s[10:11], vcc
	s_cbranch_execz .LBB111_489
; %bb.488:
	buffer_load_dword v101, v99, s[0:3], 0 offen offset:4
	buffer_load_dword v102, off, s[0:3], 0 offset:8
	v_mov_b32_e32 v103, 0
	ds_read_b32 v104, v98 offset:4
	ds_read_b32 v103, v103 offset:200
	s_waitcnt vmcnt(1) lgkmcnt(1)
	v_fmac_f32_e32 v100, v101, v104
	s_waitcnt vmcnt(0) lgkmcnt(0)
	v_fma_f32 v101, v102, v103, v100
	v_cndmask_b32_e64 v100, v100, v101, s[6:7]
.LBB111_489:
	s_or_b64 exec, exec, s[10:11]
	v_mov_b32_e32 v101, 0
	ds_read_b32 v101, v101 offset:12
	s_waitcnt lgkmcnt(0)
	v_mul_f32_e32 v100, v100, v101
	buffer_store_dword v100, off, s[0:3], 0 offset:12
.LBB111_490:
	s_or_b64 exec, exec, s[8:9]
	buffer_load_dword v100, off, s[0:3], 0 offset:16
	v_cmp_gt_u32_e32 vcc, 4, v0
	s_waitcnt vmcnt(0)
	ds_write_b32 v98, v100
	s_waitcnt lgkmcnt(0)
	; wave barrier
	s_waitcnt lgkmcnt(0)
	s_and_saveexec_b64 s[6:7], vcc
	s_cbranch_execz .LBB111_500
; %bb.491:
	s_and_b64 vcc, exec, s[4:5]
	s_cbranch_vccnz .LBB111_493
; %bb.492:
	buffer_load_dword v100, v99, s[0:3], 0 offen
	ds_read_b32 v101, v98
	s_waitcnt vmcnt(0) lgkmcnt(0)
	v_mul_f32_e32 v100, v100, v101
	s_cbranch_execz .LBB111_494
	s_branch .LBB111_495
.LBB111_493:
                                        ; implicit-def: $vgpr100
.LBB111_494:
	ds_read_b32 v100, v98
.LBB111_495:
	v_cmp_ne_u32_e32 vcc, 3, v0
	s_and_saveexec_b64 s[8:9], vcc
	s_cbranch_execz .LBB111_499
; %bb.496:
	v_mov_b32_e32 v102, 0
	v_add_u32_e32 v101, 0xc4, v1
	v_add3_u32 v102, v1, v102, 4
	s_mov_b64 s[10:11], 0
	v_mov_b32_e32 v103, v0
.LBB111_497:                            ; =>This Inner Loop Header: Depth=1
	buffer_load_dword v104, v102, s[0:3], 0 offen
	ds_read_b32 v105, v101
	v_add_u32_e32 v103, 1, v103
	v_cmp_lt_u32_e32 vcc, 2, v103
	v_add_u32_e32 v101, 4, v101
	v_add_u32_e32 v102, 4, v102
	s_or_b64 s[10:11], vcc, s[10:11]
	s_waitcnt vmcnt(0) lgkmcnt(0)
	v_fmac_f32_e32 v100, v104, v105
	s_andn2_b64 exec, exec, s[10:11]
	s_cbranch_execnz .LBB111_497
; %bb.498:
	s_or_b64 exec, exec, s[10:11]
.LBB111_499:
	s_or_b64 exec, exec, s[8:9]
	v_mov_b32_e32 v101, 0
	ds_read_b32 v101, v101 offset:16
	s_waitcnt lgkmcnt(0)
	v_mul_f32_e32 v100, v100, v101
	buffer_store_dword v100, off, s[0:3], 0 offset:16
.LBB111_500:
	s_or_b64 exec, exec, s[6:7]
	buffer_load_dword v100, off, s[0:3], 0 offset:20
	v_cmp_gt_u32_e32 vcc, 5, v0
	s_waitcnt vmcnt(0)
	ds_write_b32 v98, v100
	s_waitcnt lgkmcnt(0)
	; wave barrier
	s_waitcnt lgkmcnt(0)
	s_and_saveexec_b64 s[6:7], vcc
	s_cbranch_execz .LBB111_510
; %bb.501:
	s_and_b64 vcc, exec, s[4:5]
	s_cbranch_vccnz .LBB111_503
; %bb.502:
	buffer_load_dword v100, v99, s[0:3], 0 offen
	ds_read_b32 v101, v98
	s_waitcnt vmcnt(0) lgkmcnt(0)
	v_mul_f32_e32 v100, v100, v101
	s_cbranch_execz .LBB111_504
	s_branch .LBB111_505
.LBB111_503:
                                        ; implicit-def: $vgpr100
.LBB111_504:
	ds_read_b32 v100, v98
.LBB111_505:
	v_cmp_ne_u32_e32 vcc, 4, v0
	s_and_saveexec_b64 s[8:9], vcc
	s_cbranch_execz .LBB111_509
; %bb.506:
	v_mov_b32_e32 v102, 0
	v_add_u32_e32 v101, 0xc4, v1
	v_add3_u32 v102, v1, v102, 4
	s_mov_b64 s[10:11], 0
	v_mov_b32_e32 v103, v0
.LBB111_507:                            ; =>This Inner Loop Header: Depth=1
	buffer_load_dword v104, v102, s[0:3], 0 offen
	ds_read_b32 v105, v101
	v_add_u32_e32 v103, 1, v103
	v_cmp_lt_u32_e32 vcc, 3, v103
	v_add_u32_e32 v101, 4, v101
	v_add_u32_e32 v102, 4, v102
	s_or_b64 s[10:11], vcc, s[10:11]
	s_waitcnt vmcnt(0) lgkmcnt(0)
	v_fmac_f32_e32 v100, v104, v105
	s_andn2_b64 exec, exec, s[10:11]
	s_cbranch_execnz .LBB111_507
; %bb.508:
	s_or_b64 exec, exec, s[10:11]
.LBB111_509:
	s_or_b64 exec, exec, s[8:9]
	v_mov_b32_e32 v101, 0
	ds_read_b32 v101, v101 offset:20
	s_waitcnt lgkmcnt(0)
	v_mul_f32_e32 v100, v100, v101
	buffer_store_dword v100, off, s[0:3], 0 offset:20
.LBB111_510:
	s_or_b64 exec, exec, s[6:7]
	buffer_load_dword v100, off, s[0:3], 0 offset:24
	v_cmp_gt_u32_e32 vcc, 6, v0
	s_waitcnt vmcnt(0)
	ds_write_b32 v98, v100
	s_waitcnt lgkmcnt(0)
	; wave barrier
	s_waitcnt lgkmcnt(0)
	s_and_saveexec_b64 s[6:7], vcc
	s_cbranch_execz .LBB111_520
; %bb.511:
	s_and_b64 vcc, exec, s[4:5]
	s_cbranch_vccnz .LBB111_513
; %bb.512:
	buffer_load_dword v100, v99, s[0:3], 0 offen
	ds_read_b32 v101, v98
	s_waitcnt vmcnt(0) lgkmcnt(0)
	v_mul_f32_e32 v100, v100, v101
	s_cbranch_execz .LBB111_514
	s_branch .LBB111_515
.LBB111_513:
                                        ; implicit-def: $vgpr100
.LBB111_514:
	ds_read_b32 v100, v98
.LBB111_515:
	v_cmp_ne_u32_e32 vcc, 5, v0
	s_and_saveexec_b64 s[8:9], vcc
	s_cbranch_execz .LBB111_519
; %bb.516:
	v_mov_b32_e32 v102, 0
	v_add_u32_e32 v101, 0xc4, v1
	v_add3_u32 v102, v1, v102, 4
	s_mov_b64 s[10:11], 0
	v_mov_b32_e32 v103, v0
.LBB111_517:                            ; =>This Inner Loop Header: Depth=1
	buffer_load_dword v104, v102, s[0:3], 0 offen
	ds_read_b32 v105, v101
	v_add_u32_e32 v103, 1, v103
	v_cmp_lt_u32_e32 vcc, 4, v103
	v_add_u32_e32 v101, 4, v101
	v_add_u32_e32 v102, 4, v102
	s_or_b64 s[10:11], vcc, s[10:11]
	s_waitcnt vmcnt(0) lgkmcnt(0)
	v_fmac_f32_e32 v100, v104, v105
	s_andn2_b64 exec, exec, s[10:11]
	s_cbranch_execnz .LBB111_517
; %bb.518:
	s_or_b64 exec, exec, s[10:11]
.LBB111_519:
	s_or_b64 exec, exec, s[8:9]
	v_mov_b32_e32 v101, 0
	ds_read_b32 v101, v101 offset:24
	s_waitcnt lgkmcnt(0)
	v_mul_f32_e32 v100, v100, v101
	buffer_store_dword v100, off, s[0:3], 0 offset:24
.LBB111_520:
	s_or_b64 exec, exec, s[6:7]
	buffer_load_dword v100, off, s[0:3], 0 offset:28
	v_cmp_gt_u32_e32 vcc, 7, v0
	s_waitcnt vmcnt(0)
	ds_write_b32 v98, v100
	s_waitcnt lgkmcnt(0)
	; wave barrier
	s_waitcnt lgkmcnt(0)
	s_and_saveexec_b64 s[6:7], vcc
	s_cbranch_execz .LBB111_530
; %bb.521:
	s_and_b64 vcc, exec, s[4:5]
	s_cbranch_vccnz .LBB111_523
; %bb.522:
	buffer_load_dword v100, v99, s[0:3], 0 offen
	ds_read_b32 v101, v98
	s_waitcnt vmcnt(0) lgkmcnt(0)
	v_mul_f32_e32 v100, v100, v101
	s_cbranch_execz .LBB111_524
	s_branch .LBB111_525
.LBB111_523:
                                        ; implicit-def: $vgpr100
.LBB111_524:
	ds_read_b32 v100, v98
.LBB111_525:
	v_cmp_ne_u32_e32 vcc, 6, v0
	s_and_saveexec_b64 s[8:9], vcc
	s_cbranch_execz .LBB111_529
; %bb.526:
	v_mov_b32_e32 v102, 0
	v_add_u32_e32 v101, 0xc4, v1
	v_add3_u32 v102, v1, v102, 4
	s_mov_b64 s[10:11], 0
	v_mov_b32_e32 v103, v0
.LBB111_527:                            ; =>This Inner Loop Header: Depth=1
	buffer_load_dword v104, v102, s[0:3], 0 offen
	ds_read_b32 v105, v101
	v_add_u32_e32 v103, 1, v103
	v_cmp_lt_u32_e32 vcc, 5, v103
	v_add_u32_e32 v101, 4, v101
	v_add_u32_e32 v102, 4, v102
	s_or_b64 s[10:11], vcc, s[10:11]
	s_waitcnt vmcnt(0) lgkmcnt(0)
	v_fmac_f32_e32 v100, v104, v105
	s_andn2_b64 exec, exec, s[10:11]
	s_cbranch_execnz .LBB111_527
; %bb.528:
	s_or_b64 exec, exec, s[10:11]
.LBB111_529:
	s_or_b64 exec, exec, s[8:9]
	v_mov_b32_e32 v101, 0
	ds_read_b32 v101, v101 offset:28
	s_waitcnt lgkmcnt(0)
	v_mul_f32_e32 v100, v100, v101
	buffer_store_dword v100, off, s[0:3], 0 offset:28
.LBB111_530:
	s_or_b64 exec, exec, s[6:7]
	buffer_load_dword v100, off, s[0:3], 0 offset:32
	v_cmp_gt_u32_e32 vcc, 8, v0
	s_waitcnt vmcnt(0)
	ds_write_b32 v98, v100
	s_waitcnt lgkmcnt(0)
	; wave barrier
	s_waitcnt lgkmcnt(0)
	s_and_saveexec_b64 s[6:7], vcc
	s_cbranch_execz .LBB111_540
; %bb.531:
	s_and_b64 vcc, exec, s[4:5]
	s_cbranch_vccnz .LBB111_533
; %bb.532:
	buffer_load_dword v100, v99, s[0:3], 0 offen
	ds_read_b32 v101, v98
	s_waitcnt vmcnt(0) lgkmcnt(0)
	v_mul_f32_e32 v100, v100, v101
	s_cbranch_execz .LBB111_534
	s_branch .LBB111_535
.LBB111_533:
                                        ; implicit-def: $vgpr100
.LBB111_534:
	ds_read_b32 v100, v98
.LBB111_535:
	v_cmp_ne_u32_e32 vcc, 7, v0
	s_and_saveexec_b64 s[8:9], vcc
	s_cbranch_execz .LBB111_539
; %bb.536:
	v_mov_b32_e32 v102, 0
	v_add_u32_e32 v101, 0xc4, v1
	v_add3_u32 v102, v1, v102, 4
	s_mov_b64 s[10:11], 0
	v_mov_b32_e32 v103, v0
.LBB111_537:                            ; =>This Inner Loop Header: Depth=1
	buffer_load_dword v104, v102, s[0:3], 0 offen
	ds_read_b32 v105, v101
	v_add_u32_e32 v103, 1, v103
	v_cmp_lt_u32_e32 vcc, 6, v103
	v_add_u32_e32 v101, 4, v101
	v_add_u32_e32 v102, 4, v102
	s_or_b64 s[10:11], vcc, s[10:11]
	s_waitcnt vmcnt(0) lgkmcnt(0)
	v_fmac_f32_e32 v100, v104, v105
	s_andn2_b64 exec, exec, s[10:11]
	s_cbranch_execnz .LBB111_537
; %bb.538:
	s_or_b64 exec, exec, s[10:11]
.LBB111_539:
	s_or_b64 exec, exec, s[8:9]
	v_mov_b32_e32 v101, 0
	ds_read_b32 v101, v101 offset:32
	s_waitcnt lgkmcnt(0)
	v_mul_f32_e32 v100, v100, v101
	buffer_store_dword v100, off, s[0:3], 0 offset:32
.LBB111_540:
	s_or_b64 exec, exec, s[6:7]
	buffer_load_dword v100, off, s[0:3], 0 offset:36
	v_cmp_gt_u32_e32 vcc, 9, v0
	s_waitcnt vmcnt(0)
	ds_write_b32 v98, v100
	s_waitcnt lgkmcnt(0)
	; wave barrier
	s_waitcnt lgkmcnt(0)
	s_and_saveexec_b64 s[6:7], vcc
	s_cbranch_execz .LBB111_550
; %bb.541:
	s_and_b64 vcc, exec, s[4:5]
	s_cbranch_vccnz .LBB111_543
; %bb.542:
	buffer_load_dword v100, v99, s[0:3], 0 offen
	ds_read_b32 v101, v98
	s_waitcnt vmcnt(0) lgkmcnt(0)
	v_mul_f32_e32 v100, v100, v101
	s_cbranch_execz .LBB111_544
	s_branch .LBB111_545
.LBB111_543:
                                        ; implicit-def: $vgpr100
.LBB111_544:
	ds_read_b32 v100, v98
.LBB111_545:
	v_cmp_ne_u32_e32 vcc, 8, v0
	s_and_saveexec_b64 s[8:9], vcc
	s_cbranch_execz .LBB111_549
; %bb.546:
	v_mov_b32_e32 v102, 0
	v_add_u32_e32 v101, 0xc4, v1
	v_add3_u32 v102, v1, v102, 4
	s_mov_b64 s[10:11], 0
	v_mov_b32_e32 v103, v0
.LBB111_547:                            ; =>This Inner Loop Header: Depth=1
	buffer_load_dword v104, v102, s[0:3], 0 offen
	ds_read_b32 v105, v101
	v_add_u32_e32 v103, 1, v103
	v_cmp_lt_u32_e32 vcc, 7, v103
	v_add_u32_e32 v101, 4, v101
	v_add_u32_e32 v102, 4, v102
	s_or_b64 s[10:11], vcc, s[10:11]
	s_waitcnt vmcnt(0) lgkmcnt(0)
	v_fmac_f32_e32 v100, v104, v105
	s_andn2_b64 exec, exec, s[10:11]
	s_cbranch_execnz .LBB111_547
; %bb.548:
	s_or_b64 exec, exec, s[10:11]
.LBB111_549:
	s_or_b64 exec, exec, s[8:9]
	v_mov_b32_e32 v101, 0
	ds_read_b32 v101, v101 offset:36
	s_waitcnt lgkmcnt(0)
	v_mul_f32_e32 v100, v100, v101
	buffer_store_dword v100, off, s[0:3], 0 offset:36
.LBB111_550:
	s_or_b64 exec, exec, s[6:7]
	buffer_load_dword v100, off, s[0:3], 0 offset:40
	v_cmp_gt_u32_e32 vcc, 10, v0
	s_waitcnt vmcnt(0)
	ds_write_b32 v98, v100
	s_waitcnt lgkmcnt(0)
	; wave barrier
	s_waitcnt lgkmcnt(0)
	s_and_saveexec_b64 s[6:7], vcc
	s_cbranch_execz .LBB111_560
; %bb.551:
	s_and_b64 vcc, exec, s[4:5]
	s_cbranch_vccnz .LBB111_553
; %bb.552:
	buffer_load_dword v100, v99, s[0:3], 0 offen
	ds_read_b32 v101, v98
	s_waitcnt vmcnt(0) lgkmcnt(0)
	v_mul_f32_e32 v100, v100, v101
	s_cbranch_execz .LBB111_554
	s_branch .LBB111_555
.LBB111_553:
                                        ; implicit-def: $vgpr100
.LBB111_554:
	ds_read_b32 v100, v98
.LBB111_555:
	v_cmp_ne_u32_e32 vcc, 9, v0
	s_and_saveexec_b64 s[8:9], vcc
	s_cbranch_execz .LBB111_559
; %bb.556:
	v_mov_b32_e32 v102, 0
	v_add_u32_e32 v101, 0xc4, v1
	v_add3_u32 v102, v1, v102, 4
	s_mov_b64 s[10:11], 0
	v_mov_b32_e32 v103, v0
.LBB111_557:                            ; =>This Inner Loop Header: Depth=1
	buffer_load_dword v104, v102, s[0:3], 0 offen
	ds_read_b32 v105, v101
	v_add_u32_e32 v103, 1, v103
	v_cmp_lt_u32_e32 vcc, 8, v103
	v_add_u32_e32 v101, 4, v101
	v_add_u32_e32 v102, 4, v102
	s_or_b64 s[10:11], vcc, s[10:11]
	s_waitcnt vmcnt(0) lgkmcnt(0)
	v_fmac_f32_e32 v100, v104, v105
	s_andn2_b64 exec, exec, s[10:11]
	s_cbranch_execnz .LBB111_557
; %bb.558:
	s_or_b64 exec, exec, s[10:11]
.LBB111_559:
	s_or_b64 exec, exec, s[8:9]
	v_mov_b32_e32 v101, 0
	ds_read_b32 v101, v101 offset:40
	s_waitcnt lgkmcnt(0)
	v_mul_f32_e32 v100, v100, v101
	buffer_store_dword v100, off, s[0:3], 0 offset:40
.LBB111_560:
	s_or_b64 exec, exec, s[6:7]
	buffer_load_dword v100, off, s[0:3], 0 offset:44
	v_cmp_gt_u32_e32 vcc, 11, v0
	s_waitcnt vmcnt(0)
	ds_write_b32 v98, v100
	s_waitcnt lgkmcnt(0)
	; wave barrier
	s_waitcnt lgkmcnt(0)
	s_and_saveexec_b64 s[6:7], vcc
	s_cbranch_execz .LBB111_570
; %bb.561:
	s_and_b64 vcc, exec, s[4:5]
	s_cbranch_vccnz .LBB111_563
; %bb.562:
	buffer_load_dword v100, v99, s[0:3], 0 offen
	ds_read_b32 v101, v98
	s_waitcnt vmcnt(0) lgkmcnt(0)
	v_mul_f32_e32 v100, v100, v101
	s_cbranch_execz .LBB111_564
	s_branch .LBB111_565
.LBB111_563:
                                        ; implicit-def: $vgpr100
.LBB111_564:
	ds_read_b32 v100, v98
.LBB111_565:
	v_cmp_ne_u32_e32 vcc, 10, v0
	s_and_saveexec_b64 s[8:9], vcc
	s_cbranch_execz .LBB111_569
; %bb.566:
	v_mov_b32_e32 v102, 0
	v_add_u32_e32 v101, 0xc4, v1
	v_add3_u32 v102, v1, v102, 4
	s_mov_b64 s[10:11], 0
	v_mov_b32_e32 v103, v0
.LBB111_567:                            ; =>This Inner Loop Header: Depth=1
	buffer_load_dword v104, v102, s[0:3], 0 offen
	ds_read_b32 v105, v101
	v_add_u32_e32 v103, 1, v103
	v_cmp_lt_u32_e32 vcc, 9, v103
	v_add_u32_e32 v101, 4, v101
	v_add_u32_e32 v102, 4, v102
	s_or_b64 s[10:11], vcc, s[10:11]
	s_waitcnt vmcnt(0) lgkmcnt(0)
	v_fmac_f32_e32 v100, v104, v105
	s_andn2_b64 exec, exec, s[10:11]
	s_cbranch_execnz .LBB111_567
; %bb.568:
	s_or_b64 exec, exec, s[10:11]
.LBB111_569:
	s_or_b64 exec, exec, s[8:9]
	v_mov_b32_e32 v101, 0
	ds_read_b32 v101, v101 offset:44
	s_waitcnt lgkmcnt(0)
	v_mul_f32_e32 v100, v100, v101
	buffer_store_dword v100, off, s[0:3], 0 offset:44
.LBB111_570:
	s_or_b64 exec, exec, s[6:7]
	buffer_load_dword v100, off, s[0:3], 0 offset:48
	v_cmp_gt_u32_e32 vcc, 12, v0
	s_waitcnt vmcnt(0)
	ds_write_b32 v98, v100
	s_waitcnt lgkmcnt(0)
	; wave barrier
	s_waitcnt lgkmcnt(0)
	s_and_saveexec_b64 s[6:7], vcc
	s_cbranch_execz .LBB111_580
; %bb.571:
	s_and_b64 vcc, exec, s[4:5]
	s_cbranch_vccnz .LBB111_573
; %bb.572:
	buffer_load_dword v100, v99, s[0:3], 0 offen
	ds_read_b32 v101, v98
	s_waitcnt vmcnt(0) lgkmcnt(0)
	v_mul_f32_e32 v100, v100, v101
	s_cbranch_execz .LBB111_574
	s_branch .LBB111_575
.LBB111_573:
                                        ; implicit-def: $vgpr100
.LBB111_574:
	ds_read_b32 v100, v98
.LBB111_575:
	v_cmp_ne_u32_e32 vcc, 11, v0
	s_and_saveexec_b64 s[8:9], vcc
	s_cbranch_execz .LBB111_579
; %bb.576:
	v_mov_b32_e32 v102, 0
	v_add_u32_e32 v101, 0xc4, v1
	v_add3_u32 v102, v1, v102, 4
	s_mov_b64 s[10:11], 0
	v_mov_b32_e32 v103, v0
.LBB111_577:                            ; =>This Inner Loop Header: Depth=1
	buffer_load_dword v104, v102, s[0:3], 0 offen
	ds_read_b32 v105, v101
	v_add_u32_e32 v103, 1, v103
	v_cmp_lt_u32_e32 vcc, 10, v103
	v_add_u32_e32 v101, 4, v101
	v_add_u32_e32 v102, 4, v102
	s_or_b64 s[10:11], vcc, s[10:11]
	s_waitcnt vmcnt(0) lgkmcnt(0)
	v_fmac_f32_e32 v100, v104, v105
	s_andn2_b64 exec, exec, s[10:11]
	s_cbranch_execnz .LBB111_577
; %bb.578:
	s_or_b64 exec, exec, s[10:11]
.LBB111_579:
	s_or_b64 exec, exec, s[8:9]
	v_mov_b32_e32 v101, 0
	ds_read_b32 v101, v101 offset:48
	s_waitcnt lgkmcnt(0)
	v_mul_f32_e32 v100, v100, v101
	buffer_store_dword v100, off, s[0:3], 0 offset:48
.LBB111_580:
	s_or_b64 exec, exec, s[6:7]
	buffer_load_dword v100, off, s[0:3], 0 offset:52
	v_cmp_gt_u32_e32 vcc, 13, v0
	s_waitcnt vmcnt(0)
	ds_write_b32 v98, v100
	s_waitcnt lgkmcnt(0)
	; wave barrier
	s_waitcnt lgkmcnt(0)
	s_and_saveexec_b64 s[6:7], vcc
	s_cbranch_execz .LBB111_590
; %bb.581:
	s_and_b64 vcc, exec, s[4:5]
	s_cbranch_vccnz .LBB111_583
; %bb.582:
	buffer_load_dword v100, v99, s[0:3], 0 offen
	ds_read_b32 v101, v98
	s_waitcnt vmcnt(0) lgkmcnt(0)
	v_mul_f32_e32 v100, v100, v101
	s_cbranch_execz .LBB111_584
	s_branch .LBB111_585
.LBB111_583:
                                        ; implicit-def: $vgpr100
.LBB111_584:
	ds_read_b32 v100, v98
.LBB111_585:
	v_cmp_ne_u32_e32 vcc, 12, v0
	s_and_saveexec_b64 s[8:9], vcc
	s_cbranch_execz .LBB111_589
; %bb.586:
	v_mov_b32_e32 v102, 0
	v_add_u32_e32 v101, 0xc4, v1
	v_add3_u32 v102, v1, v102, 4
	s_mov_b64 s[10:11], 0
	v_mov_b32_e32 v103, v0
.LBB111_587:                            ; =>This Inner Loop Header: Depth=1
	buffer_load_dword v104, v102, s[0:3], 0 offen
	ds_read_b32 v105, v101
	v_add_u32_e32 v103, 1, v103
	v_cmp_lt_u32_e32 vcc, 11, v103
	v_add_u32_e32 v101, 4, v101
	v_add_u32_e32 v102, 4, v102
	s_or_b64 s[10:11], vcc, s[10:11]
	s_waitcnt vmcnt(0) lgkmcnt(0)
	v_fmac_f32_e32 v100, v104, v105
	s_andn2_b64 exec, exec, s[10:11]
	s_cbranch_execnz .LBB111_587
; %bb.588:
	s_or_b64 exec, exec, s[10:11]
.LBB111_589:
	s_or_b64 exec, exec, s[8:9]
	v_mov_b32_e32 v101, 0
	ds_read_b32 v101, v101 offset:52
	s_waitcnt lgkmcnt(0)
	v_mul_f32_e32 v100, v100, v101
	buffer_store_dword v100, off, s[0:3], 0 offset:52
.LBB111_590:
	s_or_b64 exec, exec, s[6:7]
	buffer_load_dword v100, off, s[0:3], 0 offset:56
	v_cmp_gt_u32_e32 vcc, 14, v0
	s_waitcnt vmcnt(0)
	ds_write_b32 v98, v100
	s_waitcnt lgkmcnt(0)
	; wave barrier
	s_waitcnt lgkmcnt(0)
	s_and_saveexec_b64 s[6:7], vcc
	s_cbranch_execz .LBB111_600
; %bb.591:
	s_and_b64 vcc, exec, s[4:5]
	s_cbranch_vccnz .LBB111_593
; %bb.592:
	buffer_load_dword v100, v99, s[0:3], 0 offen
	ds_read_b32 v101, v98
	s_waitcnt vmcnt(0) lgkmcnt(0)
	v_mul_f32_e32 v100, v100, v101
	s_cbranch_execz .LBB111_594
	s_branch .LBB111_595
.LBB111_593:
                                        ; implicit-def: $vgpr100
.LBB111_594:
	ds_read_b32 v100, v98
.LBB111_595:
	v_cmp_ne_u32_e32 vcc, 13, v0
	s_and_saveexec_b64 s[8:9], vcc
	s_cbranch_execz .LBB111_599
; %bb.596:
	v_mov_b32_e32 v102, 0
	v_add_u32_e32 v101, 0xc4, v1
	v_add3_u32 v102, v1, v102, 4
	s_mov_b64 s[10:11], 0
	v_mov_b32_e32 v103, v0
.LBB111_597:                            ; =>This Inner Loop Header: Depth=1
	buffer_load_dword v104, v102, s[0:3], 0 offen
	ds_read_b32 v105, v101
	v_add_u32_e32 v103, 1, v103
	v_cmp_lt_u32_e32 vcc, 12, v103
	v_add_u32_e32 v101, 4, v101
	v_add_u32_e32 v102, 4, v102
	s_or_b64 s[10:11], vcc, s[10:11]
	s_waitcnt vmcnt(0) lgkmcnt(0)
	v_fmac_f32_e32 v100, v104, v105
	s_andn2_b64 exec, exec, s[10:11]
	s_cbranch_execnz .LBB111_597
; %bb.598:
	s_or_b64 exec, exec, s[10:11]
.LBB111_599:
	s_or_b64 exec, exec, s[8:9]
	v_mov_b32_e32 v101, 0
	ds_read_b32 v101, v101 offset:56
	s_waitcnt lgkmcnt(0)
	v_mul_f32_e32 v100, v100, v101
	buffer_store_dword v100, off, s[0:3], 0 offset:56
.LBB111_600:
	s_or_b64 exec, exec, s[6:7]
	buffer_load_dword v100, off, s[0:3], 0 offset:60
	v_cmp_gt_u32_e32 vcc, 15, v0
	s_waitcnt vmcnt(0)
	ds_write_b32 v98, v100
	s_waitcnt lgkmcnt(0)
	; wave barrier
	s_waitcnt lgkmcnt(0)
	s_and_saveexec_b64 s[6:7], vcc
	s_cbranch_execz .LBB111_610
; %bb.601:
	s_and_b64 vcc, exec, s[4:5]
	s_cbranch_vccnz .LBB111_603
; %bb.602:
	buffer_load_dword v100, v99, s[0:3], 0 offen
	ds_read_b32 v101, v98
	s_waitcnt vmcnt(0) lgkmcnt(0)
	v_mul_f32_e32 v100, v100, v101
	s_cbranch_execz .LBB111_604
	s_branch .LBB111_605
.LBB111_603:
                                        ; implicit-def: $vgpr100
.LBB111_604:
	ds_read_b32 v100, v98
.LBB111_605:
	v_cmp_ne_u32_e32 vcc, 14, v0
	s_and_saveexec_b64 s[8:9], vcc
	s_cbranch_execz .LBB111_609
; %bb.606:
	v_mov_b32_e32 v102, 0
	v_add_u32_e32 v101, 0xc4, v1
	v_add3_u32 v102, v1, v102, 4
	s_mov_b64 s[10:11], 0
	v_mov_b32_e32 v103, v0
.LBB111_607:                            ; =>This Inner Loop Header: Depth=1
	buffer_load_dword v104, v102, s[0:3], 0 offen
	ds_read_b32 v105, v101
	v_add_u32_e32 v103, 1, v103
	v_cmp_lt_u32_e32 vcc, 13, v103
	v_add_u32_e32 v101, 4, v101
	v_add_u32_e32 v102, 4, v102
	s_or_b64 s[10:11], vcc, s[10:11]
	s_waitcnt vmcnt(0) lgkmcnt(0)
	v_fmac_f32_e32 v100, v104, v105
	s_andn2_b64 exec, exec, s[10:11]
	s_cbranch_execnz .LBB111_607
; %bb.608:
	s_or_b64 exec, exec, s[10:11]
.LBB111_609:
	s_or_b64 exec, exec, s[8:9]
	v_mov_b32_e32 v101, 0
	ds_read_b32 v101, v101 offset:60
	s_waitcnt lgkmcnt(0)
	v_mul_f32_e32 v100, v100, v101
	buffer_store_dword v100, off, s[0:3], 0 offset:60
.LBB111_610:
	s_or_b64 exec, exec, s[6:7]
	buffer_load_dword v100, off, s[0:3], 0 offset:64
	v_cmp_gt_u32_e32 vcc, 16, v0
	s_waitcnt vmcnt(0)
	ds_write_b32 v98, v100
	s_waitcnt lgkmcnt(0)
	; wave barrier
	s_waitcnt lgkmcnt(0)
	s_and_saveexec_b64 s[6:7], vcc
	s_cbranch_execz .LBB111_620
; %bb.611:
	s_and_b64 vcc, exec, s[4:5]
	s_cbranch_vccnz .LBB111_613
; %bb.612:
	buffer_load_dword v100, v99, s[0:3], 0 offen
	ds_read_b32 v101, v98
	s_waitcnt vmcnt(0) lgkmcnt(0)
	v_mul_f32_e32 v100, v100, v101
	s_cbranch_execz .LBB111_614
	s_branch .LBB111_615
.LBB111_613:
                                        ; implicit-def: $vgpr100
.LBB111_614:
	ds_read_b32 v100, v98
.LBB111_615:
	v_cmp_ne_u32_e32 vcc, 15, v0
	s_and_saveexec_b64 s[8:9], vcc
	s_cbranch_execz .LBB111_619
; %bb.616:
	v_mov_b32_e32 v102, 0
	v_add_u32_e32 v101, 0xc4, v1
	v_add3_u32 v102, v1, v102, 4
	s_mov_b64 s[10:11], 0
	v_mov_b32_e32 v103, v0
.LBB111_617:                            ; =>This Inner Loop Header: Depth=1
	buffer_load_dword v104, v102, s[0:3], 0 offen
	ds_read_b32 v105, v101
	v_add_u32_e32 v103, 1, v103
	v_cmp_lt_u32_e32 vcc, 14, v103
	v_add_u32_e32 v101, 4, v101
	v_add_u32_e32 v102, 4, v102
	s_or_b64 s[10:11], vcc, s[10:11]
	s_waitcnt vmcnt(0) lgkmcnt(0)
	v_fmac_f32_e32 v100, v104, v105
	s_andn2_b64 exec, exec, s[10:11]
	s_cbranch_execnz .LBB111_617
; %bb.618:
	s_or_b64 exec, exec, s[10:11]
.LBB111_619:
	s_or_b64 exec, exec, s[8:9]
	v_mov_b32_e32 v101, 0
	ds_read_b32 v101, v101 offset:64
	s_waitcnt lgkmcnt(0)
	v_mul_f32_e32 v100, v100, v101
	buffer_store_dword v100, off, s[0:3], 0 offset:64
.LBB111_620:
	s_or_b64 exec, exec, s[6:7]
	buffer_load_dword v100, off, s[0:3], 0 offset:68
	v_cmp_gt_u32_e32 vcc, 17, v0
	s_waitcnt vmcnt(0)
	ds_write_b32 v98, v100
	s_waitcnt lgkmcnt(0)
	; wave barrier
	s_waitcnt lgkmcnt(0)
	s_and_saveexec_b64 s[6:7], vcc
	s_cbranch_execz .LBB111_630
; %bb.621:
	s_and_b64 vcc, exec, s[4:5]
	s_cbranch_vccnz .LBB111_623
; %bb.622:
	buffer_load_dword v100, v99, s[0:3], 0 offen
	ds_read_b32 v101, v98
	s_waitcnt vmcnt(0) lgkmcnt(0)
	v_mul_f32_e32 v100, v100, v101
	s_cbranch_execz .LBB111_624
	s_branch .LBB111_625
.LBB111_623:
                                        ; implicit-def: $vgpr100
.LBB111_624:
	ds_read_b32 v100, v98
.LBB111_625:
	v_cmp_ne_u32_e32 vcc, 16, v0
	s_and_saveexec_b64 s[8:9], vcc
	s_cbranch_execz .LBB111_629
; %bb.626:
	v_mov_b32_e32 v102, 0
	v_add_u32_e32 v101, 0xc4, v1
	v_add3_u32 v102, v1, v102, 4
	s_mov_b64 s[10:11], 0
	v_mov_b32_e32 v103, v0
.LBB111_627:                            ; =>This Inner Loop Header: Depth=1
	buffer_load_dword v104, v102, s[0:3], 0 offen
	ds_read_b32 v105, v101
	v_add_u32_e32 v103, 1, v103
	v_cmp_lt_u32_e32 vcc, 15, v103
	v_add_u32_e32 v101, 4, v101
	v_add_u32_e32 v102, 4, v102
	s_or_b64 s[10:11], vcc, s[10:11]
	s_waitcnt vmcnt(0) lgkmcnt(0)
	v_fmac_f32_e32 v100, v104, v105
	s_andn2_b64 exec, exec, s[10:11]
	s_cbranch_execnz .LBB111_627
; %bb.628:
	s_or_b64 exec, exec, s[10:11]
.LBB111_629:
	s_or_b64 exec, exec, s[8:9]
	v_mov_b32_e32 v101, 0
	ds_read_b32 v101, v101 offset:68
	s_waitcnt lgkmcnt(0)
	v_mul_f32_e32 v100, v100, v101
	buffer_store_dword v100, off, s[0:3], 0 offset:68
.LBB111_630:
	s_or_b64 exec, exec, s[6:7]
	buffer_load_dword v100, off, s[0:3], 0 offset:72
	v_cmp_gt_u32_e32 vcc, 18, v0
	s_waitcnt vmcnt(0)
	ds_write_b32 v98, v100
	s_waitcnt lgkmcnt(0)
	; wave barrier
	s_waitcnt lgkmcnt(0)
	s_and_saveexec_b64 s[6:7], vcc
	s_cbranch_execz .LBB111_640
; %bb.631:
	s_and_b64 vcc, exec, s[4:5]
	s_cbranch_vccnz .LBB111_633
; %bb.632:
	buffer_load_dword v100, v99, s[0:3], 0 offen
	ds_read_b32 v101, v98
	s_waitcnt vmcnt(0) lgkmcnt(0)
	v_mul_f32_e32 v100, v100, v101
	s_cbranch_execz .LBB111_634
	s_branch .LBB111_635
.LBB111_633:
                                        ; implicit-def: $vgpr100
.LBB111_634:
	ds_read_b32 v100, v98
.LBB111_635:
	v_cmp_ne_u32_e32 vcc, 17, v0
	s_and_saveexec_b64 s[8:9], vcc
	s_cbranch_execz .LBB111_639
; %bb.636:
	v_mov_b32_e32 v102, 0
	v_add_u32_e32 v101, 0xc4, v1
	v_add3_u32 v102, v1, v102, 4
	s_mov_b64 s[10:11], 0
	v_mov_b32_e32 v103, v0
.LBB111_637:                            ; =>This Inner Loop Header: Depth=1
	buffer_load_dword v104, v102, s[0:3], 0 offen
	ds_read_b32 v105, v101
	v_add_u32_e32 v103, 1, v103
	v_cmp_lt_u32_e32 vcc, 16, v103
	v_add_u32_e32 v101, 4, v101
	v_add_u32_e32 v102, 4, v102
	s_or_b64 s[10:11], vcc, s[10:11]
	s_waitcnt vmcnt(0) lgkmcnt(0)
	v_fmac_f32_e32 v100, v104, v105
	s_andn2_b64 exec, exec, s[10:11]
	s_cbranch_execnz .LBB111_637
; %bb.638:
	s_or_b64 exec, exec, s[10:11]
.LBB111_639:
	s_or_b64 exec, exec, s[8:9]
	v_mov_b32_e32 v101, 0
	ds_read_b32 v101, v101 offset:72
	s_waitcnt lgkmcnt(0)
	v_mul_f32_e32 v100, v100, v101
	buffer_store_dword v100, off, s[0:3], 0 offset:72
.LBB111_640:
	s_or_b64 exec, exec, s[6:7]
	buffer_load_dword v100, off, s[0:3], 0 offset:76
	v_cmp_gt_u32_e32 vcc, 19, v0
	s_waitcnt vmcnt(0)
	ds_write_b32 v98, v100
	s_waitcnt lgkmcnt(0)
	; wave barrier
	s_waitcnt lgkmcnt(0)
	s_and_saveexec_b64 s[6:7], vcc
	s_cbranch_execz .LBB111_650
; %bb.641:
	s_and_b64 vcc, exec, s[4:5]
	s_cbranch_vccnz .LBB111_643
; %bb.642:
	buffer_load_dword v100, v99, s[0:3], 0 offen
	ds_read_b32 v101, v98
	s_waitcnt vmcnt(0) lgkmcnt(0)
	v_mul_f32_e32 v100, v100, v101
	s_cbranch_execz .LBB111_644
	s_branch .LBB111_645
.LBB111_643:
                                        ; implicit-def: $vgpr100
.LBB111_644:
	ds_read_b32 v100, v98
.LBB111_645:
	v_cmp_ne_u32_e32 vcc, 18, v0
	s_and_saveexec_b64 s[8:9], vcc
	s_cbranch_execz .LBB111_649
; %bb.646:
	v_mov_b32_e32 v102, 0
	v_add_u32_e32 v101, 0xc4, v1
	v_add3_u32 v102, v1, v102, 4
	s_mov_b64 s[10:11], 0
	v_mov_b32_e32 v103, v0
.LBB111_647:                            ; =>This Inner Loop Header: Depth=1
	buffer_load_dword v104, v102, s[0:3], 0 offen
	ds_read_b32 v105, v101
	v_add_u32_e32 v103, 1, v103
	v_cmp_lt_u32_e32 vcc, 17, v103
	v_add_u32_e32 v101, 4, v101
	v_add_u32_e32 v102, 4, v102
	s_or_b64 s[10:11], vcc, s[10:11]
	s_waitcnt vmcnt(0) lgkmcnt(0)
	v_fmac_f32_e32 v100, v104, v105
	s_andn2_b64 exec, exec, s[10:11]
	s_cbranch_execnz .LBB111_647
; %bb.648:
	s_or_b64 exec, exec, s[10:11]
.LBB111_649:
	s_or_b64 exec, exec, s[8:9]
	v_mov_b32_e32 v101, 0
	ds_read_b32 v101, v101 offset:76
	s_waitcnt lgkmcnt(0)
	v_mul_f32_e32 v100, v100, v101
	buffer_store_dword v100, off, s[0:3], 0 offset:76
.LBB111_650:
	s_or_b64 exec, exec, s[6:7]
	buffer_load_dword v100, off, s[0:3], 0 offset:80
	v_cmp_gt_u32_e32 vcc, 20, v0
	s_waitcnt vmcnt(0)
	ds_write_b32 v98, v100
	s_waitcnt lgkmcnt(0)
	; wave barrier
	s_waitcnt lgkmcnt(0)
	s_and_saveexec_b64 s[6:7], vcc
	s_cbranch_execz .LBB111_660
; %bb.651:
	s_and_b64 vcc, exec, s[4:5]
	s_cbranch_vccnz .LBB111_653
; %bb.652:
	buffer_load_dword v100, v99, s[0:3], 0 offen
	ds_read_b32 v101, v98
	s_waitcnt vmcnt(0) lgkmcnt(0)
	v_mul_f32_e32 v100, v100, v101
	s_cbranch_execz .LBB111_654
	s_branch .LBB111_655
.LBB111_653:
                                        ; implicit-def: $vgpr100
.LBB111_654:
	ds_read_b32 v100, v98
.LBB111_655:
	v_cmp_ne_u32_e32 vcc, 19, v0
	s_and_saveexec_b64 s[8:9], vcc
	s_cbranch_execz .LBB111_659
; %bb.656:
	v_mov_b32_e32 v102, 0
	v_add_u32_e32 v101, 0xc4, v1
	v_add3_u32 v102, v1, v102, 4
	s_mov_b64 s[10:11], 0
	v_mov_b32_e32 v103, v0
.LBB111_657:                            ; =>This Inner Loop Header: Depth=1
	buffer_load_dword v104, v102, s[0:3], 0 offen
	ds_read_b32 v105, v101
	v_add_u32_e32 v103, 1, v103
	v_cmp_lt_u32_e32 vcc, 18, v103
	v_add_u32_e32 v101, 4, v101
	v_add_u32_e32 v102, 4, v102
	s_or_b64 s[10:11], vcc, s[10:11]
	s_waitcnt vmcnt(0) lgkmcnt(0)
	v_fmac_f32_e32 v100, v104, v105
	s_andn2_b64 exec, exec, s[10:11]
	s_cbranch_execnz .LBB111_657
; %bb.658:
	s_or_b64 exec, exec, s[10:11]
.LBB111_659:
	s_or_b64 exec, exec, s[8:9]
	v_mov_b32_e32 v101, 0
	ds_read_b32 v101, v101 offset:80
	s_waitcnt lgkmcnt(0)
	v_mul_f32_e32 v100, v100, v101
	buffer_store_dword v100, off, s[0:3], 0 offset:80
.LBB111_660:
	s_or_b64 exec, exec, s[6:7]
	buffer_load_dword v100, off, s[0:3], 0 offset:84
	v_cmp_gt_u32_e32 vcc, 21, v0
	s_waitcnt vmcnt(0)
	ds_write_b32 v98, v100
	s_waitcnt lgkmcnt(0)
	; wave barrier
	s_waitcnt lgkmcnt(0)
	s_and_saveexec_b64 s[6:7], vcc
	s_cbranch_execz .LBB111_670
; %bb.661:
	s_and_b64 vcc, exec, s[4:5]
	s_cbranch_vccnz .LBB111_663
; %bb.662:
	buffer_load_dword v100, v99, s[0:3], 0 offen
	ds_read_b32 v101, v98
	s_waitcnt vmcnt(0) lgkmcnt(0)
	v_mul_f32_e32 v100, v100, v101
	s_cbranch_execz .LBB111_664
	s_branch .LBB111_665
.LBB111_663:
                                        ; implicit-def: $vgpr100
.LBB111_664:
	ds_read_b32 v100, v98
.LBB111_665:
	v_cmp_ne_u32_e32 vcc, 20, v0
	s_and_saveexec_b64 s[8:9], vcc
	s_cbranch_execz .LBB111_669
; %bb.666:
	v_mov_b32_e32 v102, 0
	v_add_u32_e32 v101, 0xc4, v1
	v_add3_u32 v102, v1, v102, 4
	s_mov_b64 s[10:11], 0
	v_mov_b32_e32 v103, v0
.LBB111_667:                            ; =>This Inner Loop Header: Depth=1
	buffer_load_dword v104, v102, s[0:3], 0 offen
	ds_read_b32 v105, v101
	v_add_u32_e32 v103, 1, v103
	v_cmp_lt_u32_e32 vcc, 19, v103
	v_add_u32_e32 v101, 4, v101
	v_add_u32_e32 v102, 4, v102
	s_or_b64 s[10:11], vcc, s[10:11]
	s_waitcnt vmcnt(0) lgkmcnt(0)
	v_fmac_f32_e32 v100, v104, v105
	s_andn2_b64 exec, exec, s[10:11]
	s_cbranch_execnz .LBB111_667
; %bb.668:
	s_or_b64 exec, exec, s[10:11]
.LBB111_669:
	s_or_b64 exec, exec, s[8:9]
	v_mov_b32_e32 v101, 0
	ds_read_b32 v101, v101 offset:84
	s_waitcnt lgkmcnt(0)
	v_mul_f32_e32 v100, v100, v101
	buffer_store_dword v100, off, s[0:3], 0 offset:84
.LBB111_670:
	s_or_b64 exec, exec, s[6:7]
	buffer_load_dword v100, off, s[0:3], 0 offset:88
	v_cmp_gt_u32_e32 vcc, 22, v0
	s_waitcnt vmcnt(0)
	ds_write_b32 v98, v100
	s_waitcnt lgkmcnt(0)
	; wave barrier
	s_waitcnt lgkmcnt(0)
	s_and_saveexec_b64 s[6:7], vcc
	s_cbranch_execz .LBB111_680
; %bb.671:
	s_and_b64 vcc, exec, s[4:5]
	s_cbranch_vccnz .LBB111_673
; %bb.672:
	buffer_load_dword v100, v99, s[0:3], 0 offen
	ds_read_b32 v101, v98
	s_waitcnt vmcnt(0) lgkmcnt(0)
	v_mul_f32_e32 v100, v100, v101
	s_cbranch_execz .LBB111_674
	s_branch .LBB111_675
.LBB111_673:
                                        ; implicit-def: $vgpr100
.LBB111_674:
	ds_read_b32 v100, v98
.LBB111_675:
	v_cmp_ne_u32_e32 vcc, 21, v0
	s_and_saveexec_b64 s[8:9], vcc
	s_cbranch_execz .LBB111_679
; %bb.676:
	v_mov_b32_e32 v102, 0
	v_add_u32_e32 v101, 0xc4, v1
	v_add3_u32 v102, v1, v102, 4
	s_mov_b64 s[10:11], 0
	v_mov_b32_e32 v103, v0
.LBB111_677:                            ; =>This Inner Loop Header: Depth=1
	buffer_load_dword v104, v102, s[0:3], 0 offen
	ds_read_b32 v105, v101
	v_add_u32_e32 v103, 1, v103
	v_cmp_lt_u32_e32 vcc, 20, v103
	v_add_u32_e32 v101, 4, v101
	v_add_u32_e32 v102, 4, v102
	s_or_b64 s[10:11], vcc, s[10:11]
	s_waitcnt vmcnt(0) lgkmcnt(0)
	v_fmac_f32_e32 v100, v104, v105
	s_andn2_b64 exec, exec, s[10:11]
	s_cbranch_execnz .LBB111_677
; %bb.678:
	s_or_b64 exec, exec, s[10:11]
.LBB111_679:
	s_or_b64 exec, exec, s[8:9]
	v_mov_b32_e32 v101, 0
	ds_read_b32 v101, v101 offset:88
	s_waitcnt lgkmcnt(0)
	v_mul_f32_e32 v100, v100, v101
	buffer_store_dword v100, off, s[0:3], 0 offset:88
.LBB111_680:
	s_or_b64 exec, exec, s[6:7]
	buffer_load_dword v100, off, s[0:3], 0 offset:92
	v_cmp_gt_u32_e32 vcc, 23, v0
	s_waitcnt vmcnt(0)
	ds_write_b32 v98, v100
	s_waitcnt lgkmcnt(0)
	; wave barrier
	s_waitcnt lgkmcnt(0)
	s_and_saveexec_b64 s[6:7], vcc
	s_cbranch_execz .LBB111_690
; %bb.681:
	s_and_b64 vcc, exec, s[4:5]
	s_cbranch_vccnz .LBB111_683
; %bb.682:
	buffer_load_dword v100, v99, s[0:3], 0 offen
	ds_read_b32 v101, v98
	s_waitcnt vmcnt(0) lgkmcnt(0)
	v_mul_f32_e32 v100, v100, v101
	s_cbranch_execz .LBB111_684
	s_branch .LBB111_685
.LBB111_683:
                                        ; implicit-def: $vgpr100
.LBB111_684:
	ds_read_b32 v100, v98
.LBB111_685:
	v_cmp_ne_u32_e32 vcc, 22, v0
	s_and_saveexec_b64 s[8:9], vcc
	s_cbranch_execz .LBB111_689
; %bb.686:
	v_mov_b32_e32 v102, 0
	v_add_u32_e32 v101, 0xc4, v1
	v_add3_u32 v102, v1, v102, 4
	s_mov_b64 s[10:11], 0
	v_mov_b32_e32 v103, v0
.LBB111_687:                            ; =>This Inner Loop Header: Depth=1
	buffer_load_dword v104, v102, s[0:3], 0 offen
	ds_read_b32 v105, v101
	v_add_u32_e32 v103, 1, v103
	v_cmp_lt_u32_e32 vcc, 21, v103
	v_add_u32_e32 v101, 4, v101
	v_add_u32_e32 v102, 4, v102
	s_or_b64 s[10:11], vcc, s[10:11]
	s_waitcnt vmcnt(0) lgkmcnt(0)
	v_fmac_f32_e32 v100, v104, v105
	s_andn2_b64 exec, exec, s[10:11]
	s_cbranch_execnz .LBB111_687
; %bb.688:
	s_or_b64 exec, exec, s[10:11]
.LBB111_689:
	s_or_b64 exec, exec, s[8:9]
	v_mov_b32_e32 v101, 0
	ds_read_b32 v101, v101 offset:92
	s_waitcnt lgkmcnt(0)
	v_mul_f32_e32 v100, v100, v101
	buffer_store_dword v100, off, s[0:3], 0 offset:92
.LBB111_690:
	s_or_b64 exec, exec, s[6:7]
	buffer_load_dword v100, off, s[0:3], 0 offset:96
	v_cmp_gt_u32_e32 vcc, 24, v0
	s_waitcnt vmcnt(0)
	ds_write_b32 v98, v100
	s_waitcnt lgkmcnt(0)
	; wave barrier
	s_waitcnt lgkmcnt(0)
	s_and_saveexec_b64 s[6:7], vcc
	s_cbranch_execz .LBB111_700
; %bb.691:
	s_and_b64 vcc, exec, s[4:5]
	s_cbranch_vccnz .LBB111_693
; %bb.692:
	buffer_load_dword v100, v99, s[0:3], 0 offen
	ds_read_b32 v101, v98
	s_waitcnt vmcnt(0) lgkmcnt(0)
	v_mul_f32_e32 v100, v100, v101
	s_cbranch_execz .LBB111_694
	s_branch .LBB111_695
.LBB111_693:
                                        ; implicit-def: $vgpr100
.LBB111_694:
	ds_read_b32 v100, v98
.LBB111_695:
	v_cmp_ne_u32_e32 vcc, 23, v0
	s_and_saveexec_b64 s[8:9], vcc
	s_cbranch_execz .LBB111_699
; %bb.696:
	v_mov_b32_e32 v102, 0
	v_add_u32_e32 v101, 0xc4, v1
	v_add3_u32 v102, v1, v102, 4
	s_mov_b64 s[10:11], 0
	v_mov_b32_e32 v103, v0
.LBB111_697:                            ; =>This Inner Loop Header: Depth=1
	buffer_load_dword v104, v102, s[0:3], 0 offen
	ds_read_b32 v105, v101
	v_add_u32_e32 v103, 1, v103
	v_cmp_lt_u32_e32 vcc, 22, v103
	v_add_u32_e32 v101, 4, v101
	v_add_u32_e32 v102, 4, v102
	s_or_b64 s[10:11], vcc, s[10:11]
	s_waitcnt vmcnt(0) lgkmcnt(0)
	v_fmac_f32_e32 v100, v104, v105
	s_andn2_b64 exec, exec, s[10:11]
	s_cbranch_execnz .LBB111_697
; %bb.698:
	s_or_b64 exec, exec, s[10:11]
.LBB111_699:
	s_or_b64 exec, exec, s[8:9]
	v_mov_b32_e32 v101, 0
	ds_read_b32 v101, v101 offset:96
	s_waitcnt lgkmcnt(0)
	v_mul_f32_e32 v100, v100, v101
	buffer_store_dword v100, off, s[0:3], 0 offset:96
.LBB111_700:
	s_or_b64 exec, exec, s[6:7]
	buffer_load_dword v100, off, s[0:3], 0 offset:100
	v_cmp_gt_u32_e32 vcc, 25, v0
	s_waitcnt vmcnt(0)
	ds_write_b32 v98, v100
	s_waitcnt lgkmcnt(0)
	; wave barrier
	s_waitcnt lgkmcnt(0)
	s_and_saveexec_b64 s[6:7], vcc
	s_cbranch_execz .LBB111_710
; %bb.701:
	s_and_b64 vcc, exec, s[4:5]
	s_cbranch_vccnz .LBB111_703
; %bb.702:
	buffer_load_dword v100, v99, s[0:3], 0 offen
	ds_read_b32 v101, v98
	s_waitcnt vmcnt(0) lgkmcnt(0)
	v_mul_f32_e32 v100, v100, v101
	s_cbranch_execz .LBB111_704
	s_branch .LBB111_705
.LBB111_703:
                                        ; implicit-def: $vgpr100
.LBB111_704:
	ds_read_b32 v100, v98
.LBB111_705:
	v_cmp_ne_u32_e32 vcc, 24, v0
	s_and_saveexec_b64 s[8:9], vcc
	s_cbranch_execz .LBB111_709
; %bb.706:
	v_mov_b32_e32 v102, 0
	v_add_u32_e32 v101, 0xc4, v1
	v_add3_u32 v102, v1, v102, 4
	s_mov_b64 s[10:11], 0
	v_mov_b32_e32 v103, v0
.LBB111_707:                            ; =>This Inner Loop Header: Depth=1
	buffer_load_dword v104, v102, s[0:3], 0 offen
	ds_read_b32 v105, v101
	v_add_u32_e32 v103, 1, v103
	v_cmp_lt_u32_e32 vcc, 23, v103
	v_add_u32_e32 v101, 4, v101
	v_add_u32_e32 v102, 4, v102
	s_or_b64 s[10:11], vcc, s[10:11]
	s_waitcnt vmcnt(0) lgkmcnt(0)
	v_fmac_f32_e32 v100, v104, v105
	s_andn2_b64 exec, exec, s[10:11]
	s_cbranch_execnz .LBB111_707
; %bb.708:
	s_or_b64 exec, exec, s[10:11]
.LBB111_709:
	s_or_b64 exec, exec, s[8:9]
	v_mov_b32_e32 v101, 0
	ds_read_b32 v101, v101 offset:100
	s_waitcnt lgkmcnt(0)
	v_mul_f32_e32 v100, v100, v101
	buffer_store_dword v100, off, s[0:3], 0 offset:100
.LBB111_710:
	s_or_b64 exec, exec, s[6:7]
	buffer_load_dword v100, off, s[0:3], 0 offset:104
	v_cmp_gt_u32_e32 vcc, 26, v0
	s_waitcnt vmcnt(0)
	ds_write_b32 v98, v100
	s_waitcnt lgkmcnt(0)
	; wave barrier
	s_waitcnt lgkmcnt(0)
	s_and_saveexec_b64 s[6:7], vcc
	s_cbranch_execz .LBB111_720
; %bb.711:
	s_and_b64 vcc, exec, s[4:5]
	s_cbranch_vccnz .LBB111_713
; %bb.712:
	buffer_load_dword v100, v99, s[0:3], 0 offen
	ds_read_b32 v101, v98
	s_waitcnt vmcnt(0) lgkmcnt(0)
	v_mul_f32_e32 v100, v100, v101
	s_cbranch_execz .LBB111_714
	s_branch .LBB111_715
.LBB111_713:
                                        ; implicit-def: $vgpr100
.LBB111_714:
	ds_read_b32 v100, v98
.LBB111_715:
	v_cmp_ne_u32_e32 vcc, 25, v0
	s_and_saveexec_b64 s[8:9], vcc
	s_cbranch_execz .LBB111_719
; %bb.716:
	v_mov_b32_e32 v102, 0
	v_add_u32_e32 v101, 0xc4, v1
	v_add3_u32 v102, v1, v102, 4
	s_mov_b64 s[10:11], 0
	v_mov_b32_e32 v103, v0
.LBB111_717:                            ; =>This Inner Loop Header: Depth=1
	buffer_load_dword v104, v102, s[0:3], 0 offen
	ds_read_b32 v105, v101
	v_add_u32_e32 v103, 1, v103
	v_cmp_lt_u32_e32 vcc, 24, v103
	v_add_u32_e32 v101, 4, v101
	v_add_u32_e32 v102, 4, v102
	s_or_b64 s[10:11], vcc, s[10:11]
	s_waitcnt vmcnt(0) lgkmcnt(0)
	v_fmac_f32_e32 v100, v104, v105
	s_andn2_b64 exec, exec, s[10:11]
	s_cbranch_execnz .LBB111_717
; %bb.718:
	s_or_b64 exec, exec, s[10:11]
.LBB111_719:
	s_or_b64 exec, exec, s[8:9]
	v_mov_b32_e32 v101, 0
	ds_read_b32 v101, v101 offset:104
	s_waitcnt lgkmcnt(0)
	v_mul_f32_e32 v100, v100, v101
	buffer_store_dword v100, off, s[0:3], 0 offset:104
.LBB111_720:
	s_or_b64 exec, exec, s[6:7]
	buffer_load_dword v100, off, s[0:3], 0 offset:108
	v_cmp_gt_u32_e32 vcc, 27, v0
	s_waitcnt vmcnt(0)
	ds_write_b32 v98, v100
	s_waitcnt lgkmcnt(0)
	; wave barrier
	s_waitcnt lgkmcnt(0)
	s_and_saveexec_b64 s[6:7], vcc
	s_cbranch_execz .LBB111_730
; %bb.721:
	s_and_b64 vcc, exec, s[4:5]
	s_cbranch_vccnz .LBB111_723
; %bb.722:
	buffer_load_dword v100, v99, s[0:3], 0 offen
	ds_read_b32 v101, v98
	s_waitcnt vmcnt(0) lgkmcnt(0)
	v_mul_f32_e32 v100, v100, v101
	s_cbranch_execz .LBB111_724
	s_branch .LBB111_725
.LBB111_723:
                                        ; implicit-def: $vgpr100
.LBB111_724:
	ds_read_b32 v100, v98
.LBB111_725:
	v_cmp_ne_u32_e32 vcc, 26, v0
	s_and_saveexec_b64 s[8:9], vcc
	s_cbranch_execz .LBB111_729
; %bb.726:
	v_mov_b32_e32 v102, 0
	v_add_u32_e32 v101, 0xc4, v1
	v_add3_u32 v102, v1, v102, 4
	s_mov_b64 s[10:11], 0
	v_mov_b32_e32 v103, v0
.LBB111_727:                            ; =>This Inner Loop Header: Depth=1
	buffer_load_dword v104, v102, s[0:3], 0 offen
	ds_read_b32 v105, v101
	v_add_u32_e32 v103, 1, v103
	v_cmp_lt_u32_e32 vcc, 25, v103
	v_add_u32_e32 v101, 4, v101
	v_add_u32_e32 v102, 4, v102
	s_or_b64 s[10:11], vcc, s[10:11]
	s_waitcnt vmcnt(0) lgkmcnt(0)
	v_fmac_f32_e32 v100, v104, v105
	s_andn2_b64 exec, exec, s[10:11]
	s_cbranch_execnz .LBB111_727
; %bb.728:
	s_or_b64 exec, exec, s[10:11]
.LBB111_729:
	s_or_b64 exec, exec, s[8:9]
	v_mov_b32_e32 v101, 0
	ds_read_b32 v101, v101 offset:108
	s_waitcnt lgkmcnt(0)
	v_mul_f32_e32 v100, v100, v101
	buffer_store_dword v100, off, s[0:3], 0 offset:108
.LBB111_730:
	s_or_b64 exec, exec, s[6:7]
	buffer_load_dword v100, off, s[0:3], 0 offset:112
	v_cmp_gt_u32_e32 vcc, 28, v0
	s_waitcnt vmcnt(0)
	ds_write_b32 v98, v100
	s_waitcnt lgkmcnt(0)
	; wave barrier
	s_waitcnt lgkmcnt(0)
	s_and_saveexec_b64 s[6:7], vcc
	s_cbranch_execz .LBB111_740
; %bb.731:
	s_and_b64 vcc, exec, s[4:5]
	s_cbranch_vccnz .LBB111_733
; %bb.732:
	buffer_load_dword v100, v99, s[0:3], 0 offen
	ds_read_b32 v101, v98
	s_waitcnt vmcnt(0) lgkmcnt(0)
	v_mul_f32_e32 v100, v100, v101
	s_cbranch_execz .LBB111_734
	s_branch .LBB111_735
.LBB111_733:
                                        ; implicit-def: $vgpr100
.LBB111_734:
	ds_read_b32 v100, v98
.LBB111_735:
	v_cmp_ne_u32_e32 vcc, 27, v0
	s_and_saveexec_b64 s[8:9], vcc
	s_cbranch_execz .LBB111_739
; %bb.736:
	v_mov_b32_e32 v102, 0
	v_add_u32_e32 v101, 0xc4, v1
	v_add3_u32 v102, v1, v102, 4
	s_mov_b64 s[10:11], 0
	v_mov_b32_e32 v103, v0
.LBB111_737:                            ; =>This Inner Loop Header: Depth=1
	buffer_load_dword v104, v102, s[0:3], 0 offen
	ds_read_b32 v105, v101
	v_add_u32_e32 v103, 1, v103
	v_cmp_lt_u32_e32 vcc, 26, v103
	v_add_u32_e32 v101, 4, v101
	v_add_u32_e32 v102, 4, v102
	s_or_b64 s[10:11], vcc, s[10:11]
	s_waitcnt vmcnt(0) lgkmcnt(0)
	v_fmac_f32_e32 v100, v104, v105
	s_andn2_b64 exec, exec, s[10:11]
	s_cbranch_execnz .LBB111_737
; %bb.738:
	s_or_b64 exec, exec, s[10:11]
.LBB111_739:
	s_or_b64 exec, exec, s[8:9]
	v_mov_b32_e32 v101, 0
	ds_read_b32 v101, v101 offset:112
	s_waitcnt lgkmcnt(0)
	v_mul_f32_e32 v100, v100, v101
	buffer_store_dword v100, off, s[0:3], 0 offset:112
.LBB111_740:
	s_or_b64 exec, exec, s[6:7]
	buffer_load_dword v100, off, s[0:3], 0 offset:116
	v_cmp_gt_u32_e32 vcc, 29, v0
	s_waitcnt vmcnt(0)
	ds_write_b32 v98, v100
	s_waitcnt lgkmcnt(0)
	; wave barrier
	s_waitcnt lgkmcnt(0)
	s_and_saveexec_b64 s[6:7], vcc
	s_cbranch_execz .LBB111_750
; %bb.741:
	s_and_b64 vcc, exec, s[4:5]
	s_cbranch_vccnz .LBB111_743
; %bb.742:
	buffer_load_dword v100, v99, s[0:3], 0 offen
	ds_read_b32 v101, v98
	s_waitcnt vmcnt(0) lgkmcnt(0)
	v_mul_f32_e32 v100, v100, v101
	s_cbranch_execz .LBB111_744
	s_branch .LBB111_745
.LBB111_743:
                                        ; implicit-def: $vgpr100
.LBB111_744:
	ds_read_b32 v100, v98
.LBB111_745:
	v_cmp_ne_u32_e32 vcc, 28, v0
	s_and_saveexec_b64 s[8:9], vcc
	s_cbranch_execz .LBB111_749
; %bb.746:
	v_mov_b32_e32 v102, 0
	v_add_u32_e32 v101, 0xc4, v1
	v_add3_u32 v102, v1, v102, 4
	s_mov_b64 s[10:11], 0
	v_mov_b32_e32 v103, v0
.LBB111_747:                            ; =>This Inner Loop Header: Depth=1
	buffer_load_dword v104, v102, s[0:3], 0 offen
	ds_read_b32 v105, v101
	v_add_u32_e32 v103, 1, v103
	v_cmp_lt_u32_e32 vcc, 27, v103
	v_add_u32_e32 v101, 4, v101
	v_add_u32_e32 v102, 4, v102
	s_or_b64 s[10:11], vcc, s[10:11]
	s_waitcnt vmcnt(0) lgkmcnt(0)
	v_fmac_f32_e32 v100, v104, v105
	s_andn2_b64 exec, exec, s[10:11]
	s_cbranch_execnz .LBB111_747
; %bb.748:
	s_or_b64 exec, exec, s[10:11]
.LBB111_749:
	s_or_b64 exec, exec, s[8:9]
	v_mov_b32_e32 v101, 0
	ds_read_b32 v101, v101 offset:116
	s_waitcnt lgkmcnt(0)
	v_mul_f32_e32 v100, v100, v101
	buffer_store_dword v100, off, s[0:3], 0 offset:116
.LBB111_750:
	s_or_b64 exec, exec, s[6:7]
	buffer_load_dword v100, off, s[0:3], 0 offset:120
	v_cmp_gt_u32_e32 vcc, 30, v0
	s_waitcnt vmcnt(0)
	ds_write_b32 v98, v100
	s_waitcnt lgkmcnt(0)
	; wave barrier
	s_waitcnt lgkmcnt(0)
	s_and_saveexec_b64 s[6:7], vcc
	s_cbranch_execz .LBB111_760
; %bb.751:
	s_and_b64 vcc, exec, s[4:5]
	s_cbranch_vccnz .LBB111_753
; %bb.752:
	buffer_load_dword v100, v99, s[0:3], 0 offen
	ds_read_b32 v101, v98
	s_waitcnt vmcnt(0) lgkmcnt(0)
	v_mul_f32_e32 v100, v100, v101
	s_cbranch_execz .LBB111_754
	s_branch .LBB111_755
.LBB111_753:
                                        ; implicit-def: $vgpr100
.LBB111_754:
	ds_read_b32 v100, v98
.LBB111_755:
	v_cmp_ne_u32_e32 vcc, 29, v0
	s_and_saveexec_b64 s[8:9], vcc
	s_cbranch_execz .LBB111_759
; %bb.756:
	v_mov_b32_e32 v102, 0
	v_add_u32_e32 v101, 0xc4, v1
	v_add3_u32 v102, v1, v102, 4
	s_mov_b64 s[10:11], 0
	v_mov_b32_e32 v103, v0
.LBB111_757:                            ; =>This Inner Loop Header: Depth=1
	buffer_load_dword v104, v102, s[0:3], 0 offen
	ds_read_b32 v105, v101
	v_add_u32_e32 v103, 1, v103
	v_cmp_lt_u32_e32 vcc, 28, v103
	v_add_u32_e32 v101, 4, v101
	v_add_u32_e32 v102, 4, v102
	s_or_b64 s[10:11], vcc, s[10:11]
	s_waitcnt vmcnt(0) lgkmcnt(0)
	v_fmac_f32_e32 v100, v104, v105
	s_andn2_b64 exec, exec, s[10:11]
	s_cbranch_execnz .LBB111_757
; %bb.758:
	s_or_b64 exec, exec, s[10:11]
.LBB111_759:
	s_or_b64 exec, exec, s[8:9]
	v_mov_b32_e32 v101, 0
	ds_read_b32 v101, v101 offset:120
	s_waitcnt lgkmcnt(0)
	v_mul_f32_e32 v100, v100, v101
	buffer_store_dword v100, off, s[0:3], 0 offset:120
.LBB111_760:
	s_or_b64 exec, exec, s[6:7]
	buffer_load_dword v100, off, s[0:3], 0 offset:124
	v_cmp_gt_u32_e32 vcc, 31, v0
	s_waitcnt vmcnt(0)
	ds_write_b32 v98, v100
	s_waitcnt lgkmcnt(0)
	; wave barrier
	s_waitcnt lgkmcnt(0)
	s_and_saveexec_b64 s[6:7], vcc
	s_cbranch_execz .LBB111_770
; %bb.761:
	s_and_b64 vcc, exec, s[4:5]
	s_cbranch_vccnz .LBB111_763
; %bb.762:
	buffer_load_dword v100, v99, s[0:3], 0 offen
	ds_read_b32 v101, v98
	s_waitcnt vmcnt(0) lgkmcnt(0)
	v_mul_f32_e32 v100, v100, v101
	s_cbranch_execz .LBB111_764
	s_branch .LBB111_765
.LBB111_763:
                                        ; implicit-def: $vgpr100
.LBB111_764:
	ds_read_b32 v100, v98
.LBB111_765:
	v_cmp_ne_u32_e32 vcc, 30, v0
	s_and_saveexec_b64 s[8:9], vcc
	s_cbranch_execz .LBB111_769
; %bb.766:
	v_mov_b32_e32 v102, 0
	v_add_u32_e32 v101, 0xc4, v1
	v_add3_u32 v102, v1, v102, 4
	s_mov_b64 s[10:11], 0
	v_mov_b32_e32 v103, v0
.LBB111_767:                            ; =>This Inner Loop Header: Depth=1
	buffer_load_dword v104, v102, s[0:3], 0 offen
	ds_read_b32 v105, v101
	v_add_u32_e32 v103, 1, v103
	v_cmp_lt_u32_e32 vcc, 29, v103
	v_add_u32_e32 v101, 4, v101
	v_add_u32_e32 v102, 4, v102
	s_or_b64 s[10:11], vcc, s[10:11]
	s_waitcnt vmcnt(0) lgkmcnt(0)
	v_fmac_f32_e32 v100, v104, v105
	s_andn2_b64 exec, exec, s[10:11]
	s_cbranch_execnz .LBB111_767
; %bb.768:
	s_or_b64 exec, exec, s[10:11]
.LBB111_769:
	s_or_b64 exec, exec, s[8:9]
	v_mov_b32_e32 v101, 0
	ds_read_b32 v101, v101 offset:124
	s_waitcnt lgkmcnt(0)
	v_mul_f32_e32 v100, v100, v101
	buffer_store_dword v100, off, s[0:3], 0 offset:124
.LBB111_770:
	s_or_b64 exec, exec, s[6:7]
	buffer_load_dword v100, off, s[0:3], 0 offset:128
	v_cmp_gt_u32_e32 vcc, 32, v0
	s_waitcnt vmcnt(0)
	ds_write_b32 v98, v100
	s_waitcnt lgkmcnt(0)
	; wave barrier
	s_waitcnt lgkmcnt(0)
	s_and_saveexec_b64 s[6:7], vcc
	s_cbranch_execz .LBB111_780
; %bb.771:
	s_and_b64 vcc, exec, s[4:5]
	s_cbranch_vccnz .LBB111_773
; %bb.772:
	buffer_load_dword v100, v99, s[0:3], 0 offen
	ds_read_b32 v101, v98
	s_waitcnt vmcnt(0) lgkmcnt(0)
	v_mul_f32_e32 v100, v100, v101
	s_cbranch_execz .LBB111_774
	s_branch .LBB111_775
.LBB111_773:
                                        ; implicit-def: $vgpr100
.LBB111_774:
	ds_read_b32 v100, v98
.LBB111_775:
	v_cmp_ne_u32_e32 vcc, 31, v0
	s_and_saveexec_b64 s[8:9], vcc
	s_cbranch_execz .LBB111_779
; %bb.776:
	v_mov_b32_e32 v102, 0
	v_add_u32_e32 v101, 0xc4, v1
	v_add3_u32 v102, v1, v102, 4
	s_mov_b64 s[10:11], 0
	v_mov_b32_e32 v103, v0
.LBB111_777:                            ; =>This Inner Loop Header: Depth=1
	buffer_load_dword v104, v102, s[0:3], 0 offen
	ds_read_b32 v105, v101
	v_add_u32_e32 v103, 1, v103
	v_cmp_lt_u32_e32 vcc, 30, v103
	v_add_u32_e32 v101, 4, v101
	v_add_u32_e32 v102, 4, v102
	s_or_b64 s[10:11], vcc, s[10:11]
	s_waitcnt vmcnt(0) lgkmcnt(0)
	v_fmac_f32_e32 v100, v104, v105
	s_andn2_b64 exec, exec, s[10:11]
	s_cbranch_execnz .LBB111_777
; %bb.778:
	s_or_b64 exec, exec, s[10:11]
.LBB111_779:
	s_or_b64 exec, exec, s[8:9]
	v_mov_b32_e32 v101, 0
	ds_read_b32 v101, v101 offset:128
	s_waitcnt lgkmcnt(0)
	v_mul_f32_e32 v100, v100, v101
	buffer_store_dword v100, off, s[0:3], 0 offset:128
.LBB111_780:
	s_or_b64 exec, exec, s[6:7]
	buffer_load_dword v100, off, s[0:3], 0 offset:132
	v_cmp_gt_u32_e32 vcc, 33, v0
	s_waitcnt vmcnt(0)
	ds_write_b32 v98, v100
	s_waitcnt lgkmcnt(0)
	; wave barrier
	s_waitcnt lgkmcnt(0)
	s_and_saveexec_b64 s[6:7], vcc
	s_cbranch_execz .LBB111_790
; %bb.781:
	s_and_b64 vcc, exec, s[4:5]
	s_cbranch_vccnz .LBB111_783
; %bb.782:
	buffer_load_dword v100, v99, s[0:3], 0 offen
	ds_read_b32 v101, v98
	s_waitcnt vmcnt(0) lgkmcnt(0)
	v_mul_f32_e32 v100, v100, v101
	s_cbranch_execz .LBB111_784
	s_branch .LBB111_785
.LBB111_783:
                                        ; implicit-def: $vgpr100
.LBB111_784:
	ds_read_b32 v100, v98
.LBB111_785:
	v_cmp_ne_u32_e32 vcc, 32, v0
	s_and_saveexec_b64 s[8:9], vcc
	s_cbranch_execz .LBB111_789
; %bb.786:
	v_mov_b32_e32 v102, 0
	v_add_u32_e32 v101, 0xc4, v1
	v_add3_u32 v102, v1, v102, 4
	s_mov_b64 s[10:11], 0
	v_mov_b32_e32 v103, v0
.LBB111_787:                            ; =>This Inner Loop Header: Depth=1
	buffer_load_dword v104, v102, s[0:3], 0 offen
	ds_read_b32 v105, v101
	v_add_u32_e32 v103, 1, v103
	v_cmp_lt_u32_e32 vcc, 31, v103
	v_add_u32_e32 v101, 4, v101
	v_add_u32_e32 v102, 4, v102
	s_or_b64 s[10:11], vcc, s[10:11]
	s_waitcnt vmcnt(0) lgkmcnt(0)
	v_fmac_f32_e32 v100, v104, v105
	s_andn2_b64 exec, exec, s[10:11]
	s_cbranch_execnz .LBB111_787
; %bb.788:
	s_or_b64 exec, exec, s[10:11]
.LBB111_789:
	s_or_b64 exec, exec, s[8:9]
	v_mov_b32_e32 v101, 0
	ds_read_b32 v101, v101 offset:132
	s_waitcnt lgkmcnt(0)
	v_mul_f32_e32 v100, v100, v101
	buffer_store_dword v100, off, s[0:3], 0 offset:132
.LBB111_790:
	s_or_b64 exec, exec, s[6:7]
	buffer_load_dword v100, off, s[0:3], 0 offset:136
	v_cmp_gt_u32_e32 vcc, 34, v0
	s_waitcnt vmcnt(0)
	ds_write_b32 v98, v100
	s_waitcnt lgkmcnt(0)
	; wave barrier
	s_waitcnt lgkmcnt(0)
	s_and_saveexec_b64 s[6:7], vcc
	s_cbranch_execz .LBB111_800
; %bb.791:
	s_and_b64 vcc, exec, s[4:5]
	s_cbranch_vccnz .LBB111_793
; %bb.792:
	buffer_load_dword v100, v99, s[0:3], 0 offen
	ds_read_b32 v101, v98
	s_waitcnt vmcnt(0) lgkmcnt(0)
	v_mul_f32_e32 v100, v100, v101
	s_cbranch_execz .LBB111_794
	s_branch .LBB111_795
.LBB111_793:
                                        ; implicit-def: $vgpr100
.LBB111_794:
	ds_read_b32 v100, v98
.LBB111_795:
	v_cmp_ne_u32_e32 vcc, 33, v0
	s_and_saveexec_b64 s[8:9], vcc
	s_cbranch_execz .LBB111_799
; %bb.796:
	v_mov_b32_e32 v102, 0
	v_add_u32_e32 v101, 0xc4, v1
	v_add3_u32 v102, v1, v102, 4
	s_mov_b64 s[10:11], 0
	v_mov_b32_e32 v103, v0
.LBB111_797:                            ; =>This Inner Loop Header: Depth=1
	buffer_load_dword v104, v102, s[0:3], 0 offen
	ds_read_b32 v105, v101
	v_add_u32_e32 v103, 1, v103
	v_cmp_lt_u32_e32 vcc, 32, v103
	v_add_u32_e32 v101, 4, v101
	v_add_u32_e32 v102, 4, v102
	s_or_b64 s[10:11], vcc, s[10:11]
	s_waitcnt vmcnt(0) lgkmcnt(0)
	v_fmac_f32_e32 v100, v104, v105
	s_andn2_b64 exec, exec, s[10:11]
	s_cbranch_execnz .LBB111_797
; %bb.798:
	s_or_b64 exec, exec, s[10:11]
.LBB111_799:
	s_or_b64 exec, exec, s[8:9]
	v_mov_b32_e32 v101, 0
	ds_read_b32 v101, v101 offset:136
	s_waitcnt lgkmcnt(0)
	v_mul_f32_e32 v100, v100, v101
	buffer_store_dword v100, off, s[0:3], 0 offset:136
.LBB111_800:
	s_or_b64 exec, exec, s[6:7]
	buffer_load_dword v100, off, s[0:3], 0 offset:140
	v_cmp_gt_u32_e32 vcc, 35, v0
	s_waitcnt vmcnt(0)
	ds_write_b32 v98, v100
	s_waitcnt lgkmcnt(0)
	; wave barrier
	s_waitcnt lgkmcnt(0)
	s_and_saveexec_b64 s[6:7], vcc
	s_cbranch_execz .LBB111_810
; %bb.801:
	s_and_b64 vcc, exec, s[4:5]
	s_cbranch_vccnz .LBB111_803
; %bb.802:
	buffer_load_dword v100, v99, s[0:3], 0 offen
	ds_read_b32 v101, v98
	s_waitcnt vmcnt(0) lgkmcnt(0)
	v_mul_f32_e32 v100, v100, v101
	s_cbranch_execz .LBB111_804
	s_branch .LBB111_805
.LBB111_803:
                                        ; implicit-def: $vgpr100
.LBB111_804:
	ds_read_b32 v100, v98
.LBB111_805:
	v_cmp_ne_u32_e32 vcc, 34, v0
	s_and_saveexec_b64 s[8:9], vcc
	s_cbranch_execz .LBB111_809
; %bb.806:
	v_mov_b32_e32 v102, 0
	v_add_u32_e32 v101, 0xc4, v1
	v_add3_u32 v102, v1, v102, 4
	s_mov_b64 s[10:11], 0
	v_mov_b32_e32 v103, v0
.LBB111_807:                            ; =>This Inner Loop Header: Depth=1
	buffer_load_dword v104, v102, s[0:3], 0 offen
	ds_read_b32 v105, v101
	v_add_u32_e32 v103, 1, v103
	v_cmp_lt_u32_e32 vcc, 33, v103
	v_add_u32_e32 v101, 4, v101
	v_add_u32_e32 v102, 4, v102
	s_or_b64 s[10:11], vcc, s[10:11]
	s_waitcnt vmcnt(0) lgkmcnt(0)
	v_fmac_f32_e32 v100, v104, v105
	s_andn2_b64 exec, exec, s[10:11]
	s_cbranch_execnz .LBB111_807
; %bb.808:
	s_or_b64 exec, exec, s[10:11]
.LBB111_809:
	s_or_b64 exec, exec, s[8:9]
	v_mov_b32_e32 v101, 0
	ds_read_b32 v101, v101 offset:140
	s_waitcnt lgkmcnt(0)
	v_mul_f32_e32 v100, v100, v101
	buffer_store_dword v100, off, s[0:3], 0 offset:140
.LBB111_810:
	s_or_b64 exec, exec, s[6:7]
	buffer_load_dword v100, off, s[0:3], 0 offset:144
	v_cmp_gt_u32_e32 vcc, 36, v0
	s_waitcnt vmcnt(0)
	ds_write_b32 v98, v100
	s_waitcnt lgkmcnt(0)
	; wave barrier
	s_waitcnt lgkmcnt(0)
	s_and_saveexec_b64 s[6:7], vcc
	s_cbranch_execz .LBB111_820
; %bb.811:
	s_and_b64 vcc, exec, s[4:5]
	s_cbranch_vccnz .LBB111_813
; %bb.812:
	buffer_load_dword v100, v99, s[0:3], 0 offen
	ds_read_b32 v101, v98
	s_waitcnt vmcnt(0) lgkmcnt(0)
	v_mul_f32_e32 v100, v100, v101
	s_cbranch_execz .LBB111_814
	s_branch .LBB111_815
.LBB111_813:
                                        ; implicit-def: $vgpr100
.LBB111_814:
	ds_read_b32 v100, v98
.LBB111_815:
	v_cmp_ne_u32_e32 vcc, 35, v0
	s_and_saveexec_b64 s[8:9], vcc
	s_cbranch_execz .LBB111_819
; %bb.816:
	v_mov_b32_e32 v102, 0
	v_add_u32_e32 v101, 0xc4, v1
	v_add3_u32 v102, v1, v102, 4
	s_mov_b64 s[10:11], 0
	v_mov_b32_e32 v103, v0
.LBB111_817:                            ; =>This Inner Loop Header: Depth=1
	buffer_load_dword v104, v102, s[0:3], 0 offen
	ds_read_b32 v105, v101
	v_add_u32_e32 v103, 1, v103
	v_cmp_lt_u32_e32 vcc, 34, v103
	v_add_u32_e32 v101, 4, v101
	v_add_u32_e32 v102, 4, v102
	s_or_b64 s[10:11], vcc, s[10:11]
	s_waitcnt vmcnt(0) lgkmcnt(0)
	v_fmac_f32_e32 v100, v104, v105
	s_andn2_b64 exec, exec, s[10:11]
	s_cbranch_execnz .LBB111_817
; %bb.818:
	s_or_b64 exec, exec, s[10:11]
.LBB111_819:
	s_or_b64 exec, exec, s[8:9]
	v_mov_b32_e32 v101, 0
	ds_read_b32 v101, v101 offset:144
	s_waitcnt lgkmcnt(0)
	v_mul_f32_e32 v100, v100, v101
	buffer_store_dword v100, off, s[0:3], 0 offset:144
.LBB111_820:
	s_or_b64 exec, exec, s[6:7]
	buffer_load_dword v100, off, s[0:3], 0 offset:148
	v_cmp_gt_u32_e32 vcc, 37, v0
	s_waitcnt vmcnt(0)
	ds_write_b32 v98, v100
	s_waitcnt lgkmcnt(0)
	; wave barrier
	s_waitcnt lgkmcnt(0)
	s_and_saveexec_b64 s[6:7], vcc
	s_cbranch_execz .LBB111_830
; %bb.821:
	s_and_b64 vcc, exec, s[4:5]
	s_cbranch_vccnz .LBB111_823
; %bb.822:
	buffer_load_dword v100, v99, s[0:3], 0 offen
	ds_read_b32 v101, v98
	s_waitcnt vmcnt(0) lgkmcnt(0)
	v_mul_f32_e32 v100, v100, v101
	s_cbranch_execz .LBB111_824
	s_branch .LBB111_825
.LBB111_823:
                                        ; implicit-def: $vgpr100
.LBB111_824:
	ds_read_b32 v100, v98
.LBB111_825:
	v_cmp_ne_u32_e32 vcc, 36, v0
	s_and_saveexec_b64 s[8:9], vcc
	s_cbranch_execz .LBB111_829
; %bb.826:
	v_mov_b32_e32 v102, 0
	v_add_u32_e32 v101, 0xc4, v1
	v_add3_u32 v102, v1, v102, 4
	s_mov_b64 s[10:11], 0
	v_mov_b32_e32 v103, v0
.LBB111_827:                            ; =>This Inner Loop Header: Depth=1
	buffer_load_dword v104, v102, s[0:3], 0 offen
	ds_read_b32 v105, v101
	v_add_u32_e32 v103, 1, v103
	v_cmp_lt_u32_e32 vcc, 35, v103
	v_add_u32_e32 v101, 4, v101
	v_add_u32_e32 v102, 4, v102
	s_or_b64 s[10:11], vcc, s[10:11]
	s_waitcnt vmcnt(0) lgkmcnt(0)
	v_fmac_f32_e32 v100, v104, v105
	s_andn2_b64 exec, exec, s[10:11]
	s_cbranch_execnz .LBB111_827
; %bb.828:
	s_or_b64 exec, exec, s[10:11]
.LBB111_829:
	s_or_b64 exec, exec, s[8:9]
	v_mov_b32_e32 v101, 0
	ds_read_b32 v101, v101 offset:148
	s_waitcnt lgkmcnt(0)
	v_mul_f32_e32 v100, v100, v101
	buffer_store_dword v100, off, s[0:3], 0 offset:148
.LBB111_830:
	s_or_b64 exec, exec, s[6:7]
	buffer_load_dword v100, off, s[0:3], 0 offset:152
	v_cmp_gt_u32_e32 vcc, 38, v0
	s_waitcnt vmcnt(0)
	ds_write_b32 v98, v100
	s_waitcnt lgkmcnt(0)
	; wave barrier
	s_waitcnt lgkmcnt(0)
	s_and_saveexec_b64 s[6:7], vcc
	s_cbranch_execz .LBB111_840
; %bb.831:
	s_and_b64 vcc, exec, s[4:5]
	s_cbranch_vccnz .LBB111_833
; %bb.832:
	buffer_load_dword v100, v99, s[0:3], 0 offen
	ds_read_b32 v101, v98
	s_waitcnt vmcnt(0) lgkmcnt(0)
	v_mul_f32_e32 v100, v100, v101
	s_cbranch_execz .LBB111_834
	s_branch .LBB111_835
.LBB111_833:
                                        ; implicit-def: $vgpr100
.LBB111_834:
	ds_read_b32 v100, v98
.LBB111_835:
	v_cmp_ne_u32_e32 vcc, 37, v0
	s_and_saveexec_b64 s[8:9], vcc
	s_cbranch_execz .LBB111_839
; %bb.836:
	v_mov_b32_e32 v102, 0
	v_add_u32_e32 v101, 0xc4, v1
	v_add3_u32 v102, v1, v102, 4
	s_mov_b64 s[10:11], 0
	v_mov_b32_e32 v103, v0
.LBB111_837:                            ; =>This Inner Loop Header: Depth=1
	buffer_load_dword v104, v102, s[0:3], 0 offen
	ds_read_b32 v105, v101
	v_add_u32_e32 v103, 1, v103
	v_cmp_lt_u32_e32 vcc, 36, v103
	v_add_u32_e32 v101, 4, v101
	v_add_u32_e32 v102, 4, v102
	s_or_b64 s[10:11], vcc, s[10:11]
	s_waitcnt vmcnt(0) lgkmcnt(0)
	v_fmac_f32_e32 v100, v104, v105
	s_andn2_b64 exec, exec, s[10:11]
	s_cbranch_execnz .LBB111_837
; %bb.838:
	s_or_b64 exec, exec, s[10:11]
.LBB111_839:
	s_or_b64 exec, exec, s[8:9]
	v_mov_b32_e32 v101, 0
	ds_read_b32 v101, v101 offset:152
	s_waitcnt lgkmcnt(0)
	v_mul_f32_e32 v100, v100, v101
	buffer_store_dword v100, off, s[0:3], 0 offset:152
.LBB111_840:
	s_or_b64 exec, exec, s[6:7]
	buffer_load_dword v100, off, s[0:3], 0 offset:156
	v_cmp_gt_u32_e32 vcc, 39, v0
	s_waitcnt vmcnt(0)
	ds_write_b32 v98, v100
	s_waitcnt lgkmcnt(0)
	; wave barrier
	s_waitcnt lgkmcnt(0)
	s_and_saveexec_b64 s[6:7], vcc
	s_cbranch_execz .LBB111_850
; %bb.841:
	s_and_b64 vcc, exec, s[4:5]
	s_cbranch_vccnz .LBB111_843
; %bb.842:
	buffer_load_dword v100, v99, s[0:3], 0 offen
	ds_read_b32 v101, v98
	s_waitcnt vmcnt(0) lgkmcnt(0)
	v_mul_f32_e32 v100, v100, v101
	s_cbranch_execz .LBB111_844
	s_branch .LBB111_845
.LBB111_843:
                                        ; implicit-def: $vgpr100
.LBB111_844:
	ds_read_b32 v100, v98
.LBB111_845:
	v_cmp_ne_u32_e32 vcc, 38, v0
	s_and_saveexec_b64 s[8:9], vcc
	s_cbranch_execz .LBB111_849
; %bb.846:
	v_mov_b32_e32 v102, 0
	v_add_u32_e32 v101, 0xc4, v1
	v_add3_u32 v102, v1, v102, 4
	s_mov_b64 s[10:11], 0
	v_mov_b32_e32 v103, v0
.LBB111_847:                            ; =>This Inner Loop Header: Depth=1
	buffer_load_dword v104, v102, s[0:3], 0 offen
	ds_read_b32 v105, v101
	v_add_u32_e32 v103, 1, v103
	v_cmp_lt_u32_e32 vcc, 37, v103
	v_add_u32_e32 v101, 4, v101
	v_add_u32_e32 v102, 4, v102
	s_or_b64 s[10:11], vcc, s[10:11]
	s_waitcnt vmcnt(0) lgkmcnt(0)
	v_fmac_f32_e32 v100, v104, v105
	s_andn2_b64 exec, exec, s[10:11]
	s_cbranch_execnz .LBB111_847
; %bb.848:
	s_or_b64 exec, exec, s[10:11]
.LBB111_849:
	s_or_b64 exec, exec, s[8:9]
	v_mov_b32_e32 v101, 0
	ds_read_b32 v101, v101 offset:156
	s_waitcnt lgkmcnt(0)
	v_mul_f32_e32 v100, v100, v101
	buffer_store_dword v100, off, s[0:3], 0 offset:156
.LBB111_850:
	s_or_b64 exec, exec, s[6:7]
	buffer_load_dword v100, off, s[0:3], 0 offset:160
	v_cmp_gt_u32_e32 vcc, 40, v0
	s_waitcnt vmcnt(0)
	ds_write_b32 v98, v100
	s_waitcnt lgkmcnt(0)
	; wave barrier
	s_waitcnt lgkmcnt(0)
	s_and_saveexec_b64 s[6:7], vcc
	s_cbranch_execz .LBB111_860
; %bb.851:
	s_and_b64 vcc, exec, s[4:5]
	s_cbranch_vccnz .LBB111_853
; %bb.852:
	buffer_load_dword v100, v99, s[0:3], 0 offen
	ds_read_b32 v101, v98
	s_waitcnt vmcnt(0) lgkmcnt(0)
	v_mul_f32_e32 v100, v100, v101
	s_cbranch_execz .LBB111_854
	s_branch .LBB111_855
.LBB111_853:
                                        ; implicit-def: $vgpr100
.LBB111_854:
	ds_read_b32 v100, v98
.LBB111_855:
	v_cmp_ne_u32_e32 vcc, 39, v0
	s_and_saveexec_b64 s[8:9], vcc
	s_cbranch_execz .LBB111_859
; %bb.856:
	v_mov_b32_e32 v102, 0
	v_add_u32_e32 v101, 0xc4, v1
	v_add3_u32 v102, v1, v102, 4
	s_mov_b64 s[10:11], 0
	v_mov_b32_e32 v103, v0
.LBB111_857:                            ; =>This Inner Loop Header: Depth=1
	buffer_load_dword v104, v102, s[0:3], 0 offen
	ds_read_b32 v105, v101
	v_add_u32_e32 v103, 1, v103
	v_cmp_lt_u32_e32 vcc, 38, v103
	v_add_u32_e32 v101, 4, v101
	v_add_u32_e32 v102, 4, v102
	s_or_b64 s[10:11], vcc, s[10:11]
	s_waitcnt vmcnt(0) lgkmcnt(0)
	v_fmac_f32_e32 v100, v104, v105
	s_andn2_b64 exec, exec, s[10:11]
	s_cbranch_execnz .LBB111_857
; %bb.858:
	s_or_b64 exec, exec, s[10:11]
.LBB111_859:
	s_or_b64 exec, exec, s[8:9]
	v_mov_b32_e32 v101, 0
	ds_read_b32 v101, v101 offset:160
	s_waitcnt lgkmcnt(0)
	v_mul_f32_e32 v100, v100, v101
	buffer_store_dword v100, off, s[0:3], 0 offset:160
.LBB111_860:
	s_or_b64 exec, exec, s[6:7]
	buffer_load_dword v100, off, s[0:3], 0 offset:164
	v_cmp_gt_u32_e32 vcc, 41, v0
	s_waitcnt vmcnt(0)
	ds_write_b32 v98, v100
	s_waitcnt lgkmcnt(0)
	; wave barrier
	s_waitcnt lgkmcnt(0)
	s_and_saveexec_b64 s[6:7], vcc
	s_cbranch_execz .LBB111_870
; %bb.861:
	s_and_b64 vcc, exec, s[4:5]
	s_cbranch_vccnz .LBB111_863
; %bb.862:
	buffer_load_dword v100, v99, s[0:3], 0 offen
	ds_read_b32 v101, v98
	s_waitcnt vmcnt(0) lgkmcnt(0)
	v_mul_f32_e32 v100, v100, v101
	s_cbranch_execz .LBB111_864
	s_branch .LBB111_865
.LBB111_863:
                                        ; implicit-def: $vgpr100
.LBB111_864:
	ds_read_b32 v100, v98
.LBB111_865:
	v_cmp_ne_u32_e32 vcc, 40, v0
	s_and_saveexec_b64 s[8:9], vcc
	s_cbranch_execz .LBB111_869
; %bb.866:
	v_mov_b32_e32 v102, 0
	v_add_u32_e32 v101, 0xc4, v1
	v_add3_u32 v102, v1, v102, 4
	s_mov_b64 s[10:11], 0
	v_mov_b32_e32 v103, v0
.LBB111_867:                            ; =>This Inner Loop Header: Depth=1
	buffer_load_dword v104, v102, s[0:3], 0 offen
	ds_read_b32 v105, v101
	v_add_u32_e32 v103, 1, v103
	v_cmp_lt_u32_e32 vcc, 39, v103
	v_add_u32_e32 v101, 4, v101
	v_add_u32_e32 v102, 4, v102
	s_or_b64 s[10:11], vcc, s[10:11]
	s_waitcnt vmcnt(0) lgkmcnt(0)
	v_fmac_f32_e32 v100, v104, v105
	s_andn2_b64 exec, exec, s[10:11]
	s_cbranch_execnz .LBB111_867
; %bb.868:
	s_or_b64 exec, exec, s[10:11]
.LBB111_869:
	s_or_b64 exec, exec, s[8:9]
	v_mov_b32_e32 v101, 0
	ds_read_b32 v101, v101 offset:164
	s_waitcnt lgkmcnt(0)
	v_mul_f32_e32 v100, v100, v101
	buffer_store_dword v100, off, s[0:3], 0 offset:164
.LBB111_870:
	s_or_b64 exec, exec, s[6:7]
	buffer_load_dword v100, off, s[0:3], 0 offset:168
	v_cmp_gt_u32_e32 vcc, 42, v0
	s_waitcnt vmcnt(0)
	ds_write_b32 v98, v100
	s_waitcnt lgkmcnt(0)
	; wave barrier
	s_waitcnt lgkmcnt(0)
	s_and_saveexec_b64 s[6:7], vcc
	s_cbranch_execz .LBB111_880
; %bb.871:
	s_and_b64 vcc, exec, s[4:5]
	s_cbranch_vccnz .LBB111_873
; %bb.872:
	buffer_load_dword v100, v99, s[0:3], 0 offen
	ds_read_b32 v101, v98
	s_waitcnt vmcnt(0) lgkmcnt(0)
	v_mul_f32_e32 v100, v100, v101
	s_cbranch_execz .LBB111_874
	s_branch .LBB111_875
.LBB111_873:
                                        ; implicit-def: $vgpr100
.LBB111_874:
	ds_read_b32 v100, v98
.LBB111_875:
	v_cmp_ne_u32_e32 vcc, 41, v0
	s_and_saveexec_b64 s[8:9], vcc
	s_cbranch_execz .LBB111_879
; %bb.876:
	v_mov_b32_e32 v102, 0
	v_add_u32_e32 v101, 0xc4, v1
	v_add3_u32 v102, v1, v102, 4
	s_mov_b64 s[10:11], 0
	v_mov_b32_e32 v103, v0
.LBB111_877:                            ; =>This Inner Loop Header: Depth=1
	buffer_load_dword v104, v102, s[0:3], 0 offen
	ds_read_b32 v105, v101
	v_add_u32_e32 v103, 1, v103
	v_cmp_lt_u32_e32 vcc, 40, v103
	v_add_u32_e32 v101, 4, v101
	v_add_u32_e32 v102, 4, v102
	s_or_b64 s[10:11], vcc, s[10:11]
	s_waitcnt vmcnt(0) lgkmcnt(0)
	v_fmac_f32_e32 v100, v104, v105
	s_andn2_b64 exec, exec, s[10:11]
	s_cbranch_execnz .LBB111_877
; %bb.878:
	s_or_b64 exec, exec, s[10:11]
.LBB111_879:
	s_or_b64 exec, exec, s[8:9]
	v_mov_b32_e32 v101, 0
	ds_read_b32 v101, v101 offset:168
	s_waitcnt lgkmcnt(0)
	v_mul_f32_e32 v100, v100, v101
	buffer_store_dword v100, off, s[0:3], 0 offset:168
.LBB111_880:
	s_or_b64 exec, exec, s[6:7]
	buffer_load_dword v100, off, s[0:3], 0 offset:172
	v_cmp_gt_u32_e32 vcc, 43, v0
	s_waitcnt vmcnt(0)
	ds_write_b32 v98, v100
	s_waitcnt lgkmcnt(0)
	; wave barrier
	s_waitcnt lgkmcnt(0)
	s_and_saveexec_b64 s[6:7], vcc
	s_cbranch_execz .LBB111_890
; %bb.881:
	s_and_b64 vcc, exec, s[4:5]
	s_cbranch_vccnz .LBB111_883
; %bb.882:
	buffer_load_dword v100, v99, s[0:3], 0 offen
	ds_read_b32 v101, v98
	s_waitcnt vmcnt(0) lgkmcnt(0)
	v_mul_f32_e32 v100, v100, v101
	s_cbranch_execz .LBB111_884
	s_branch .LBB111_885
.LBB111_883:
                                        ; implicit-def: $vgpr100
.LBB111_884:
	ds_read_b32 v100, v98
.LBB111_885:
	v_cmp_ne_u32_e32 vcc, 42, v0
	s_and_saveexec_b64 s[8:9], vcc
	s_cbranch_execz .LBB111_889
; %bb.886:
	v_mov_b32_e32 v102, 0
	v_add_u32_e32 v101, 0xc4, v1
	v_add3_u32 v102, v1, v102, 4
	s_mov_b64 s[10:11], 0
	v_mov_b32_e32 v103, v0
.LBB111_887:                            ; =>This Inner Loop Header: Depth=1
	buffer_load_dword v104, v102, s[0:3], 0 offen
	ds_read_b32 v105, v101
	v_add_u32_e32 v103, 1, v103
	v_cmp_lt_u32_e32 vcc, 41, v103
	v_add_u32_e32 v101, 4, v101
	v_add_u32_e32 v102, 4, v102
	s_or_b64 s[10:11], vcc, s[10:11]
	s_waitcnt vmcnt(0) lgkmcnt(0)
	v_fmac_f32_e32 v100, v104, v105
	s_andn2_b64 exec, exec, s[10:11]
	s_cbranch_execnz .LBB111_887
; %bb.888:
	s_or_b64 exec, exec, s[10:11]
.LBB111_889:
	s_or_b64 exec, exec, s[8:9]
	v_mov_b32_e32 v101, 0
	ds_read_b32 v101, v101 offset:172
	s_waitcnt lgkmcnt(0)
	v_mul_f32_e32 v100, v100, v101
	buffer_store_dword v100, off, s[0:3], 0 offset:172
.LBB111_890:
	s_or_b64 exec, exec, s[6:7]
	buffer_load_dword v100, off, s[0:3], 0 offset:176
	v_cmp_gt_u32_e32 vcc, 44, v0
	s_waitcnt vmcnt(0)
	ds_write_b32 v98, v100
	s_waitcnt lgkmcnt(0)
	; wave barrier
	s_waitcnt lgkmcnt(0)
	s_and_saveexec_b64 s[6:7], vcc
	s_cbranch_execz .LBB111_900
; %bb.891:
	s_and_b64 vcc, exec, s[4:5]
	s_cbranch_vccnz .LBB111_893
; %bb.892:
	buffer_load_dword v100, v99, s[0:3], 0 offen
	ds_read_b32 v101, v98
	s_waitcnt vmcnt(0) lgkmcnt(0)
	v_mul_f32_e32 v100, v100, v101
	s_cbranch_execz .LBB111_894
	s_branch .LBB111_895
.LBB111_893:
                                        ; implicit-def: $vgpr100
.LBB111_894:
	ds_read_b32 v100, v98
.LBB111_895:
	v_cmp_ne_u32_e32 vcc, 43, v0
	s_and_saveexec_b64 s[8:9], vcc
	s_cbranch_execz .LBB111_899
; %bb.896:
	v_mov_b32_e32 v102, 0
	v_add_u32_e32 v101, 0xc4, v1
	v_add3_u32 v102, v1, v102, 4
	s_mov_b64 s[10:11], 0
	v_mov_b32_e32 v103, v0
.LBB111_897:                            ; =>This Inner Loop Header: Depth=1
	buffer_load_dword v104, v102, s[0:3], 0 offen
	ds_read_b32 v105, v101
	v_add_u32_e32 v103, 1, v103
	v_cmp_lt_u32_e32 vcc, 42, v103
	v_add_u32_e32 v101, 4, v101
	v_add_u32_e32 v102, 4, v102
	s_or_b64 s[10:11], vcc, s[10:11]
	s_waitcnt vmcnt(0) lgkmcnt(0)
	v_fmac_f32_e32 v100, v104, v105
	s_andn2_b64 exec, exec, s[10:11]
	s_cbranch_execnz .LBB111_897
; %bb.898:
	s_or_b64 exec, exec, s[10:11]
.LBB111_899:
	s_or_b64 exec, exec, s[8:9]
	v_mov_b32_e32 v101, 0
	ds_read_b32 v101, v101 offset:176
	s_waitcnt lgkmcnt(0)
	v_mul_f32_e32 v100, v100, v101
	buffer_store_dword v100, off, s[0:3], 0 offset:176
.LBB111_900:
	s_or_b64 exec, exec, s[6:7]
	buffer_load_dword v100, off, s[0:3], 0 offset:180
	v_cmp_gt_u32_e32 vcc, 45, v0
	s_waitcnt vmcnt(0)
	ds_write_b32 v98, v100
	s_waitcnt lgkmcnt(0)
	; wave barrier
	s_waitcnt lgkmcnt(0)
	s_and_saveexec_b64 s[6:7], vcc
	s_cbranch_execz .LBB111_910
; %bb.901:
	s_and_b64 vcc, exec, s[4:5]
	s_cbranch_vccnz .LBB111_903
; %bb.902:
	buffer_load_dword v100, v99, s[0:3], 0 offen
	ds_read_b32 v101, v98
	s_waitcnt vmcnt(0) lgkmcnt(0)
	v_mul_f32_e32 v100, v100, v101
	s_cbranch_execz .LBB111_904
	s_branch .LBB111_905
.LBB111_903:
                                        ; implicit-def: $vgpr100
.LBB111_904:
	ds_read_b32 v100, v98
.LBB111_905:
	v_cmp_ne_u32_e32 vcc, 44, v0
	s_and_saveexec_b64 s[8:9], vcc
	s_cbranch_execz .LBB111_909
; %bb.906:
	v_mov_b32_e32 v102, 0
	v_add_u32_e32 v101, 0xc4, v1
	v_add3_u32 v102, v1, v102, 4
	s_mov_b64 s[10:11], 0
	v_mov_b32_e32 v103, v0
.LBB111_907:                            ; =>This Inner Loop Header: Depth=1
	buffer_load_dword v104, v102, s[0:3], 0 offen
	ds_read_b32 v105, v101
	v_add_u32_e32 v103, 1, v103
	v_cmp_lt_u32_e32 vcc, 43, v103
	v_add_u32_e32 v101, 4, v101
	v_add_u32_e32 v102, 4, v102
	s_or_b64 s[10:11], vcc, s[10:11]
	s_waitcnt vmcnt(0) lgkmcnt(0)
	v_fmac_f32_e32 v100, v104, v105
	s_andn2_b64 exec, exec, s[10:11]
	s_cbranch_execnz .LBB111_907
; %bb.908:
	s_or_b64 exec, exec, s[10:11]
.LBB111_909:
	s_or_b64 exec, exec, s[8:9]
	v_mov_b32_e32 v101, 0
	ds_read_b32 v101, v101 offset:180
	s_waitcnt lgkmcnt(0)
	v_mul_f32_e32 v100, v100, v101
	buffer_store_dword v100, off, s[0:3], 0 offset:180
.LBB111_910:
	s_or_b64 exec, exec, s[6:7]
	buffer_load_dword v100, off, s[0:3], 0 offset:184
	v_cmp_gt_u32_e64 s[6:7], 46, v0
	s_waitcnt vmcnt(0)
	ds_write_b32 v98, v100
	s_waitcnt lgkmcnt(0)
	; wave barrier
	s_waitcnt lgkmcnt(0)
	s_and_saveexec_b64 s[8:9], s[6:7]
	s_cbranch_execz .LBB111_920
; %bb.911:
	s_and_b64 vcc, exec, s[4:5]
	s_cbranch_vccnz .LBB111_913
; %bb.912:
	buffer_load_dword v100, v99, s[0:3], 0 offen
	ds_read_b32 v101, v98
	s_waitcnt vmcnt(0) lgkmcnt(0)
	v_mul_f32_e32 v100, v100, v101
	s_cbranch_execz .LBB111_914
	s_branch .LBB111_915
.LBB111_913:
                                        ; implicit-def: $vgpr100
.LBB111_914:
	ds_read_b32 v100, v98
.LBB111_915:
	v_cmp_ne_u32_e32 vcc, 45, v0
	s_and_saveexec_b64 s[10:11], vcc
	s_cbranch_execz .LBB111_919
; %bb.916:
	v_mov_b32_e32 v102, 0
	v_add_u32_e32 v101, 0xc4, v1
	v_add3_u32 v102, v1, v102, 4
	s_mov_b64 s[12:13], 0
	v_mov_b32_e32 v103, v0
.LBB111_917:                            ; =>This Inner Loop Header: Depth=1
	buffer_load_dword v104, v102, s[0:3], 0 offen
	ds_read_b32 v105, v101
	v_add_u32_e32 v103, 1, v103
	v_cmp_lt_u32_e32 vcc, 44, v103
	v_add_u32_e32 v101, 4, v101
	v_add_u32_e32 v102, 4, v102
	s_or_b64 s[12:13], vcc, s[12:13]
	s_waitcnt vmcnt(0) lgkmcnt(0)
	v_fmac_f32_e32 v100, v104, v105
	s_andn2_b64 exec, exec, s[12:13]
	s_cbranch_execnz .LBB111_917
; %bb.918:
	s_or_b64 exec, exec, s[12:13]
.LBB111_919:
	s_or_b64 exec, exec, s[10:11]
	v_mov_b32_e32 v101, 0
	ds_read_b32 v101, v101 offset:184
	s_waitcnt lgkmcnt(0)
	v_mul_f32_e32 v100, v100, v101
	buffer_store_dword v100, off, s[0:3], 0 offset:184
.LBB111_920:
	s_or_b64 exec, exec, s[8:9]
	buffer_load_dword v100, off, s[0:3], 0 offset:188
	v_cmp_ne_u32_e32 vcc, 47, v0
	s_waitcnt vmcnt(0)
	ds_write_b32 v98, v100
	s_waitcnt lgkmcnt(0)
	; wave barrier
	s_waitcnt lgkmcnt(0)
	s_and_saveexec_b64 s[8:9], vcc
	s_cbranch_execz .LBB111_930
; %bb.921:
	s_and_b64 vcc, exec, s[4:5]
	s_cbranch_vccnz .LBB111_923
; %bb.922:
	buffer_load_dword v99, v99, s[0:3], 0 offen
	ds_read_b32 v100, v98
	s_waitcnt vmcnt(0) lgkmcnt(0)
	v_mul_f32_e32 v99, v99, v100
	s_cbranch_execz .LBB111_924
	s_branch .LBB111_925
.LBB111_923:
                                        ; implicit-def: $vgpr99
.LBB111_924:
	ds_read_b32 v99, v98
.LBB111_925:
	s_and_saveexec_b64 s[4:5], s[6:7]
	s_cbranch_execz .LBB111_929
; %bb.926:
	v_mov_b32_e32 v100, 0
	v_add_u32_e32 v98, 0xc4, v1
	v_add3_u32 v1, v1, v100, 4
	s_mov_b64 s[6:7], 0
.LBB111_927:                            ; =>This Inner Loop Header: Depth=1
	buffer_load_dword v100, v1, s[0:3], 0 offen
	ds_read_b32 v101, v98
	v_add_u32_e32 v0, 1, v0
	v_cmp_lt_u32_e32 vcc, 45, v0
	v_add_u32_e32 v98, 4, v98
	v_add_u32_e32 v1, 4, v1
	s_or_b64 s[6:7], vcc, s[6:7]
	s_waitcnt vmcnt(0) lgkmcnt(0)
	v_fmac_f32_e32 v99, v100, v101
	s_andn2_b64 exec, exec, s[6:7]
	s_cbranch_execnz .LBB111_927
; %bb.928:
	s_or_b64 exec, exec, s[6:7]
.LBB111_929:
	s_or_b64 exec, exec, s[4:5]
	v_mov_b32_e32 v0, 0
	ds_read_b32 v0, v0 offset:188
	s_waitcnt lgkmcnt(0)
	v_mul_f32_e32 v0, v99, v0
	buffer_store_dword v0, off, s[0:3], 0 offset:188
.LBB111_930:
	s_or_b64 exec, exec, s[8:9]
.LBB111_931:
	buffer_load_dword v0, off, s[0:3], 0
	buffer_load_dword v1, off, s[0:3], 0 offset:4
	buffer_load_dword v98, off, s[0:3], 0 offset:8
	;; [unrolled: 1-line block ×23, first 2 shown]
	s_waitcnt vmcnt(23)
	global_store_dword v[94:95], v0, off
	s_waitcnt vmcnt(23)
	global_store_dword v[96:97], v1, off
	buffer_load_dword v0, off, s[0:3], 0 offset:96
	s_nop 0
	buffer_load_dword v1, off, s[0:3], 0 offset:100
	buffer_load_dword v94, off, s[0:3], 0 offset:104
	buffer_load_dword v95, off, s[0:3], 0 offset:108
	buffer_load_dword v96, off, s[0:3], 0 offset:112
	buffer_load_dword v97, off, s[0:3], 0 offset:116
	buffer_load_dword v120, off, s[0:3], 0 offset:120
	buffer_load_dword v121, off, s[0:3], 0 offset:124
	s_waitcnt vmcnt(31)
	global_store_dword v[2:3], v98, off
	s_waitcnt vmcnt(31)
	global_store_dword v[6:7], v99, off
	buffer_load_dword v2, off, s[0:3], 0 offset:128
	buffer_load_dword v3, off, s[0:3], 0 offset:132
	s_nop 0
	buffer_load_dword v6, off, s[0:3], 0 offset:136
	buffer_load_dword v7, off, s[0:3], 0 offset:140
	;; [unrolled: 1-line block ×6, first 2 shown]
	s_waitcnt vmcnt(39)
	global_store_dword v[4:5], v100, off
	s_waitcnt vmcnt(39)
	global_store_dword v[8:9], v101, off
	;; [unrolled: 2-line block ×3, first 2 shown]
	buffer_load_dword v4, off, s[0:3], 0 offset:160
	buffer_load_dword v5, off, s[0:3], 0 offset:164
	;; [unrolled: 1-line block ×4, first 2 shown]
	s_nop 0
	buffer_load_dword v12, off, s[0:3], 0 offset:176
	buffer_load_dword v13, off, s[0:3], 0 offset:180
	;; [unrolled: 1-line block ×4, first 2 shown]
	s_waitcnt vmcnt(47)
	global_store_dword v[10:11], v103, off
	s_waitcnt vmcnt(47)
	global_store_dword v[14:15], v104, off
	s_waitcnt vmcnt(47)
	global_store_dword v[16:17], v105, off
	s_waitcnt vmcnt(47)
	global_store_dword v[18:19], v106, off
	s_waitcnt vmcnt(47)
	global_store_dword v[20:21], v107, off
	s_waitcnt vmcnt(47)
	global_store_dword v[22:23], v108, off
	s_waitcnt vmcnt(47)
	global_store_dword v[24:25], v109, off
	s_waitcnt vmcnt(47)
	global_store_dword v[26:27], v110, off
	s_waitcnt vmcnt(47)
	global_store_dword v[28:29], v111, off
	s_waitcnt vmcnt(47)
	global_store_dword v[30:31], v112, off
	s_waitcnt vmcnt(47)
	global_store_dword v[32:33], v113, off
	s_waitcnt vmcnt(47)
	global_store_dword v[34:35], v114, off
	s_waitcnt vmcnt(47)
	global_store_dword v[36:37], v115, off
	s_waitcnt vmcnt(47)
	global_store_dword v[38:39], v116, off
	s_waitcnt vmcnt(47)
	global_store_dword v[40:41], v117, off
	s_waitcnt vmcnt(47)
	global_store_dword v[42:43], v118, off
	s_waitcnt vmcnt(47)
	global_store_dword v[44:45], v119, off
	s_waitcnt vmcnt(45)
	global_store_dword v[46:47], v0, off
	s_waitcnt vmcnt(45)
	global_store_dword v[48:49], v1, off
	s_waitcnt vmcnt(45)
	global_store_dword v[50:51], v94, off
	s_waitcnt vmcnt(45)
	global_store_dword v[52:53], v95, off
	s_waitcnt vmcnt(45)
	global_store_dword v[54:55], v96, off
	s_waitcnt vmcnt(45)
	global_store_dword v[56:57], v97, off
	s_waitcnt vmcnt(45)
	global_store_dword v[58:59], v120, off
	s_waitcnt vmcnt(45)
	global_store_dword v[60:61], v121, off
	s_waitcnt vmcnt(43)
	global_store_dword v[62:63], v2, off
	s_waitcnt vmcnt(43)
	global_store_dword v[64:65], v3, off
	s_waitcnt vmcnt(43)
	global_store_dword v[66:67], v6, off
	s_waitcnt vmcnt(43)
	global_store_dword v[68:69], v7, off
	s_waitcnt vmcnt(43)
	global_store_dword v[70:71], v98, off
	s_waitcnt vmcnt(43)
	global_store_dword v[72:73], v99, off
	s_waitcnt vmcnt(43)
	global_store_dword v[74:75], v122, off
	s_waitcnt vmcnt(43)
	global_store_dword v[76:77], v123, off
	s_waitcnt vmcnt(40)
	global_store_dword v[78:79], v4, off
	s_waitcnt vmcnt(40)
	global_store_dword v[80:81], v5, off
	s_waitcnt vmcnt(40)
	global_store_dword v[82:83], v8, off
	s_waitcnt vmcnt(40)
	global_store_dword v[84:85], v9, off
	s_waitcnt vmcnt(40)
	global_store_dword v[86:87], v12, off
	s_waitcnt vmcnt(40)
	global_store_dword v[88:89], v13, off
	s_waitcnt vmcnt(40)
	global_store_dword v[90:91], v100, off
	s_waitcnt vmcnt(40)
	global_store_dword v[92:93], v101, off
.LBB111_932:
	s_endpgm
	.section	.rodata,"a",@progbits
	.p2align	6, 0x0
	.amdhsa_kernel _ZN9rocsolver6v33100L18trti2_kernel_smallILi48EfPKPfEEv13rocblas_fill_17rocblas_diagonal_T1_iil
		.amdhsa_group_segment_fixed_size 384
		.amdhsa_private_segment_fixed_size 208
		.amdhsa_kernarg_size 32
		.amdhsa_user_sgpr_count 8
		.amdhsa_user_sgpr_private_segment_buffer 1
		.amdhsa_user_sgpr_dispatch_ptr 0
		.amdhsa_user_sgpr_queue_ptr 0
		.amdhsa_user_sgpr_kernarg_segment_ptr 1
		.amdhsa_user_sgpr_dispatch_id 0
		.amdhsa_user_sgpr_flat_scratch_init 1
		.amdhsa_user_sgpr_kernarg_preload_length 0
		.amdhsa_user_sgpr_kernarg_preload_offset 0
		.amdhsa_user_sgpr_private_segment_size 0
		.amdhsa_uses_dynamic_stack 0
		.amdhsa_system_sgpr_private_segment_wavefront_offset 1
		.amdhsa_system_sgpr_workgroup_id_x 1
		.amdhsa_system_sgpr_workgroup_id_y 0
		.amdhsa_system_sgpr_workgroup_id_z 0
		.amdhsa_system_sgpr_workgroup_info 0
		.amdhsa_system_vgpr_workitem_id 0
		.amdhsa_next_free_vgpr 127
		.amdhsa_next_free_sgpr 16
		.amdhsa_accum_offset 128
		.amdhsa_reserve_vcc 1
		.amdhsa_reserve_flat_scratch 0
		.amdhsa_float_round_mode_32 0
		.amdhsa_float_round_mode_16_64 0
		.amdhsa_float_denorm_mode_32 3
		.amdhsa_float_denorm_mode_16_64 3
		.amdhsa_dx10_clamp 1
		.amdhsa_ieee_mode 1
		.amdhsa_fp16_overflow 0
		.amdhsa_tg_split 0
		.amdhsa_exception_fp_ieee_invalid_op 0
		.amdhsa_exception_fp_denorm_src 0
		.amdhsa_exception_fp_ieee_div_zero 0
		.amdhsa_exception_fp_ieee_overflow 0
		.amdhsa_exception_fp_ieee_underflow 0
		.amdhsa_exception_fp_ieee_inexact 0
		.amdhsa_exception_int_div_zero 0
	.end_amdhsa_kernel
	.section	.text._ZN9rocsolver6v33100L18trti2_kernel_smallILi48EfPKPfEEv13rocblas_fill_17rocblas_diagonal_T1_iil,"axG",@progbits,_ZN9rocsolver6v33100L18trti2_kernel_smallILi48EfPKPfEEv13rocblas_fill_17rocblas_diagonal_T1_iil,comdat
.Lfunc_end111:
	.size	_ZN9rocsolver6v33100L18trti2_kernel_smallILi48EfPKPfEEv13rocblas_fill_17rocblas_diagonal_T1_iil, .Lfunc_end111-_ZN9rocsolver6v33100L18trti2_kernel_smallILi48EfPKPfEEv13rocblas_fill_17rocblas_diagonal_T1_iil
                                        ; -- End function
	.section	.AMDGPU.csdata,"",@progbits
; Kernel info:
; codeLenInByte = 23468
; NumSgprs: 20
; NumVgprs: 127
; NumAgprs: 0
; TotalNumVgprs: 127
; ScratchSize: 208
; MemoryBound: 0
; FloatMode: 240
; IeeeMode: 1
; LDSByteSize: 384 bytes/workgroup (compile time only)
; SGPRBlocks: 2
; VGPRBlocks: 15
; NumSGPRsForWavesPerEU: 20
; NumVGPRsForWavesPerEU: 127
; AccumOffset: 128
; Occupancy: 4
; WaveLimiterHint : 1
; COMPUTE_PGM_RSRC2:SCRATCH_EN: 1
; COMPUTE_PGM_RSRC2:USER_SGPR: 8
; COMPUTE_PGM_RSRC2:TRAP_HANDLER: 0
; COMPUTE_PGM_RSRC2:TGID_X_EN: 1
; COMPUTE_PGM_RSRC2:TGID_Y_EN: 0
; COMPUTE_PGM_RSRC2:TGID_Z_EN: 0
; COMPUTE_PGM_RSRC2:TIDIG_COMP_CNT: 0
; COMPUTE_PGM_RSRC3_GFX90A:ACCUM_OFFSET: 31
; COMPUTE_PGM_RSRC3_GFX90A:TG_SPLIT: 0
	.section	.text._ZN9rocsolver6v33100L18trti2_kernel_smallILi49EfPKPfEEv13rocblas_fill_17rocblas_diagonal_T1_iil,"axG",@progbits,_ZN9rocsolver6v33100L18trti2_kernel_smallILi49EfPKPfEEv13rocblas_fill_17rocblas_diagonal_T1_iil,comdat
	.globl	_ZN9rocsolver6v33100L18trti2_kernel_smallILi49EfPKPfEEv13rocblas_fill_17rocblas_diagonal_T1_iil ; -- Begin function _ZN9rocsolver6v33100L18trti2_kernel_smallILi49EfPKPfEEv13rocblas_fill_17rocblas_diagonal_T1_iil
	.p2align	8
	.type	_ZN9rocsolver6v33100L18trti2_kernel_smallILi49EfPKPfEEv13rocblas_fill_17rocblas_diagonal_T1_iil,@function
_ZN9rocsolver6v33100L18trti2_kernel_smallILi49EfPKPfEEv13rocblas_fill_17rocblas_diagonal_T1_iil: ; @_ZN9rocsolver6v33100L18trti2_kernel_smallILi49EfPKPfEEv13rocblas_fill_17rocblas_diagonal_T1_iil
; %bb.0:
	s_add_u32 s0, s0, s9
	s_addc_u32 s1, s1, 0
	v_cmp_gt_u32_e32 vcc, 49, v0
	s_and_saveexec_b64 s[6:7], vcc
	s_cbranch_execz .LBB112_952
; %bb.1:
	s_load_dwordx2 s[6:7], s[4:5], 0x10
	s_load_dwordx4 s[12:15], s[4:5], 0x0
	s_ashr_i32 s9, s8, 31
	s_lshl_b64 s[4:5], s[8:9], 3
	s_waitcnt lgkmcnt(0)
	s_ashr_i32 s9, s6, 31
	s_add_u32 s4, s14, s4
	s_addc_u32 s5, s15, s5
	s_load_dwordx2 s[4:5], s[4:5], 0x0
	s_mov_b32 s8, s6
	s_lshl_b64 s[8:9], s[8:9], 2
	s_waitcnt lgkmcnt(0)
	s_add_u32 s4, s4, s8
	s_addc_u32 s5, s5, s9
	s_add_i32 s6, s7, s7
	v_add_u32_e32 v4, s6, v0
	v_ashrrev_i32_e32 v5, 31, v4
	v_lshlrev_b64 v[2:3], 2, v[4:5]
	v_add_u32_e32 v6, s7, v4
	v_mov_b32_e32 v1, s5
	v_add_co_u32_e32 v2, vcc, s4, v2
	v_ashrrev_i32_e32 v7, 31, v6
	v_addc_co_u32_e32 v3, vcc, v1, v3, vcc
	v_lshlrev_b64 v[4:5], 2, v[6:7]
	v_add_u32_e32 v8, s7, v6
	v_add_co_u32_e32 v4, vcc, s4, v4
	v_ashrrev_i32_e32 v9, 31, v8
	v_addc_co_u32_e32 v5, vcc, v1, v5, vcc
	v_lshlrev_b64 v[6:7], 2, v[8:9]
	v_add_u32_e32 v10, s7, v8
	;; [unrolled: 5-line block ×41, first 2 shown]
	v_add_co_u32_e32 v84, vcc, s4, v84
	v_ashrrev_i32_e32 v89, 31, v88
	v_add_u32_e32 v90, s7, v88
	v_addc_co_u32_e32 v85, vcc, v1, v85, vcc
	v_lshlrev_b64 v[86:87], 2, v[88:89]
	v_add_u32_e32 v92, s7, v90
	v_add_co_u32_e32 v86, vcc, s4, v86
	v_ashrrev_i32_e32 v91, 31, v90
	v_ashrrev_i32_e32 v93, 31, v92
	v_addc_co_u32_e32 v87, vcc, v1, v87, vcc
	v_lshlrev_b64 v[88:89], 2, v[90:91]
	v_lshlrev_b64 v[90:91], 2, v[92:93]
	v_add_u32_e32 v92, s7, v92
	v_add_co_u32_e32 v88, vcc, s4, v88
	v_ashrrev_i32_e32 v93, 31, v92
	v_addc_co_u32_e32 v89, vcc, v1, v89, vcc
	v_lshlrev_b64 v[98:99], 2, v[92:93]
	v_add_u32_e32 v92, s7, v92
	v_add_co_u32_e32 v90, vcc, s4, v90
	v_ashrrev_i32_e32 v93, 31, v92
	v_addc_co_u32_e32 v91, vcc, v1, v91, vcc
	v_lshlrev_b64 v[92:93], 2, v[92:93]
	v_add_co_u32_e32 v92, vcc, s4, v92
	v_addc_co_u32_e32 v93, vcc, v1, v93, vcc
	v_lshlrev_b32_e32 v1, 2, v0
	v_mov_b32_e32 v95, s5
	v_add_co_u32_e32 v94, vcc, s4, v1
	s_ashr_i32 s9, s7, 31
	s_mov_b32 s8, s7
	v_addc_co_u32_e32 v95, vcc, 0, v95, vcc
	s_lshl_b64 s[6:7], s[8:9], 2
	v_mov_b32_e32 v97, s7
	v_add_co_u32_e32 v96, vcc, s6, v94
	v_addc_co_u32_e32 v97, vcc, v95, v97, vcc
	global_load_dword v101, v1, s[4:5]
	global_load_dword v102, v[96:97], off
	global_load_dword v103, v[2:3], off
	;; [unrolled: 1-line block ×14, first 2 shown]
                                        ; kill: killed $sgpr5
	global_load_dword v116, v[20:21], off
	global_load_dword v117, v[18:19], off
	;; [unrolled: 1-line block ×33, first 2 shown]
	v_mov_b32_e32 v100, s5
	v_add_co_u32_e32 v98, vcc, s4, v98
	v_addc_co_u32_e32 v99, vcc, v100, v99, vcc
	global_load_dword v100, v[98:99], off
	s_cmpk_lg_i32 s13, 0x84
	s_waitcnt vmcnt(48)
	buffer_store_dword v101, off, s[0:3], 0
	s_waitcnt vmcnt(48)
	buffer_store_dword v102, off, s[0:3], 0 offset:4
	s_waitcnt vmcnt(48)
	buffer_store_dword v103, off, s[0:3], 0 offset:8
	;; [unrolled: 2-line block ×11, first 2 shown]
	buffer_store_dword v111, off, s[0:3], 0 offset:48
	buffer_store_dword v112, off, s[0:3], 0 offset:52
	;; [unrolled: 1-line block ×5, first 2 shown]
	s_waitcnt vmcnt(48)
	buffer_store_dword v118, off, s[0:3], 0 offset:68
	s_waitcnt vmcnt(48)
	buffer_store_dword v119, off, s[0:3], 0 offset:72
	s_waitcnt vmcnt(48)
	buffer_store_dword v120, off, s[0:3], 0 offset:76
	s_waitcnt vmcnt(45)
	buffer_store_dword v124, off, s[0:3], 0 offset:84
	s_waitcnt vmcnt(45)
	buffer_store_dword v125, off, s[0:3], 0 offset:80
	buffer_store_dword v122, off, s[0:3], 0 offset:92
	buffer_store_dword v123, off, s[0:3], 0 offset:88
	s_waitcnt vmcnt(47)
	buffer_store_dword v126, off, s[0:3], 0 offset:100
	buffer_store_dword v121, off, s[0:3], 0 offset:96
	s_waitcnt vmcnt(43)
	buffer_store_dword v132, off, s[0:3], 0 offset:108
	s_waitcnt vmcnt(43)
	buffer_store_dword v133, off, s[0:3], 0 offset:104
	buffer_store_dword v130, off, s[0:3], 0 offset:116
	buffer_store_dword v131, off, s[0:3], 0 offset:112
	buffer_store_dword v128, off, s[0:3], 0 offset:124
	buffer_store_dword v129, off, s[0:3], 0 offset:120
	s_waitcnt vmcnt(47)
	buffer_store_dword v134, off, s[0:3], 0 offset:132
	buffer_store_dword v127, off, s[0:3], 0 offset:128
	s_waitcnt vmcnt(43)
	buffer_store_dword v140, off, s[0:3], 0 offset:140
	s_waitcnt vmcnt(43)
	buffer_store_dword v141, off, s[0:3], 0 offset:136
	buffer_store_dword v138, off, s[0:3], 0 offset:148
	buffer_store_dword v139, off, s[0:3], 0 offset:144
	;; [unrolled: 11-line block ×3, first 2 shown]
	s_waitcnt vmcnt(46)
	buffer_store_dword v100, off, s[0:3], 0 offset:188
	buffer_store_dword v144, off, s[0:3], 0 offset:184
	;; [unrolled: 1-line block ×3, first 2 shown]
	s_cselect_b64 s[10:11], -1, 0
	s_cmpk_eq_i32 s13, 0x84
	v_mov_b32_e32 v124, 0
	v_mov_b32_e32 v100, -1.0
	s_cbranch_scc1 .LBB112_3
; %bb.2:
	v_lshl_add_u32 v100, v0, 2, v124
	buffer_load_dword v101, v100, s[0:3], 0 offen
	s_waitcnt vmcnt(0)
	v_div_scale_f32 v102, s[4:5], v101, v101, 1.0
	v_rcp_f32_e32 v103, v102
	v_div_scale_f32 v104, vcc, 1.0, v101, 1.0
	v_fma_f32 v105, -v102, v103, 1.0
	v_fmac_f32_e32 v103, v105, v103
	v_mul_f32_e32 v105, v104, v103
	v_fma_f32 v106, -v102, v105, v104
	v_fmac_f32_e32 v105, v106, v103
	v_fma_f32 v102, -v102, v105, v104
	v_div_fmas_f32 v102, v102, v103, v105
	v_div_fixup_f32 v101, v102, v101, 1.0
	buffer_store_dword v101, v100, s[0:3], 0 offen
	v_xor_b32_e32 v100, 0x80000000, v101
.LBB112_3:
	ds_write_b32 v1, v100
	s_cmpk_eq_i32 s12, 0x79
	v_add_u32_e32 v100, 0xd0, v1
	v_add_u32_e32 v101, 0, v1
	s_mov_b64 s[4:5], -1
	s_cbranch_scc1 .LBB112_477
; %bb.4:
	buffer_load_dword v102, off, s[0:3], 0 offset:188
	v_cmp_eq_u32_e64 s[4:5], 48, v0
	s_waitcnt vmcnt(0)
	ds_write_b32 v100, v102
	s_waitcnt lgkmcnt(0)
	; wave barrier
	s_waitcnt lgkmcnt(0)
	s_and_saveexec_b64 s[6:7], s[4:5]
	s_cbranch_execz .LBB112_10
; %bb.5:
	s_and_b64 vcc, exec, s[10:11]
	s_cbranch_vccz .LBB112_7
; %bb.6:
	buffer_load_dword v102, v101, s[0:3], 0 offen
	ds_read_b32 v103, v100
	s_waitcnt vmcnt(0) lgkmcnt(0)
	v_mul_f32_e32 v102, v102, v103
	s_cbranch_execz .LBB112_8
	s_branch .LBB112_9
.LBB112_7:
                                        ; implicit-def: $vgpr102
.LBB112_8:
	ds_read_b32 v102, v100
.LBB112_9:
	v_mov_b32_e32 v103, 0
	ds_read_b32 v103, v103 offset:188
	s_waitcnt lgkmcnt(0)
	v_mul_f32_e32 v102, v102, v103
	buffer_store_dword v102, off, s[0:3], 0 offset:188
.LBB112_10:
	s_or_b64 exec, exec, s[6:7]
	buffer_load_dword v125, off, s[0:3], 0 offset:184
	v_or_b32_e32 v102, 8, v124
	v_add_u32_e32 v103, 16, v124
	v_add_u32_e32 v104, 24, v124
	;; [unrolled: 1-line block ×22, first 2 shown]
	v_cmp_lt_u32_e64 s[8:9], 46, v0
	s_waitcnt vmcnt(0)
	ds_write_b32 v100, v125
	s_waitcnt lgkmcnt(0)
	; wave barrier
	s_waitcnt lgkmcnt(0)
	s_and_saveexec_b64 s[6:7], s[8:9]
	s_cbranch_execz .LBB112_16
; %bb.11:
	s_andn2_b64 vcc, exec, s[10:11]
	s_cbranch_vccnz .LBB112_13
; %bb.12:
	buffer_load_dword v125, v101, s[0:3], 0 offen
	ds_read_b32 v126, v100
	s_waitcnt vmcnt(0) lgkmcnt(0)
	v_mul_f32_e32 v125, v125, v126
	s_cbranch_execz .LBB112_14
	s_branch .LBB112_15
.LBB112_13:
                                        ; implicit-def: $vgpr125
.LBB112_14:
	ds_read_b32 v125, v100
.LBB112_15:
	buffer_load_dword v128, off, s[0:3], 0 offset:188
	v_mov_b32_e32 v126, 0
	ds_read2_b32 v[126:127], v126 offset0:46 offset1:99
	s_waitcnt vmcnt(0) lgkmcnt(0)
	v_fma_f32 v127, v128, v127, v125
	v_cndmask_b32_e64 v125, v125, v127, s[4:5]
	v_mul_f32_e32 v125, v125, v126
	buffer_store_dword v125, off, s[0:3], 0 offset:184
.LBB112_16:
	s_or_b64 exec, exec, s[6:7]
	buffer_load_dword v125, off, s[0:3], 0 offset:180
	v_cmp_lt_u32_e64 s[6:7], 45, v0
	s_waitcnt vmcnt(0)
	ds_write_b32 v100, v125
	s_waitcnt lgkmcnt(0)
	; wave barrier
	s_waitcnt lgkmcnt(0)
	s_and_saveexec_b64 s[4:5], s[6:7]
	s_cbranch_execz .LBB112_26
; %bb.17:
	s_andn2_b64 vcc, exec, s[10:11]
	s_cbranch_vccnz .LBB112_19
; %bb.18:
	buffer_load_dword v125, v101, s[0:3], 0 offen
	ds_read_b32 v126, v100
	s_waitcnt vmcnt(0) lgkmcnt(0)
	v_mul_f32_e32 v125, v125, v126
	s_cbranch_execz .LBB112_20
	s_branch .LBB112_21
.LBB112_19:
                                        ; implicit-def: $vgpr125
.LBB112_20:
	ds_read_b32 v125, v100
.LBB112_21:
	s_and_saveexec_b64 s[12:13], s[8:9]
	s_cbranch_execz .LBB112_25
; %bb.22:
	v_subrev_u32_e32 v126, 46, v0
	s_movk_i32 s14, 0x188
	s_mov_b64 s[8:9], 0
.LBB112_23:                             ; =>This Inner Loop Header: Depth=1
	buffer_load_dword v127, v124, s[0:3], 0 offen
	v_mov_b32_e32 v128, s14
	ds_read_b32 v128, v128
	v_add_u32_e32 v126, -1, v126
	s_add_i32 s14, s14, 4
	v_cmp_eq_u32_e32 vcc, 0, v126
	v_add_u32_e32 v124, 4, v124
	s_or_b64 s[8:9], vcc, s[8:9]
	s_waitcnt vmcnt(0) lgkmcnt(0)
	v_fmac_f32_e32 v125, v127, v128
	s_andn2_b64 exec, exec, s[8:9]
	s_cbranch_execnz .LBB112_23
; %bb.24:
	s_or_b64 exec, exec, s[8:9]
.LBB112_25:
	s_or_b64 exec, exec, s[12:13]
	v_mov_b32_e32 v124, 0
	ds_read_b32 v124, v124 offset:180
	s_waitcnt lgkmcnt(0)
	v_mul_f32_e32 v124, v125, v124
	buffer_store_dword v124, off, s[0:3], 0 offset:180
.LBB112_26:
	s_or_b64 exec, exec, s[4:5]
	buffer_load_dword v124, off, s[0:3], 0 offset:176
	v_cmp_lt_u32_e64 s[4:5], 44, v0
	s_waitcnt vmcnt(0)
	ds_write_b32 v100, v124
	s_waitcnt lgkmcnt(0)
	; wave barrier
	s_waitcnt lgkmcnt(0)
	s_and_saveexec_b64 s[8:9], s[4:5]
	s_cbranch_execz .LBB112_36
; %bb.27:
	s_andn2_b64 vcc, exec, s[10:11]
	s_cbranch_vccnz .LBB112_29
; %bb.28:
	buffer_load_dword v124, v101, s[0:3], 0 offen
	ds_read_b32 v125, v100
	s_waitcnt vmcnt(0) lgkmcnt(0)
	v_mul_f32_e32 v124, v124, v125
	s_cbranch_execz .LBB112_30
	s_branch .LBB112_31
.LBB112_29:
                                        ; implicit-def: $vgpr124
.LBB112_30:
	ds_read_b32 v124, v100
.LBB112_31:
	s_and_saveexec_b64 s[12:13], s[6:7]
	s_cbranch_execz .LBB112_35
; %bb.32:
	v_mov_b32_e32 v125, 0
	v_add_u32_e32 v125, 0xb4, v125
	v_subrev_u32_e32 v126, 45, v0
	s_movk_i32 s14, 0x184
	s_mov_b64 s[6:7], 0
.LBB112_33:                             ; =>This Inner Loop Header: Depth=1
	buffer_load_dword v127, v125, s[0:3], 0 offen
	v_mov_b32_e32 v128, s14
	ds_read_b32 v128, v128
	v_add_u32_e32 v126, -1, v126
	s_add_i32 s14, s14, 4
	v_cmp_eq_u32_e32 vcc, 0, v126
	v_add_u32_e32 v125, 4, v125
	s_or_b64 s[6:7], vcc, s[6:7]
	s_waitcnt vmcnt(0) lgkmcnt(0)
	v_fmac_f32_e32 v124, v127, v128
	s_andn2_b64 exec, exec, s[6:7]
	s_cbranch_execnz .LBB112_33
; %bb.34:
	s_or_b64 exec, exec, s[6:7]
.LBB112_35:
	s_or_b64 exec, exec, s[12:13]
	v_mov_b32_e32 v125, 0
	ds_read_b32 v125, v125 offset:176
	s_waitcnt lgkmcnt(0)
	v_mul_f32_e32 v124, v124, v125
	buffer_store_dword v124, off, s[0:3], 0 offset:176
.LBB112_36:
	s_or_b64 exec, exec, s[8:9]
	buffer_load_dword v124, off, s[0:3], 0 offset:172
	v_cmp_lt_u32_e64 s[6:7], 43, v0
	s_waitcnt vmcnt(0)
	ds_write_b32 v100, v124
	s_waitcnt lgkmcnt(0)
	; wave barrier
	s_waitcnt lgkmcnt(0)
	s_and_saveexec_b64 s[8:9], s[6:7]
	s_cbranch_execz .LBB112_46
; %bb.37:
	s_andn2_b64 vcc, exec, s[10:11]
	s_cbranch_vccnz .LBB112_39
; %bb.38:
	buffer_load_dword v124, v101, s[0:3], 0 offen
	ds_read_b32 v125, v100
	s_waitcnt vmcnt(0) lgkmcnt(0)
	v_mul_f32_e32 v124, v124, v125
	s_cbranch_execz .LBB112_40
	s_branch .LBB112_41
.LBB112_39:
                                        ; implicit-def: $vgpr124
.LBB112_40:
	ds_read_b32 v124, v100
.LBB112_41:
	s_and_saveexec_b64 s[12:13], s[4:5]
	s_cbranch_execz .LBB112_45
; %bb.42:
	v_subrev_u32_e32 v125, 44, v0
	s_movk_i32 s14, 0x180
	s_mov_b64 s[4:5], 0
.LBB112_43:                             ; =>This Inner Loop Header: Depth=1
	buffer_load_dword v126, v123, s[0:3], 0 offen
	v_mov_b32_e32 v127, s14
	ds_read_b32 v127, v127
	v_add_u32_e32 v125, -1, v125
	s_add_i32 s14, s14, 4
	v_cmp_eq_u32_e32 vcc, 0, v125
	v_add_u32_e32 v123, 4, v123
	s_or_b64 s[4:5], vcc, s[4:5]
	s_waitcnt vmcnt(0) lgkmcnt(0)
	v_fmac_f32_e32 v124, v126, v127
	s_andn2_b64 exec, exec, s[4:5]
	s_cbranch_execnz .LBB112_43
; %bb.44:
	s_or_b64 exec, exec, s[4:5]
.LBB112_45:
	s_or_b64 exec, exec, s[12:13]
	v_mov_b32_e32 v123, 0
	ds_read_b32 v123, v123 offset:172
	s_waitcnt lgkmcnt(0)
	v_mul_f32_e32 v123, v124, v123
	buffer_store_dword v123, off, s[0:3], 0 offset:172
.LBB112_46:
	s_or_b64 exec, exec, s[8:9]
	buffer_load_dword v123, off, s[0:3], 0 offset:168
	v_cmp_lt_u32_e64 s[4:5], 42, v0
	s_waitcnt vmcnt(0)
	ds_write_b32 v100, v123
	s_waitcnt lgkmcnt(0)
	; wave barrier
	s_waitcnt lgkmcnt(0)
	s_and_saveexec_b64 s[8:9], s[4:5]
	s_cbranch_execz .LBB112_56
; %bb.47:
	s_andn2_b64 vcc, exec, s[10:11]
	s_cbranch_vccnz .LBB112_49
; %bb.48:
	buffer_load_dword v123, v101, s[0:3], 0 offen
	ds_read_b32 v124, v100
	s_waitcnt vmcnt(0) lgkmcnt(0)
	v_mul_f32_e32 v123, v123, v124
	s_cbranch_execz .LBB112_50
	s_branch .LBB112_51
.LBB112_49:
                                        ; implicit-def: $vgpr123
.LBB112_50:
	ds_read_b32 v123, v100
.LBB112_51:
	s_and_saveexec_b64 s[12:13], s[6:7]
	s_cbranch_execz .LBB112_55
; %bb.52:
	v_mov_b32_e32 v124, 0
	v_add_u32_e32 v124, 0xac, v124
	v_subrev_u32_e32 v125, 43, v0
	s_movk_i32 s14, 0x17c
	s_mov_b64 s[6:7], 0
.LBB112_53:                             ; =>This Inner Loop Header: Depth=1
	buffer_load_dword v126, v124, s[0:3], 0 offen
	v_mov_b32_e32 v127, s14
	ds_read_b32 v127, v127
	v_add_u32_e32 v125, -1, v125
	s_add_i32 s14, s14, 4
	v_cmp_eq_u32_e32 vcc, 0, v125
	v_add_u32_e32 v124, 4, v124
	s_or_b64 s[6:7], vcc, s[6:7]
	s_waitcnt vmcnt(0) lgkmcnt(0)
	v_fmac_f32_e32 v123, v126, v127
	s_andn2_b64 exec, exec, s[6:7]
	s_cbranch_execnz .LBB112_53
; %bb.54:
	s_or_b64 exec, exec, s[6:7]
.LBB112_55:
	s_or_b64 exec, exec, s[12:13]
	v_mov_b32_e32 v124, 0
	ds_read_b32 v124, v124 offset:168
	s_waitcnt lgkmcnt(0)
	v_mul_f32_e32 v123, v123, v124
	buffer_store_dword v123, off, s[0:3], 0 offset:168
.LBB112_56:
	s_or_b64 exec, exec, s[8:9]
	buffer_load_dword v123, off, s[0:3], 0 offset:164
	v_cmp_lt_u32_e64 s[6:7], 41, v0
	s_waitcnt vmcnt(0)
	ds_write_b32 v100, v123
	s_waitcnt lgkmcnt(0)
	; wave barrier
	s_waitcnt lgkmcnt(0)
	s_and_saveexec_b64 s[8:9], s[6:7]
	s_cbranch_execz .LBB112_66
; %bb.57:
	s_andn2_b64 vcc, exec, s[10:11]
	s_cbranch_vccnz .LBB112_59
; %bb.58:
	buffer_load_dword v123, v101, s[0:3], 0 offen
	ds_read_b32 v124, v100
	s_waitcnt vmcnt(0) lgkmcnt(0)
	v_mul_f32_e32 v123, v123, v124
	s_cbranch_execz .LBB112_60
	s_branch .LBB112_61
.LBB112_59:
                                        ; implicit-def: $vgpr123
.LBB112_60:
	ds_read_b32 v123, v100
.LBB112_61:
	s_and_saveexec_b64 s[12:13], s[4:5]
	s_cbranch_execz .LBB112_65
; %bb.62:
	v_subrev_u32_e32 v124, 42, v0
	s_movk_i32 s14, 0x178
	s_mov_b64 s[4:5], 0
.LBB112_63:                             ; =>This Inner Loop Header: Depth=1
	buffer_load_dword v125, v122, s[0:3], 0 offen
	v_mov_b32_e32 v126, s14
	ds_read_b32 v126, v126
	v_add_u32_e32 v124, -1, v124
	s_add_i32 s14, s14, 4
	v_cmp_eq_u32_e32 vcc, 0, v124
	v_add_u32_e32 v122, 4, v122
	s_or_b64 s[4:5], vcc, s[4:5]
	s_waitcnt vmcnt(0) lgkmcnt(0)
	v_fmac_f32_e32 v123, v125, v126
	s_andn2_b64 exec, exec, s[4:5]
	s_cbranch_execnz .LBB112_63
; %bb.64:
	s_or_b64 exec, exec, s[4:5]
.LBB112_65:
	s_or_b64 exec, exec, s[12:13]
	v_mov_b32_e32 v122, 0
	ds_read_b32 v122, v122 offset:164
	s_waitcnt lgkmcnt(0)
	v_mul_f32_e32 v122, v123, v122
	buffer_store_dword v122, off, s[0:3], 0 offset:164
.LBB112_66:
	s_or_b64 exec, exec, s[8:9]
	buffer_load_dword v122, off, s[0:3], 0 offset:160
	v_cmp_lt_u32_e64 s[4:5], 40, v0
	s_waitcnt vmcnt(0)
	ds_write_b32 v100, v122
	s_waitcnt lgkmcnt(0)
	; wave barrier
	s_waitcnt lgkmcnt(0)
	s_and_saveexec_b64 s[8:9], s[4:5]
	s_cbranch_execz .LBB112_76
; %bb.67:
	s_andn2_b64 vcc, exec, s[10:11]
	s_cbranch_vccnz .LBB112_69
; %bb.68:
	buffer_load_dword v122, v101, s[0:3], 0 offen
	ds_read_b32 v123, v100
	s_waitcnt vmcnt(0) lgkmcnt(0)
	v_mul_f32_e32 v122, v122, v123
	s_cbranch_execz .LBB112_70
	s_branch .LBB112_71
.LBB112_69:
                                        ; implicit-def: $vgpr122
.LBB112_70:
	ds_read_b32 v122, v100
.LBB112_71:
	s_and_saveexec_b64 s[12:13], s[6:7]
	s_cbranch_execz .LBB112_75
; %bb.72:
	v_mov_b32_e32 v123, 0
	v_add_u32_e32 v123, 0xa4, v123
	v_subrev_u32_e32 v124, 41, v0
	s_movk_i32 s14, 0x174
	s_mov_b64 s[6:7], 0
.LBB112_73:                             ; =>This Inner Loop Header: Depth=1
	buffer_load_dword v125, v123, s[0:3], 0 offen
	v_mov_b32_e32 v126, s14
	ds_read_b32 v126, v126
	v_add_u32_e32 v124, -1, v124
	s_add_i32 s14, s14, 4
	v_cmp_eq_u32_e32 vcc, 0, v124
	v_add_u32_e32 v123, 4, v123
	s_or_b64 s[6:7], vcc, s[6:7]
	s_waitcnt vmcnt(0) lgkmcnt(0)
	v_fmac_f32_e32 v122, v125, v126
	s_andn2_b64 exec, exec, s[6:7]
	s_cbranch_execnz .LBB112_73
; %bb.74:
	s_or_b64 exec, exec, s[6:7]
.LBB112_75:
	s_or_b64 exec, exec, s[12:13]
	v_mov_b32_e32 v123, 0
	ds_read_b32 v123, v123 offset:160
	s_waitcnt lgkmcnt(0)
	v_mul_f32_e32 v122, v122, v123
	buffer_store_dword v122, off, s[0:3], 0 offset:160
.LBB112_76:
	s_or_b64 exec, exec, s[8:9]
	buffer_load_dword v122, off, s[0:3], 0 offset:156
	v_cmp_lt_u32_e64 s[6:7], 39, v0
	s_waitcnt vmcnt(0)
	ds_write_b32 v100, v122
	s_waitcnt lgkmcnt(0)
	; wave barrier
	s_waitcnt lgkmcnt(0)
	s_and_saveexec_b64 s[8:9], s[6:7]
	s_cbranch_execz .LBB112_86
; %bb.77:
	s_andn2_b64 vcc, exec, s[10:11]
	s_cbranch_vccnz .LBB112_79
; %bb.78:
	buffer_load_dword v122, v101, s[0:3], 0 offen
	ds_read_b32 v123, v100
	s_waitcnt vmcnt(0) lgkmcnt(0)
	v_mul_f32_e32 v122, v122, v123
	s_cbranch_execz .LBB112_80
	s_branch .LBB112_81
.LBB112_79:
                                        ; implicit-def: $vgpr122
.LBB112_80:
	ds_read_b32 v122, v100
.LBB112_81:
	s_and_saveexec_b64 s[12:13], s[4:5]
	s_cbranch_execz .LBB112_85
; %bb.82:
	v_subrev_u32_e32 v123, 40, v0
	s_movk_i32 s14, 0x170
	s_mov_b64 s[4:5], 0
.LBB112_83:                             ; =>This Inner Loop Header: Depth=1
	buffer_load_dword v124, v121, s[0:3], 0 offen
	v_mov_b32_e32 v125, s14
	ds_read_b32 v125, v125
	v_add_u32_e32 v123, -1, v123
	s_add_i32 s14, s14, 4
	v_cmp_eq_u32_e32 vcc, 0, v123
	v_add_u32_e32 v121, 4, v121
	s_or_b64 s[4:5], vcc, s[4:5]
	s_waitcnt vmcnt(0) lgkmcnt(0)
	v_fmac_f32_e32 v122, v124, v125
	s_andn2_b64 exec, exec, s[4:5]
	s_cbranch_execnz .LBB112_83
; %bb.84:
	s_or_b64 exec, exec, s[4:5]
.LBB112_85:
	s_or_b64 exec, exec, s[12:13]
	v_mov_b32_e32 v121, 0
	ds_read_b32 v121, v121 offset:156
	s_waitcnt lgkmcnt(0)
	v_mul_f32_e32 v121, v122, v121
	buffer_store_dword v121, off, s[0:3], 0 offset:156
.LBB112_86:
	s_or_b64 exec, exec, s[8:9]
	buffer_load_dword v121, off, s[0:3], 0 offset:152
	v_cmp_lt_u32_e64 s[4:5], 38, v0
	s_waitcnt vmcnt(0)
	ds_write_b32 v100, v121
	s_waitcnt lgkmcnt(0)
	; wave barrier
	s_waitcnt lgkmcnt(0)
	s_and_saveexec_b64 s[8:9], s[4:5]
	s_cbranch_execz .LBB112_96
; %bb.87:
	s_andn2_b64 vcc, exec, s[10:11]
	s_cbranch_vccnz .LBB112_89
; %bb.88:
	buffer_load_dword v121, v101, s[0:3], 0 offen
	ds_read_b32 v122, v100
	s_waitcnt vmcnt(0) lgkmcnt(0)
	v_mul_f32_e32 v121, v121, v122
	s_cbranch_execz .LBB112_90
	s_branch .LBB112_91
.LBB112_89:
                                        ; implicit-def: $vgpr121
.LBB112_90:
	ds_read_b32 v121, v100
.LBB112_91:
	s_and_saveexec_b64 s[12:13], s[6:7]
	s_cbranch_execz .LBB112_95
; %bb.92:
	v_mov_b32_e32 v122, 0
	v_add_u32_e32 v122, 0x9c, v122
	v_subrev_u32_e32 v123, 39, v0
	s_movk_i32 s14, 0x16c
	s_mov_b64 s[6:7], 0
.LBB112_93:                             ; =>This Inner Loop Header: Depth=1
	buffer_load_dword v124, v122, s[0:3], 0 offen
	v_mov_b32_e32 v125, s14
	ds_read_b32 v125, v125
	v_add_u32_e32 v123, -1, v123
	s_add_i32 s14, s14, 4
	v_cmp_eq_u32_e32 vcc, 0, v123
	v_add_u32_e32 v122, 4, v122
	s_or_b64 s[6:7], vcc, s[6:7]
	s_waitcnt vmcnt(0) lgkmcnt(0)
	v_fmac_f32_e32 v121, v124, v125
	s_andn2_b64 exec, exec, s[6:7]
	s_cbranch_execnz .LBB112_93
; %bb.94:
	s_or_b64 exec, exec, s[6:7]
.LBB112_95:
	s_or_b64 exec, exec, s[12:13]
	v_mov_b32_e32 v122, 0
	ds_read_b32 v122, v122 offset:152
	s_waitcnt lgkmcnt(0)
	v_mul_f32_e32 v121, v121, v122
	buffer_store_dword v121, off, s[0:3], 0 offset:152
.LBB112_96:
	s_or_b64 exec, exec, s[8:9]
	buffer_load_dword v121, off, s[0:3], 0 offset:148
	v_cmp_lt_u32_e64 s[6:7], 37, v0
	s_waitcnt vmcnt(0)
	ds_write_b32 v100, v121
	s_waitcnt lgkmcnt(0)
	; wave barrier
	s_waitcnt lgkmcnt(0)
	s_and_saveexec_b64 s[8:9], s[6:7]
	s_cbranch_execz .LBB112_106
; %bb.97:
	s_andn2_b64 vcc, exec, s[10:11]
	s_cbranch_vccnz .LBB112_99
; %bb.98:
	buffer_load_dword v121, v101, s[0:3], 0 offen
	ds_read_b32 v122, v100
	s_waitcnt vmcnt(0) lgkmcnt(0)
	v_mul_f32_e32 v121, v121, v122
	s_cbranch_execz .LBB112_100
	s_branch .LBB112_101
.LBB112_99:
                                        ; implicit-def: $vgpr121
.LBB112_100:
	ds_read_b32 v121, v100
.LBB112_101:
	s_and_saveexec_b64 s[12:13], s[4:5]
	s_cbranch_execz .LBB112_105
; %bb.102:
	v_subrev_u32_e32 v122, 38, v0
	s_movk_i32 s14, 0x168
	s_mov_b64 s[4:5], 0
.LBB112_103:                            ; =>This Inner Loop Header: Depth=1
	buffer_load_dword v123, v120, s[0:3], 0 offen
	v_mov_b32_e32 v124, s14
	ds_read_b32 v124, v124
	v_add_u32_e32 v122, -1, v122
	s_add_i32 s14, s14, 4
	v_cmp_eq_u32_e32 vcc, 0, v122
	v_add_u32_e32 v120, 4, v120
	s_or_b64 s[4:5], vcc, s[4:5]
	s_waitcnt vmcnt(0) lgkmcnt(0)
	v_fmac_f32_e32 v121, v123, v124
	s_andn2_b64 exec, exec, s[4:5]
	s_cbranch_execnz .LBB112_103
; %bb.104:
	s_or_b64 exec, exec, s[4:5]
.LBB112_105:
	s_or_b64 exec, exec, s[12:13]
	v_mov_b32_e32 v120, 0
	ds_read_b32 v120, v120 offset:148
	s_waitcnt lgkmcnt(0)
	v_mul_f32_e32 v120, v121, v120
	buffer_store_dword v120, off, s[0:3], 0 offset:148
.LBB112_106:
	s_or_b64 exec, exec, s[8:9]
	buffer_load_dword v120, off, s[0:3], 0 offset:144
	v_cmp_lt_u32_e64 s[4:5], 36, v0
	s_waitcnt vmcnt(0)
	ds_write_b32 v100, v120
	s_waitcnt lgkmcnt(0)
	; wave barrier
	s_waitcnt lgkmcnt(0)
	s_and_saveexec_b64 s[8:9], s[4:5]
	s_cbranch_execz .LBB112_116
; %bb.107:
	s_andn2_b64 vcc, exec, s[10:11]
	s_cbranch_vccnz .LBB112_109
; %bb.108:
	buffer_load_dword v120, v101, s[0:3], 0 offen
	ds_read_b32 v121, v100
	s_waitcnt vmcnt(0) lgkmcnt(0)
	v_mul_f32_e32 v120, v120, v121
	s_cbranch_execz .LBB112_110
	s_branch .LBB112_111
.LBB112_109:
                                        ; implicit-def: $vgpr120
.LBB112_110:
	ds_read_b32 v120, v100
.LBB112_111:
	s_and_saveexec_b64 s[12:13], s[6:7]
	s_cbranch_execz .LBB112_115
; %bb.112:
	v_mov_b32_e32 v121, 0
	v_add_u32_e32 v121, 0x94, v121
	v_subrev_u32_e32 v122, 37, v0
	s_movk_i32 s14, 0x164
	s_mov_b64 s[6:7], 0
.LBB112_113:                            ; =>This Inner Loop Header: Depth=1
	buffer_load_dword v123, v121, s[0:3], 0 offen
	v_mov_b32_e32 v124, s14
	ds_read_b32 v124, v124
	v_add_u32_e32 v122, -1, v122
	s_add_i32 s14, s14, 4
	v_cmp_eq_u32_e32 vcc, 0, v122
	v_add_u32_e32 v121, 4, v121
	s_or_b64 s[6:7], vcc, s[6:7]
	s_waitcnt vmcnt(0) lgkmcnt(0)
	v_fmac_f32_e32 v120, v123, v124
	s_andn2_b64 exec, exec, s[6:7]
	s_cbranch_execnz .LBB112_113
; %bb.114:
	s_or_b64 exec, exec, s[6:7]
.LBB112_115:
	s_or_b64 exec, exec, s[12:13]
	v_mov_b32_e32 v121, 0
	ds_read_b32 v121, v121 offset:144
	s_waitcnt lgkmcnt(0)
	v_mul_f32_e32 v120, v120, v121
	buffer_store_dword v120, off, s[0:3], 0 offset:144
.LBB112_116:
	s_or_b64 exec, exec, s[8:9]
	buffer_load_dword v120, off, s[0:3], 0 offset:140
	v_cmp_lt_u32_e64 s[6:7], 35, v0
	s_waitcnt vmcnt(0)
	ds_write_b32 v100, v120
	s_waitcnt lgkmcnt(0)
	; wave barrier
	s_waitcnt lgkmcnt(0)
	s_and_saveexec_b64 s[8:9], s[6:7]
	s_cbranch_execz .LBB112_126
; %bb.117:
	s_andn2_b64 vcc, exec, s[10:11]
	s_cbranch_vccnz .LBB112_119
; %bb.118:
	buffer_load_dword v120, v101, s[0:3], 0 offen
	ds_read_b32 v121, v100
	s_waitcnt vmcnt(0) lgkmcnt(0)
	v_mul_f32_e32 v120, v120, v121
	s_cbranch_execz .LBB112_120
	s_branch .LBB112_121
.LBB112_119:
                                        ; implicit-def: $vgpr120
.LBB112_120:
	ds_read_b32 v120, v100
.LBB112_121:
	s_and_saveexec_b64 s[12:13], s[4:5]
	s_cbranch_execz .LBB112_125
; %bb.122:
	v_subrev_u32_e32 v121, 36, v0
	s_movk_i32 s14, 0x160
	s_mov_b64 s[4:5], 0
.LBB112_123:                            ; =>This Inner Loop Header: Depth=1
	buffer_load_dword v122, v119, s[0:3], 0 offen
	v_mov_b32_e32 v123, s14
	ds_read_b32 v123, v123
	v_add_u32_e32 v121, -1, v121
	s_add_i32 s14, s14, 4
	v_cmp_eq_u32_e32 vcc, 0, v121
	v_add_u32_e32 v119, 4, v119
	s_or_b64 s[4:5], vcc, s[4:5]
	s_waitcnt vmcnt(0) lgkmcnt(0)
	v_fmac_f32_e32 v120, v122, v123
	s_andn2_b64 exec, exec, s[4:5]
	s_cbranch_execnz .LBB112_123
; %bb.124:
	s_or_b64 exec, exec, s[4:5]
.LBB112_125:
	s_or_b64 exec, exec, s[12:13]
	v_mov_b32_e32 v119, 0
	ds_read_b32 v119, v119 offset:140
	s_waitcnt lgkmcnt(0)
	v_mul_f32_e32 v119, v120, v119
	buffer_store_dword v119, off, s[0:3], 0 offset:140
.LBB112_126:
	s_or_b64 exec, exec, s[8:9]
	buffer_load_dword v119, off, s[0:3], 0 offset:136
	v_cmp_lt_u32_e64 s[4:5], 34, v0
	s_waitcnt vmcnt(0)
	ds_write_b32 v100, v119
	s_waitcnt lgkmcnt(0)
	; wave barrier
	s_waitcnt lgkmcnt(0)
	s_and_saveexec_b64 s[8:9], s[4:5]
	s_cbranch_execz .LBB112_136
; %bb.127:
	s_andn2_b64 vcc, exec, s[10:11]
	s_cbranch_vccnz .LBB112_129
; %bb.128:
	buffer_load_dword v119, v101, s[0:3], 0 offen
	ds_read_b32 v120, v100
	s_waitcnt vmcnt(0) lgkmcnt(0)
	v_mul_f32_e32 v119, v119, v120
	s_cbranch_execz .LBB112_130
	s_branch .LBB112_131
.LBB112_129:
                                        ; implicit-def: $vgpr119
.LBB112_130:
	ds_read_b32 v119, v100
.LBB112_131:
	s_and_saveexec_b64 s[12:13], s[6:7]
	s_cbranch_execz .LBB112_135
; %bb.132:
	v_mov_b32_e32 v120, 0
	v_add_u32_e32 v120, 0x8c, v120
	v_subrev_u32_e32 v121, 35, v0
	s_movk_i32 s14, 0x15c
	s_mov_b64 s[6:7], 0
.LBB112_133:                            ; =>This Inner Loop Header: Depth=1
	buffer_load_dword v122, v120, s[0:3], 0 offen
	v_mov_b32_e32 v123, s14
	ds_read_b32 v123, v123
	v_add_u32_e32 v121, -1, v121
	s_add_i32 s14, s14, 4
	v_cmp_eq_u32_e32 vcc, 0, v121
	v_add_u32_e32 v120, 4, v120
	s_or_b64 s[6:7], vcc, s[6:7]
	s_waitcnt vmcnt(0) lgkmcnt(0)
	v_fmac_f32_e32 v119, v122, v123
	s_andn2_b64 exec, exec, s[6:7]
	s_cbranch_execnz .LBB112_133
; %bb.134:
	s_or_b64 exec, exec, s[6:7]
.LBB112_135:
	s_or_b64 exec, exec, s[12:13]
	v_mov_b32_e32 v120, 0
	ds_read_b32 v120, v120 offset:136
	s_waitcnt lgkmcnt(0)
	v_mul_f32_e32 v119, v119, v120
	buffer_store_dword v119, off, s[0:3], 0 offset:136
.LBB112_136:
	s_or_b64 exec, exec, s[8:9]
	buffer_load_dword v119, off, s[0:3], 0 offset:132
	v_cmp_lt_u32_e64 s[6:7], 33, v0
	s_waitcnt vmcnt(0)
	ds_write_b32 v100, v119
	s_waitcnt lgkmcnt(0)
	; wave barrier
	s_waitcnt lgkmcnt(0)
	s_and_saveexec_b64 s[8:9], s[6:7]
	s_cbranch_execz .LBB112_146
; %bb.137:
	s_andn2_b64 vcc, exec, s[10:11]
	s_cbranch_vccnz .LBB112_139
; %bb.138:
	buffer_load_dword v119, v101, s[0:3], 0 offen
	ds_read_b32 v120, v100
	s_waitcnt vmcnt(0) lgkmcnt(0)
	v_mul_f32_e32 v119, v119, v120
	s_cbranch_execz .LBB112_140
	s_branch .LBB112_141
.LBB112_139:
                                        ; implicit-def: $vgpr119
.LBB112_140:
	ds_read_b32 v119, v100
.LBB112_141:
	s_and_saveexec_b64 s[12:13], s[4:5]
	s_cbranch_execz .LBB112_145
; %bb.142:
	v_subrev_u32_e32 v120, 34, v0
	s_movk_i32 s14, 0x158
	s_mov_b64 s[4:5], 0
.LBB112_143:                            ; =>This Inner Loop Header: Depth=1
	buffer_load_dword v121, v118, s[0:3], 0 offen
	v_mov_b32_e32 v122, s14
	ds_read_b32 v122, v122
	v_add_u32_e32 v120, -1, v120
	s_add_i32 s14, s14, 4
	v_cmp_eq_u32_e32 vcc, 0, v120
	v_add_u32_e32 v118, 4, v118
	s_or_b64 s[4:5], vcc, s[4:5]
	s_waitcnt vmcnt(0) lgkmcnt(0)
	v_fmac_f32_e32 v119, v121, v122
	s_andn2_b64 exec, exec, s[4:5]
	s_cbranch_execnz .LBB112_143
; %bb.144:
	s_or_b64 exec, exec, s[4:5]
.LBB112_145:
	s_or_b64 exec, exec, s[12:13]
	v_mov_b32_e32 v118, 0
	ds_read_b32 v118, v118 offset:132
	s_waitcnt lgkmcnt(0)
	v_mul_f32_e32 v118, v119, v118
	buffer_store_dword v118, off, s[0:3], 0 offset:132
.LBB112_146:
	s_or_b64 exec, exec, s[8:9]
	buffer_load_dword v118, off, s[0:3], 0 offset:128
	v_cmp_lt_u32_e64 s[4:5], 32, v0
	s_waitcnt vmcnt(0)
	ds_write_b32 v100, v118
	s_waitcnt lgkmcnt(0)
	; wave barrier
	s_waitcnt lgkmcnt(0)
	s_and_saveexec_b64 s[8:9], s[4:5]
	s_cbranch_execz .LBB112_156
; %bb.147:
	s_andn2_b64 vcc, exec, s[10:11]
	s_cbranch_vccnz .LBB112_149
; %bb.148:
	buffer_load_dword v118, v101, s[0:3], 0 offen
	ds_read_b32 v119, v100
	s_waitcnt vmcnt(0) lgkmcnt(0)
	v_mul_f32_e32 v118, v118, v119
	s_cbranch_execz .LBB112_150
	s_branch .LBB112_151
.LBB112_149:
                                        ; implicit-def: $vgpr118
.LBB112_150:
	ds_read_b32 v118, v100
.LBB112_151:
	s_and_saveexec_b64 s[12:13], s[6:7]
	s_cbranch_execz .LBB112_155
; %bb.152:
	v_mov_b32_e32 v119, 0
	v_add_u32_e32 v119, 0x84, v119
	v_subrev_u32_e32 v120, 33, v0
	s_movk_i32 s14, 0x154
	s_mov_b64 s[6:7], 0
.LBB112_153:                            ; =>This Inner Loop Header: Depth=1
	buffer_load_dword v121, v119, s[0:3], 0 offen
	v_mov_b32_e32 v122, s14
	ds_read_b32 v122, v122
	v_add_u32_e32 v120, -1, v120
	s_add_i32 s14, s14, 4
	v_cmp_eq_u32_e32 vcc, 0, v120
	v_add_u32_e32 v119, 4, v119
	s_or_b64 s[6:7], vcc, s[6:7]
	s_waitcnt vmcnt(0) lgkmcnt(0)
	v_fmac_f32_e32 v118, v121, v122
	s_andn2_b64 exec, exec, s[6:7]
	s_cbranch_execnz .LBB112_153
; %bb.154:
	s_or_b64 exec, exec, s[6:7]
.LBB112_155:
	s_or_b64 exec, exec, s[12:13]
	v_mov_b32_e32 v119, 0
	ds_read_b32 v119, v119 offset:128
	s_waitcnt lgkmcnt(0)
	v_mul_f32_e32 v118, v118, v119
	buffer_store_dword v118, off, s[0:3], 0 offset:128
.LBB112_156:
	s_or_b64 exec, exec, s[8:9]
	buffer_load_dword v118, off, s[0:3], 0 offset:124
	v_cmp_lt_u32_e64 s[6:7], 31, v0
	s_waitcnt vmcnt(0)
	ds_write_b32 v100, v118
	s_waitcnt lgkmcnt(0)
	; wave barrier
	s_waitcnt lgkmcnt(0)
	s_and_saveexec_b64 s[8:9], s[6:7]
	s_cbranch_execz .LBB112_166
; %bb.157:
	s_andn2_b64 vcc, exec, s[10:11]
	s_cbranch_vccnz .LBB112_159
; %bb.158:
	buffer_load_dword v118, v101, s[0:3], 0 offen
	ds_read_b32 v119, v100
	s_waitcnt vmcnt(0) lgkmcnt(0)
	v_mul_f32_e32 v118, v118, v119
	s_cbranch_execz .LBB112_160
	s_branch .LBB112_161
.LBB112_159:
                                        ; implicit-def: $vgpr118
.LBB112_160:
	ds_read_b32 v118, v100
.LBB112_161:
	s_and_saveexec_b64 s[12:13], s[4:5]
	s_cbranch_execz .LBB112_165
; %bb.162:
	v_subrev_u32_e32 v119, 32, v0
	s_movk_i32 s14, 0x150
	s_mov_b64 s[4:5], 0
.LBB112_163:                            ; =>This Inner Loop Header: Depth=1
	buffer_load_dword v120, v117, s[0:3], 0 offen
	v_mov_b32_e32 v121, s14
	ds_read_b32 v121, v121
	v_add_u32_e32 v119, -1, v119
	s_add_i32 s14, s14, 4
	v_cmp_eq_u32_e32 vcc, 0, v119
	v_add_u32_e32 v117, 4, v117
	s_or_b64 s[4:5], vcc, s[4:5]
	s_waitcnt vmcnt(0) lgkmcnt(0)
	v_fmac_f32_e32 v118, v120, v121
	s_andn2_b64 exec, exec, s[4:5]
	s_cbranch_execnz .LBB112_163
; %bb.164:
	s_or_b64 exec, exec, s[4:5]
.LBB112_165:
	s_or_b64 exec, exec, s[12:13]
	v_mov_b32_e32 v117, 0
	ds_read_b32 v117, v117 offset:124
	s_waitcnt lgkmcnt(0)
	v_mul_f32_e32 v117, v118, v117
	buffer_store_dword v117, off, s[0:3], 0 offset:124
.LBB112_166:
	s_or_b64 exec, exec, s[8:9]
	buffer_load_dword v117, off, s[0:3], 0 offset:120
	v_cmp_lt_u32_e64 s[4:5], 30, v0
	s_waitcnt vmcnt(0)
	ds_write_b32 v100, v117
	s_waitcnt lgkmcnt(0)
	; wave barrier
	s_waitcnt lgkmcnt(0)
	s_and_saveexec_b64 s[8:9], s[4:5]
	s_cbranch_execz .LBB112_176
; %bb.167:
	s_andn2_b64 vcc, exec, s[10:11]
	s_cbranch_vccnz .LBB112_169
; %bb.168:
	buffer_load_dword v117, v101, s[0:3], 0 offen
	ds_read_b32 v118, v100
	s_waitcnt vmcnt(0) lgkmcnt(0)
	v_mul_f32_e32 v117, v117, v118
	s_cbranch_execz .LBB112_170
	s_branch .LBB112_171
.LBB112_169:
                                        ; implicit-def: $vgpr117
.LBB112_170:
	ds_read_b32 v117, v100
.LBB112_171:
	s_and_saveexec_b64 s[12:13], s[6:7]
	s_cbranch_execz .LBB112_175
; %bb.172:
	v_mov_b32_e32 v118, 0
	v_add_u32_e32 v118, 0x7c, v118
	v_subrev_u32_e32 v119, 31, v0
	s_movk_i32 s14, 0x14c
	s_mov_b64 s[6:7], 0
.LBB112_173:                            ; =>This Inner Loop Header: Depth=1
	buffer_load_dword v120, v118, s[0:3], 0 offen
	v_mov_b32_e32 v121, s14
	ds_read_b32 v121, v121
	v_add_u32_e32 v119, -1, v119
	s_add_i32 s14, s14, 4
	v_cmp_eq_u32_e32 vcc, 0, v119
	v_add_u32_e32 v118, 4, v118
	s_or_b64 s[6:7], vcc, s[6:7]
	s_waitcnt vmcnt(0) lgkmcnt(0)
	v_fmac_f32_e32 v117, v120, v121
	s_andn2_b64 exec, exec, s[6:7]
	s_cbranch_execnz .LBB112_173
; %bb.174:
	s_or_b64 exec, exec, s[6:7]
.LBB112_175:
	s_or_b64 exec, exec, s[12:13]
	v_mov_b32_e32 v118, 0
	ds_read_b32 v118, v118 offset:120
	s_waitcnt lgkmcnt(0)
	v_mul_f32_e32 v117, v117, v118
	buffer_store_dword v117, off, s[0:3], 0 offset:120
.LBB112_176:
	s_or_b64 exec, exec, s[8:9]
	buffer_load_dword v117, off, s[0:3], 0 offset:116
	v_cmp_lt_u32_e64 s[6:7], 29, v0
	s_waitcnt vmcnt(0)
	ds_write_b32 v100, v117
	s_waitcnt lgkmcnt(0)
	; wave barrier
	s_waitcnt lgkmcnt(0)
	s_and_saveexec_b64 s[8:9], s[6:7]
	s_cbranch_execz .LBB112_186
; %bb.177:
	s_andn2_b64 vcc, exec, s[10:11]
	s_cbranch_vccnz .LBB112_179
; %bb.178:
	buffer_load_dword v117, v101, s[0:3], 0 offen
	ds_read_b32 v118, v100
	s_waitcnt vmcnt(0) lgkmcnt(0)
	v_mul_f32_e32 v117, v117, v118
	s_cbranch_execz .LBB112_180
	s_branch .LBB112_181
.LBB112_179:
                                        ; implicit-def: $vgpr117
.LBB112_180:
	ds_read_b32 v117, v100
.LBB112_181:
	s_and_saveexec_b64 s[12:13], s[4:5]
	s_cbranch_execz .LBB112_185
; %bb.182:
	v_subrev_u32_e32 v118, 30, v0
	s_movk_i32 s14, 0x148
	s_mov_b64 s[4:5], 0
.LBB112_183:                            ; =>This Inner Loop Header: Depth=1
	buffer_load_dword v119, v116, s[0:3], 0 offen
	v_mov_b32_e32 v120, s14
	ds_read_b32 v120, v120
	v_add_u32_e32 v118, -1, v118
	s_add_i32 s14, s14, 4
	v_cmp_eq_u32_e32 vcc, 0, v118
	v_add_u32_e32 v116, 4, v116
	s_or_b64 s[4:5], vcc, s[4:5]
	s_waitcnt vmcnt(0) lgkmcnt(0)
	v_fmac_f32_e32 v117, v119, v120
	s_andn2_b64 exec, exec, s[4:5]
	s_cbranch_execnz .LBB112_183
; %bb.184:
	s_or_b64 exec, exec, s[4:5]
.LBB112_185:
	s_or_b64 exec, exec, s[12:13]
	v_mov_b32_e32 v116, 0
	ds_read_b32 v116, v116 offset:116
	s_waitcnt lgkmcnt(0)
	v_mul_f32_e32 v116, v117, v116
	buffer_store_dword v116, off, s[0:3], 0 offset:116
.LBB112_186:
	s_or_b64 exec, exec, s[8:9]
	buffer_load_dword v116, off, s[0:3], 0 offset:112
	v_cmp_lt_u32_e64 s[4:5], 28, v0
	s_waitcnt vmcnt(0)
	ds_write_b32 v100, v116
	s_waitcnt lgkmcnt(0)
	; wave barrier
	s_waitcnt lgkmcnt(0)
	s_and_saveexec_b64 s[8:9], s[4:5]
	s_cbranch_execz .LBB112_196
; %bb.187:
	s_andn2_b64 vcc, exec, s[10:11]
	s_cbranch_vccnz .LBB112_189
; %bb.188:
	buffer_load_dword v116, v101, s[0:3], 0 offen
	ds_read_b32 v117, v100
	s_waitcnt vmcnt(0) lgkmcnt(0)
	v_mul_f32_e32 v116, v116, v117
	s_cbranch_execz .LBB112_190
	s_branch .LBB112_191
.LBB112_189:
                                        ; implicit-def: $vgpr116
.LBB112_190:
	ds_read_b32 v116, v100
.LBB112_191:
	s_and_saveexec_b64 s[12:13], s[6:7]
	s_cbranch_execz .LBB112_195
; %bb.192:
	v_mov_b32_e32 v117, 0
	v_add_u32_e32 v117, 0x74, v117
	v_subrev_u32_e32 v118, 29, v0
	s_movk_i32 s14, 0x144
	s_mov_b64 s[6:7], 0
.LBB112_193:                            ; =>This Inner Loop Header: Depth=1
	buffer_load_dword v119, v117, s[0:3], 0 offen
	v_mov_b32_e32 v120, s14
	ds_read_b32 v120, v120
	v_add_u32_e32 v118, -1, v118
	s_add_i32 s14, s14, 4
	v_cmp_eq_u32_e32 vcc, 0, v118
	v_add_u32_e32 v117, 4, v117
	s_or_b64 s[6:7], vcc, s[6:7]
	s_waitcnt vmcnt(0) lgkmcnt(0)
	v_fmac_f32_e32 v116, v119, v120
	s_andn2_b64 exec, exec, s[6:7]
	s_cbranch_execnz .LBB112_193
; %bb.194:
	s_or_b64 exec, exec, s[6:7]
.LBB112_195:
	s_or_b64 exec, exec, s[12:13]
	v_mov_b32_e32 v117, 0
	ds_read_b32 v117, v117 offset:112
	s_waitcnt lgkmcnt(0)
	v_mul_f32_e32 v116, v116, v117
	buffer_store_dword v116, off, s[0:3], 0 offset:112
.LBB112_196:
	s_or_b64 exec, exec, s[8:9]
	buffer_load_dword v116, off, s[0:3], 0 offset:108
	v_cmp_lt_u32_e64 s[6:7], 27, v0
	s_waitcnt vmcnt(0)
	ds_write_b32 v100, v116
	s_waitcnt lgkmcnt(0)
	; wave barrier
	s_waitcnt lgkmcnt(0)
	s_and_saveexec_b64 s[8:9], s[6:7]
	s_cbranch_execz .LBB112_206
; %bb.197:
	s_andn2_b64 vcc, exec, s[10:11]
	s_cbranch_vccnz .LBB112_199
; %bb.198:
	buffer_load_dword v116, v101, s[0:3], 0 offen
	ds_read_b32 v117, v100
	s_waitcnt vmcnt(0) lgkmcnt(0)
	v_mul_f32_e32 v116, v116, v117
	s_cbranch_execz .LBB112_200
	s_branch .LBB112_201
.LBB112_199:
                                        ; implicit-def: $vgpr116
.LBB112_200:
	ds_read_b32 v116, v100
.LBB112_201:
	s_and_saveexec_b64 s[12:13], s[4:5]
	s_cbranch_execz .LBB112_205
; %bb.202:
	v_subrev_u32_e32 v117, 28, v0
	s_movk_i32 s14, 0x140
	s_mov_b64 s[4:5], 0
.LBB112_203:                            ; =>This Inner Loop Header: Depth=1
	buffer_load_dword v118, v115, s[0:3], 0 offen
	v_mov_b32_e32 v119, s14
	ds_read_b32 v119, v119
	v_add_u32_e32 v117, -1, v117
	s_add_i32 s14, s14, 4
	v_cmp_eq_u32_e32 vcc, 0, v117
	v_add_u32_e32 v115, 4, v115
	s_or_b64 s[4:5], vcc, s[4:5]
	s_waitcnt vmcnt(0) lgkmcnt(0)
	v_fmac_f32_e32 v116, v118, v119
	s_andn2_b64 exec, exec, s[4:5]
	s_cbranch_execnz .LBB112_203
; %bb.204:
	s_or_b64 exec, exec, s[4:5]
.LBB112_205:
	s_or_b64 exec, exec, s[12:13]
	v_mov_b32_e32 v115, 0
	ds_read_b32 v115, v115 offset:108
	s_waitcnt lgkmcnt(0)
	v_mul_f32_e32 v115, v116, v115
	buffer_store_dword v115, off, s[0:3], 0 offset:108
.LBB112_206:
	s_or_b64 exec, exec, s[8:9]
	buffer_load_dword v115, off, s[0:3], 0 offset:104
	v_cmp_lt_u32_e64 s[4:5], 26, v0
	s_waitcnt vmcnt(0)
	ds_write_b32 v100, v115
	s_waitcnt lgkmcnt(0)
	; wave barrier
	s_waitcnt lgkmcnt(0)
	s_and_saveexec_b64 s[8:9], s[4:5]
	s_cbranch_execz .LBB112_216
; %bb.207:
	s_andn2_b64 vcc, exec, s[10:11]
	s_cbranch_vccnz .LBB112_209
; %bb.208:
	buffer_load_dword v115, v101, s[0:3], 0 offen
	ds_read_b32 v116, v100
	s_waitcnt vmcnt(0) lgkmcnt(0)
	v_mul_f32_e32 v115, v115, v116
	s_cbranch_execz .LBB112_210
	s_branch .LBB112_211
.LBB112_209:
                                        ; implicit-def: $vgpr115
.LBB112_210:
	ds_read_b32 v115, v100
.LBB112_211:
	s_and_saveexec_b64 s[12:13], s[6:7]
	s_cbranch_execz .LBB112_215
; %bb.212:
	v_mov_b32_e32 v116, 0
	v_add_u32_e32 v116, 0x6c, v116
	v_subrev_u32_e32 v117, 27, v0
	s_movk_i32 s14, 0x13c
	s_mov_b64 s[6:7], 0
.LBB112_213:                            ; =>This Inner Loop Header: Depth=1
	buffer_load_dword v118, v116, s[0:3], 0 offen
	v_mov_b32_e32 v119, s14
	ds_read_b32 v119, v119
	v_add_u32_e32 v117, -1, v117
	s_add_i32 s14, s14, 4
	v_cmp_eq_u32_e32 vcc, 0, v117
	v_add_u32_e32 v116, 4, v116
	s_or_b64 s[6:7], vcc, s[6:7]
	s_waitcnt vmcnt(0) lgkmcnt(0)
	v_fmac_f32_e32 v115, v118, v119
	s_andn2_b64 exec, exec, s[6:7]
	s_cbranch_execnz .LBB112_213
; %bb.214:
	s_or_b64 exec, exec, s[6:7]
.LBB112_215:
	s_or_b64 exec, exec, s[12:13]
	v_mov_b32_e32 v116, 0
	ds_read_b32 v116, v116 offset:104
	s_waitcnt lgkmcnt(0)
	v_mul_f32_e32 v115, v115, v116
	buffer_store_dword v115, off, s[0:3], 0 offset:104
.LBB112_216:
	s_or_b64 exec, exec, s[8:9]
	buffer_load_dword v115, off, s[0:3], 0 offset:100
	v_cmp_lt_u32_e64 s[6:7], 25, v0
	s_waitcnt vmcnt(0)
	ds_write_b32 v100, v115
	s_waitcnt lgkmcnt(0)
	; wave barrier
	s_waitcnt lgkmcnt(0)
	s_and_saveexec_b64 s[8:9], s[6:7]
	s_cbranch_execz .LBB112_226
; %bb.217:
	s_andn2_b64 vcc, exec, s[10:11]
	s_cbranch_vccnz .LBB112_219
; %bb.218:
	buffer_load_dword v115, v101, s[0:3], 0 offen
	ds_read_b32 v116, v100
	s_waitcnt vmcnt(0) lgkmcnt(0)
	v_mul_f32_e32 v115, v115, v116
	s_cbranch_execz .LBB112_220
	s_branch .LBB112_221
.LBB112_219:
                                        ; implicit-def: $vgpr115
.LBB112_220:
	ds_read_b32 v115, v100
.LBB112_221:
	s_and_saveexec_b64 s[12:13], s[4:5]
	s_cbranch_execz .LBB112_225
; %bb.222:
	v_subrev_u32_e32 v116, 26, v0
	s_movk_i32 s14, 0x138
	s_mov_b64 s[4:5], 0
.LBB112_223:                            ; =>This Inner Loop Header: Depth=1
	buffer_load_dword v117, v114, s[0:3], 0 offen
	v_mov_b32_e32 v118, s14
	ds_read_b32 v118, v118
	v_add_u32_e32 v116, -1, v116
	s_add_i32 s14, s14, 4
	v_cmp_eq_u32_e32 vcc, 0, v116
	v_add_u32_e32 v114, 4, v114
	s_or_b64 s[4:5], vcc, s[4:5]
	s_waitcnt vmcnt(0) lgkmcnt(0)
	v_fmac_f32_e32 v115, v117, v118
	s_andn2_b64 exec, exec, s[4:5]
	s_cbranch_execnz .LBB112_223
; %bb.224:
	s_or_b64 exec, exec, s[4:5]
.LBB112_225:
	s_or_b64 exec, exec, s[12:13]
	v_mov_b32_e32 v114, 0
	ds_read_b32 v114, v114 offset:100
	s_waitcnt lgkmcnt(0)
	v_mul_f32_e32 v114, v115, v114
	buffer_store_dword v114, off, s[0:3], 0 offset:100
.LBB112_226:
	s_or_b64 exec, exec, s[8:9]
	buffer_load_dword v114, off, s[0:3], 0 offset:96
	v_cmp_lt_u32_e64 s[4:5], 24, v0
	s_waitcnt vmcnt(0)
	ds_write_b32 v100, v114
	s_waitcnt lgkmcnt(0)
	; wave barrier
	s_waitcnt lgkmcnt(0)
	s_and_saveexec_b64 s[8:9], s[4:5]
	s_cbranch_execz .LBB112_236
; %bb.227:
	s_andn2_b64 vcc, exec, s[10:11]
	s_cbranch_vccnz .LBB112_229
; %bb.228:
	buffer_load_dword v114, v101, s[0:3], 0 offen
	ds_read_b32 v115, v100
	s_waitcnt vmcnt(0) lgkmcnt(0)
	v_mul_f32_e32 v114, v114, v115
	s_cbranch_execz .LBB112_230
	s_branch .LBB112_231
.LBB112_229:
                                        ; implicit-def: $vgpr114
.LBB112_230:
	ds_read_b32 v114, v100
.LBB112_231:
	s_and_saveexec_b64 s[12:13], s[6:7]
	s_cbranch_execz .LBB112_235
; %bb.232:
	v_mov_b32_e32 v115, 0
	v_add_u32_e32 v115, 0x64, v115
	v_subrev_u32_e32 v116, 25, v0
	s_movk_i32 s14, 0x134
	s_mov_b64 s[6:7], 0
.LBB112_233:                            ; =>This Inner Loop Header: Depth=1
	buffer_load_dword v117, v115, s[0:3], 0 offen
	v_mov_b32_e32 v118, s14
	ds_read_b32 v118, v118
	v_add_u32_e32 v116, -1, v116
	s_add_i32 s14, s14, 4
	v_cmp_eq_u32_e32 vcc, 0, v116
	v_add_u32_e32 v115, 4, v115
	s_or_b64 s[6:7], vcc, s[6:7]
	s_waitcnt vmcnt(0) lgkmcnt(0)
	v_fmac_f32_e32 v114, v117, v118
	s_andn2_b64 exec, exec, s[6:7]
	s_cbranch_execnz .LBB112_233
; %bb.234:
	s_or_b64 exec, exec, s[6:7]
.LBB112_235:
	s_or_b64 exec, exec, s[12:13]
	v_mov_b32_e32 v115, 0
	ds_read_b32 v115, v115 offset:96
	s_waitcnt lgkmcnt(0)
	v_mul_f32_e32 v114, v114, v115
	buffer_store_dword v114, off, s[0:3], 0 offset:96
.LBB112_236:
	s_or_b64 exec, exec, s[8:9]
	buffer_load_dword v114, off, s[0:3], 0 offset:92
	v_cmp_lt_u32_e64 s[6:7], 23, v0
	s_waitcnt vmcnt(0)
	ds_write_b32 v100, v114
	s_waitcnt lgkmcnt(0)
	; wave barrier
	s_waitcnt lgkmcnt(0)
	s_and_saveexec_b64 s[8:9], s[6:7]
	s_cbranch_execz .LBB112_246
; %bb.237:
	s_andn2_b64 vcc, exec, s[10:11]
	s_cbranch_vccnz .LBB112_239
; %bb.238:
	buffer_load_dword v114, v101, s[0:3], 0 offen
	ds_read_b32 v115, v100
	s_waitcnt vmcnt(0) lgkmcnt(0)
	v_mul_f32_e32 v114, v114, v115
	s_cbranch_execz .LBB112_240
	s_branch .LBB112_241
.LBB112_239:
                                        ; implicit-def: $vgpr114
.LBB112_240:
	ds_read_b32 v114, v100
.LBB112_241:
	s_and_saveexec_b64 s[12:13], s[4:5]
	s_cbranch_execz .LBB112_245
; %bb.242:
	v_subrev_u32_e32 v115, 24, v0
	s_movk_i32 s14, 0x130
	s_mov_b64 s[4:5], 0
.LBB112_243:                            ; =>This Inner Loop Header: Depth=1
	buffer_load_dword v116, v113, s[0:3], 0 offen
	v_mov_b32_e32 v117, s14
	ds_read_b32 v117, v117
	v_add_u32_e32 v115, -1, v115
	s_add_i32 s14, s14, 4
	v_cmp_eq_u32_e32 vcc, 0, v115
	v_add_u32_e32 v113, 4, v113
	s_or_b64 s[4:5], vcc, s[4:5]
	s_waitcnt vmcnt(0) lgkmcnt(0)
	v_fmac_f32_e32 v114, v116, v117
	s_andn2_b64 exec, exec, s[4:5]
	s_cbranch_execnz .LBB112_243
; %bb.244:
	s_or_b64 exec, exec, s[4:5]
.LBB112_245:
	s_or_b64 exec, exec, s[12:13]
	v_mov_b32_e32 v113, 0
	ds_read_b32 v113, v113 offset:92
	s_waitcnt lgkmcnt(0)
	v_mul_f32_e32 v113, v114, v113
	buffer_store_dword v113, off, s[0:3], 0 offset:92
.LBB112_246:
	s_or_b64 exec, exec, s[8:9]
	buffer_load_dword v113, off, s[0:3], 0 offset:88
	v_cmp_lt_u32_e64 s[4:5], 22, v0
	s_waitcnt vmcnt(0)
	ds_write_b32 v100, v113
	s_waitcnt lgkmcnt(0)
	; wave barrier
	s_waitcnt lgkmcnt(0)
	s_and_saveexec_b64 s[8:9], s[4:5]
	s_cbranch_execz .LBB112_256
; %bb.247:
	s_andn2_b64 vcc, exec, s[10:11]
	s_cbranch_vccnz .LBB112_249
; %bb.248:
	buffer_load_dword v113, v101, s[0:3], 0 offen
	ds_read_b32 v114, v100
	s_waitcnt vmcnt(0) lgkmcnt(0)
	v_mul_f32_e32 v113, v113, v114
	s_cbranch_execz .LBB112_250
	s_branch .LBB112_251
.LBB112_249:
                                        ; implicit-def: $vgpr113
.LBB112_250:
	ds_read_b32 v113, v100
.LBB112_251:
	s_and_saveexec_b64 s[12:13], s[6:7]
	s_cbranch_execz .LBB112_255
; %bb.252:
	v_mov_b32_e32 v114, 0
	v_add_u32_e32 v114, 0x5c, v114
	v_subrev_u32_e32 v115, 23, v0
	s_movk_i32 s14, 0x12c
	s_mov_b64 s[6:7], 0
.LBB112_253:                            ; =>This Inner Loop Header: Depth=1
	buffer_load_dword v116, v114, s[0:3], 0 offen
	v_mov_b32_e32 v117, s14
	ds_read_b32 v117, v117
	v_add_u32_e32 v115, -1, v115
	s_add_i32 s14, s14, 4
	v_cmp_eq_u32_e32 vcc, 0, v115
	v_add_u32_e32 v114, 4, v114
	s_or_b64 s[6:7], vcc, s[6:7]
	s_waitcnt vmcnt(0) lgkmcnt(0)
	v_fmac_f32_e32 v113, v116, v117
	s_andn2_b64 exec, exec, s[6:7]
	s_cbranch_execnz .LBB112_253
; %bb.254:
	s_or_b64 exec, exec, s[6:7]
.LBB112_255:
	s_or_b64 exec, exec, s[12:13]
	v_mov_b32_e32 v114, 0
	ds_read_b32 v114, v114 offset:88
	s_waitcnt lgkmcnt(0)
	v_mul_f32_e32 v113, v113, v114
	buffer_store_dword v113, off, s[0:3], 0 offset:88
.LBB112_256:
	s_or_b64 exec, exec, s[8:9]
	buffer_load_dword v113, off, s[0:3], 0 offset:84
	v_cmp_lt_u32_e64 s[6:7], 21, v0
	s_waitcnt vmcnt(0)
	ds_write_b32 v100, v113
	s_waitcnt lgkmcnt(0)
	; wave barrier
	s_waitcnt lgkmcnt(0)
	s_and_saveexec_b64 s[8:9], s[6:7]
	s_cbranch_execz .LBB112_266
; %bb.257:
	s_andn2_b64 vcc, exec, s[10:11]
	s_cbranch_vccnz .LBB112_259
; %bb.258:
	buffer_load_dword v113, v101, s[0:3], 0 offen
	ds_read_b32 v114, v100
	s_waitcnt vmcnt(0) lgkmcnt(0)
	v_mul_f32_e32 v113, v113, v114
	s_cbranch_execz .LBB112_260
	s_branch .LBB112_261
.LBB112_259:
                                        ; implicit-def: $vgpr113
.LBB112_260:
	ds_read_b32 v113, v100
.LBB112_261:
	s_and_saveexec_b64 s[12:13], s[4:5]
	s_cbranch_execz .LBB112_265
; %bb.262:
	v_subrev_u32_e32 v114, 22, v0
	s_movk_i32 s14, 0x128
	s_mov_b64 s[4:5], 0
.LBB112_263:                            ; =>This Inner Loop Header: Depth=1
	buffer_load_dword v115, v112, s[0:3], 0 offen
	v_mov_b32_e32 v116, s14
	ds_read_b32 v116, v116
	v_add_u32_e32 v114, -1, v114
	s_add_i32 s14, s14, 4
	v_cmp_eq_u32_e32 vcc, 0, v114
	v_add_u32_e32 v112, 4, v112
	s_or_b64 s[4:5], vcc, s[4:5]
	s_waitcnt vmcnt(0) lgkmcnt(0)
	v_fmac_f32_e32 v113, v115, v116
	s_andn2_b64 exec, exec, s[4:5]
	s_cbranch_execnz .LBB112_263
; %bb.264:
	s_or_b64 exec, exec, s[4:5]
.LBB112_265:
	s_or_b64 exec, exec, s[12:13]
	v_mov_b32_e32 v112, 0
	ds_read_b32 v112, v112 offset:84
	s_waitcnt lgkmcnt(0)
	v_mul_f32_e32 v112, v113, v112
	buffer_store_dword v112, off, s[0:3], 0 offset:84
.LBB112_266:
	s_or_b64 exec, exec, s[8:9]
	buffer_load_dword v112, off, s[0:3], 0 offset:80
	v_cmp_lt_u32_e64 s[4:5], 20, v0
	s_waitcnt vmcnt(0)
	ds_write_b32 v100, v112
	s_waitcnt lgkmcnt(0)
	; wave barrier
	s_waitcnt lgkmcnt(0)
	s_and_saveexec_b64 s[8:9], s[4:5]
	s_cbranch_execz .LBB112_276
; %bb.267:
	s_andn2_b64 vcc, exec, s[10:11]
	s_cbranch_vccnz .LBB112_269
; %bb.268:
	buffer_load_dword v112, v101, s[0:3], 0 offen
	ds_read_b32 v113, v100
	s_waitcnt vmcnt(0) lgkmcnt(0)
	v_mul_f32_e32 v112, v112, v113
	s_cbranch_execz .LBB112_270
	s_branch .LBB112_271
.LBB112_269:
                                        ; implicit-def: $vgpr112
.LBB112_270:
	ds_read_b32 v112, v100
.LBB112_271:
	s_and_saveexec_b64 s[12:13], s[6:7]
	s_cbranch_execz .LBB112_275
; %bb.272:
	v_mov_b32_e32 v113, 0
	v_add_u32_e32 v113, 0x54, v113
	v_subrev_u32_e32 v114, 21, v0
	s_movk_i32 s14, 0x124
	s_mov_b64 s[6:7], 0
.LBB112_273:                            ; =>This Inner Loop Header: Depth=1
	buffer_load_dword v115, v113, s[0:3], 0 offen
	v_mov_b32_e32 v116, s14
	ds_read_b32 v116, v116
	v_add_u32_e32 v114, -1, v114
	s_add_i32 s14, s14, 4
	v_cmp_eq_u32_e32 vcc, 0, v114
	v_add_u32_e32 v113, 4, v113
	s_or_b64 s[6:7], vcc, s[6:7]
	s_waitcnt vmcnt(0) lgkmcnt(0)
	v_fmac_f32_e32 v112, v115, v116
	s_andn2_b64 exec, exec, s[6:7]
	s_cbranch_execnz .LBB112_273
; %bb.274:
	s_or_b64 exec, exec, s[6:7]
.LBB112_275:
	s_or_b64 exec, exec, s[12:13]
	v_mov_b32_e32 v113, 0
	ds_read_b32 v113, v113 offset:80
	s_waitcnt lgkmcnt(0)
	v_mul_f32_e32 v112, v112, v113
	buffer_store_dword v112, off, s[0:3], 0 offset:80
.LBB112_276:
	s_or_b64 exec, exec, s[8:9]
	buffer_load_dword v112, off, s[0:3], 0 offset:76
	v_cmp_lt_u32_e64 s[6:7], 19, v0
	s_waitcnt vmcnt(0)
	ds_write_b32 v100, v112
	s_waitcnt lgkmcnt(0)
	; wave barrier
	s_waitcnt lgkmcnt(0)
	s_and_saveexec_b64 s[8:9], s[6:7]
	s_cbranch_execz .LBB112_286
; %bb.277:
	s_andn2_b64 vcc, exec, s[10:11]
	s_cbranch_vccnz .LBB112_279
; %bb.278:
	buffer_load_dword v112, v101, s[0:3], 0 offen
	ds_read_b32 v113, v100
	s_waitcnt vmcnt(0) lgkmcnt(0)
	v_mul_f32_e32 v112, v112, v113
	s_cbranch_execz .LBB112_280
	s_branch .LBB112_281
.LBB112_279:
                                        ; implicit-def: $vgpr112
.LBB112_280:
	ds_read_b32 v112, v100
.LBB112_281:
	s_and_saveexec_b64 s[12:13], s[4:5]
	s_cbranch_execz .LBB112_285
; %bb.282:
	v_subrev_u32_e32 v113, 20, v0
	s_movk_i32 s14, 0x120
	s_mov_b64 s[4:5], 0
.LBB112_283:                            ; =>This Inner Loop Header: Depth=1
	buffer_load_dword v114, v111, s[0:3], 0 offen
	v_mov_b32_e32 v115, s14
	ds_read_b32 v115, v115
	v_add_u32_e32 v113, -1, v113
	s_add_i32 s14, s14, 4
	v_cmp_eq_u32_e32 vcc, 0, v113
	v_add_u32_e32 v111, 4, v111
	s_or_b64 s[4:5], vcc, s[4:5]
	s_waitcnt vmcnt(0) lgkmcnt(0)
	v_fmac_f32_e32 v112, v114, v115
	s_andn2_b64 exec, exec, s[4:5]
	s_cbranch_execnz .LBB112_283
; %bb.284:
	s_or_b64 exec, exec, s[4:5]
.LBB112_285:
	s_or_b64 exec, exec, s[12:13]
	v_mov_b32_e32 v111, 0
	ds_read_b32 v111, v111 offset:76
	s_waitcnt lgkmcnt(0)
	v_mul_f32_e32 v111, v112, v111
	buffer_store_dword v111, off, s[0:3], 0 offset:76
.LBB112_286:
	s_or_b64 exec, exec, s[8:9]
	buffer_load_dword v111, off, s[0:3], 0 offset:72
	v_cmp_lt_u32_e64 s[4:5], 18, v0
	s_waitcnt vmcnt(0)
	ds_write_b32 v100, v111
	s_waitcnt lgkmcnt(0)
	; wave barrier
	s_waitcnt lgkmcnt(0)
	s_and_saveexec_b64 s[8:9], s[4:5]
	s_cbranch_execz .LBB112_296
; %bb.287:
	s_andn2_b64 vcc, exec, s[10:11]
	s_cbranch_vccnz .LBB112_289
; %bb.288:
	buffer_load_dword v111, v101, s[0:3], 0 offen
	ds_read_b32 v112, v100
	s_waitcnt vmcnt(0) lgkmcnt(0)
	v_mul_f32_e32 v111, v111, v112
	s_cbranch_execz .LBB112_290
	s_branch .LBB112_291
.LBB112_289:
                                        ; implicit-def: $vgpr111
.LBB112_290:
	ds_read_b32 v111, v100
.LBB112_291:
	s_and_saveexec_b64 s[12:13], s[6:7]
	s_cbranch_execz .LBB112_295
; %bb.292:
	v_mov_b32_e32 v112, 0
	v_add_u32_e32 v112, 0x4c, v112
	v_subrev_u32_e32 v113, 19, v0
	s_movk_i32 s14, 0x11c
	s_mov_b64 s[6:7], 0
.LBB112_293:                            ; =>This Inner Loop Header: Depth=1
	buffer_load_dword v114, v112, s[0:3], 0 offen
	v_mov_b32_e32 v115, s14
	ds_read_b32 v115, v115
	v_add_u32_e32 v113, -1, v113
	s_add_i32 s14, s14, 4
	v_cmp_eq_u32_e32 vcc, 0, v113
	v_add_u32_e32 v112, 4, v112
	s_or_b64 s[6:7], vcc, s[6:7]
	s_waitcnt vmcnt(0) lgkmcnt(0)
	v_fmac_f32_e32 v111, v114, v115
	s_andn2_b64 exec, exec, s[6:7]
	s_cbranch_execnz .LBB112_293
; %bb.294:
	s_or_b64 exec, exec, s[6:7]
.LBB112_295:
	s_or_b64 exec, exec, s[12:13]
	v_mov_b32_e32 v112, 0
	ds_read_b32 v112, v112 offset:72
	s_waitcnt lgkmcnt(0)
	v_mul_f32_e32 v111, v111, v112
	buffer_store_dword v111, off, s[0:3], 0 offset:72
.LBB112_296:
	s_or_b64 exec, exec, s[8:9]
	buffer_load_dword v111, off, s[0:3], 0 offset:68
	v_cmp_lt_u32_e64 s[6:7], 17, v0
	s_waitcnt vmcnt(0)
	ds_write_b32 v100, v111
	s_waitcnt lgkmcnt(0)
	; wave barrier
	s_waitcnt lgkmcnt(0)
	s_and_saveexec_b64 s[8:9], s[6:7]
	s_cbranch_execz .LBB112_306
; %bb.297:
	s_andn2_b64 vcc, exec, s[10:11]
	s_cbranch_vccnz .LBB112_299
; %bb.298:
	buffer_load_dword v111, v101, s[0:3], 0 offen
	ds_read_b32 v112, v100
	s_waitcnt vmcnt(0) lgkmcnt(0)
	v_mul_f32_e32 v111, v111, v112
	s_cbranch_execz .LBB112_300
	s_branch .LBB112_301
.LBB112_299:
                                        ; implicit-def: $vgpr111
.LBB112_300:
	ds_read_b32 v111, v100
.LBB112_301:
	s_and_saveexec_b64 s[12:13], s[4:5]
	s_cbranch_execz .LBB112_305
; %bb.302:
	v_subrev_u32_e32 v112, 18, v0
	s_movk_i32 s14, 0x118
	s_mov_b64 s[4:5], 0
.LBB112_303:                            ; =>This Inner Loop Header: Depth=1
	buffer_load_dword v113, v110, s[0:3], 0 offen
	v_mov_b32_e32 v114, s14
	ds_read_b32 v114, v114
	v_add_u32_e32 v112, -1, v112
	s_add_i32 s14, s14, 4
	v_cmp_eq_u32_e32 vcc, 0, v112
	v_add_u32_e32 v110, 4, v110
	s_or_b64 s[4:5], vcc, s[4:5]
	s_waitcnt vmcnt(0) lgkmcnt(0)
	v_fmac_f32_e32 v111, v113, v114
	s_andn2_b64 exec, exec, s[4:5]
	s_cbranch_execnz .LBB112_303
; %bb.304:
	s_or_b64 exec, exec, s[4:5]
.LBB112_305:
	s_or_b64 exec, exec, s[12:13]
	v_mov_b32_e32 v110, 0
	ds_read_b32 v110, v110 offset:68
	s_waitcnt lgkmcnt(0)
	v_mul_f32_e32 v110, v111, v110
	buffer_store_dword v110, off, s[0:3], 0 offset:68
.LBB112_306:
	s_or_b64 exec, exec, s[8:9]
	buffer_load_dword v110, off, s[0:3], 0 offset:64
	v_cmp_lt_u32_e64 s[4:5], 16, v0
	s_waitcnt vmcnt(0)
	ds_write_b32 v100, v110
	s_waitcnt lgkmcnt(0)
	; wave barrier
	s_waitcnt lgkmcnt(0)
	s_and_saveexec_b64 s[8:9], s[4:5]
	s_cbranch_execz .LBB112_316
; %bb.307:
	s_andn2_b64 vcc, exec, s[10:11]
	s_cbranch_vccnz .LBB112_309
; %bb.308:
	buffer_load_dword v110, v101, s[0:3], 0 offen
	ds_read_b32 v111, v100
	s_waitcnt vmcnt(0) lgkmcnt(0)
	v_mul_f32_e32 v110, v110, v111
	s_cbranch_execz .LBB112_310
	s_branch .LBB112_311
.LBB112_309:
                                        ; implicit-def: $vgpr110
.LBB112_310:
	ds_read_b32 v110, v100
.LBB112_311:
	s_and_saveexec_b64 s[12:13], s[6:7]
	s_cbranch_execz .LBB112_315
; %bb.312:
	v_mov_b32_e32 v111, 0
	v_add_u32_e32 v111, 0x44, v111
	v_subrev_u32_e32 v112, 17, v0
	s_movk_i32 s14, 0x114
	s_mov_b64 s[6:7], 0
.LBB112_313:                            ; =>This Inner Loop Header: Depth=1
	buffer_load_dword v113, v111, s[0:3], 0 offen
	v_mov_b32_e32 v114, s14
	ds_read_b32 v114, v114
	v_add_u32_e32 v112, -1, v112
	s_add_i32 s14, s14, 4
	v_cmp_eq_u32_e32 vcc, 0, v112
	v_add_u32_e32 v111, 4, v111
	s_or_b64 s[6:7], vcc, s[6:7]
	s_waitcnt vmcnt(0) lgkmcnt(0)
	v_fmac_f32_e32 v110, v113, v114
	s_andn2_b64 exec, exec, s[6:7]
	s_cbranch_execnz .LBB112_313
; %bb.314:
	s_or_b64 exec, exec, s[6:7]
.LBB112_315:
	s_or_b64 exec, exec, s[12:13]
	v_mov_b32_e32 v111, 0
	ds_read_b32 v111, v111 offset:64
	s_waitcnt lgkmcnt(0)
	v_mul_f32_e32 v110, v110, v111
	buffer_store_dword v110, off, s[0:3], 0 offset:64
.LBB112_316:
	s_or_b64 exec, exec, s[8:9]
	buffer_load_dword v110, off, s[0:3], 0 offset:60
	v_cmp_lt_u32_e64 s[6:7], 15, v0
	s_waitcnt vmcnt(0)
	ds_write_b32 v100, v110
	s_waitcnt lgkmcnt(0)
	; wave barrier
	s_waitcnt lgkmcnt(0)
	s_and_saveexec_b64 s[8:9], s[6:7]
	s_cbranch_execz .LBB112_326
; %bb.317:
	s_andn2_b64 vcc, exec, s[10:11]
	s_cbranch_vccnz .LBB112_319
; %bb.318:
	buffer_load_dword v110, v101, s[0:3], 0 offen
	ds_read_b32 v111, v100
	s_waitcnt vmcnt(0) lgkmcnt(0)
	v_mul_f32_e32 v110, v110, v111
	s_cbranch_execz .LBB112_320
	s_branch .LBB112_321
.LBB112_319:
                                        ; implicit-def: $vgpr110
.LBB112_320:
	ds_read_b32 v110, v100
.LBB112_321:
	s_and_saveexec_b64 s[12:13], s[4:5]
	s_cbranch_execz .LBB112_325
; %bb.322:
	v_add_u32_e32 v111, -16, v0
	s_movk_i32 s14, 0x110
	s_mov_b64 s[4:5], 0
.LBB112_323:                            ; =>This Inner Loop Header: Depth=1
	buffer_load_dword v112, v109, s[0:3], 0 offen
	v_mov_b32_e32 v113, s14
	ds_read_b32 v113, v113
	v_add_u32_e32 v111, -1, v111
	s_add_i32 s14, s14, 4
	v_cmp_eq_u32_e32 vcc, 0, v111
	v_add_u32_e32 v109, 4, v109
	s_or_b64 s[4:5], vcc, s[4:5]
	s_waitcnt vmcnt(0) lgkmcnt(0)
	v_fmac_f32_e32 v110, v112, v113
	s_andn2_b64 exec, exec, s[4:5]
	s_cbranch_execnz .LBB112_323
; %bb.324:
	s_or_b64 exec, exec, s[4:5]
.LBB112_325:
	s_or_b64 exec, exec, s[12:13]
	v_mov_b32_e32 v109, 0
	ds_read_b32 v109, v109 offset:60
	s_waitcnt lgkmcnt(0)
	v_mul_f32_e32 v109, v110, v109
	buffer_store_dword v109, off, s[0:3], 0 offset:60
.LBB112_326:
	s_or_b64 exec, exec, s[8:9]
	buffer_load_dword v109, off, s[0:3], 0 offset:56
	v_cmp_lt_u32_e64 s[4:5], 14, v0
	s_waitcnt vmcnt(0)
	ds_write_b32 v100, v109
	s_waitcnt lgkmcnt(0)
	; wave barrier
	s_waitcnt lgkmcnt(0)
	s_and_saveexec_b64 s[8:9], s[4:5]
	s_cbranch_execz .LBB112_336
; %bb.327:
	s_andn2_b64 vcc, exec, s[10:11]
	s_cbranch_vccnz .LBB112_329
; %bb.328:
	buffer_load_dword v109, v101, s[0:3], 0 offen
	ds_read_b32 v110, v100
	s_waitcnt vmcnt(0) lgkmcnt(0)
	v_mul_f32_e32 v109, v109, v110
	s_cbranch_execz .LBB112_330
	s_branch .LBB112_331
.LBB112_329:
                                        ; implicit-def: $vgpr109
.LBB112_330:
	ds_read_b32 v109, v100
.LBB112_331:
	s_and_saveexec_b64 s[12:13], s[6:7]
	s_cbranch_execz .LBB112_335
; %bb.332:
	v_mov_b32_e32 v110, 0
	v_add_u32_e32 v110, 60, v110
	v_add_u32_e32 v111, -15, v0
	s_movk_i32 s14, 0x10c
	s_mov_b64 s[6:7], 0
.LBB112_333:                            ; =>This Inner Loop Header: Depth=1
	buffer_load_dword v112, v110, s[0:3], 0 offen
	v_mov_b32_e32 v113, s14
	ds_read_b32 v113, v113
	v_add_u32_e32 v111, -1, v111
	s_add_i32 s14, s14, 4
	v_cmp_eq_u32_e32 vcc, 0, v111
	v_add_u32_e32 v110, 4, v110
	s_or_b64 s[6:7], vcc, s[6:7]
	s_waitcnt vmcnt(0) lgkmcnt(0)
	v_fmac_f32_e32 v109, v112, v113
	s_andn2_b64 exec, exec, s[6:7]
	s_cbranch_execnz .LBB112_333
; %bb.334:
	s_or_b64 exec, exec, s[6:7]
.LBB112_335:
	s_or_b64 exec, exec, s[12:13]
	v_mov_b32_e32 v110, 0
	ds_read_b32 v110, v110 offset:56
	s_waitcnt lgkmcnt(0)
	v_mul_f32_e32 v109, v109, v110
	buffer_store_dword v109, off, s[0:3], 0 offset:56
.LBB112_336:
	s_or_b64 exec, exec, s[8:9]
	buffer_load_dword v109, off, s[0:3], 0 offset:52
	v_cmp_lt_u32_e64 s[6:7], 13, v0
	s_waitcnt vmcnt(0)
	ds_write_b32 v100, v109
	s_waitcnt lgkmcnt(0)
	; wave barrier
	s_waitcnt lgkmcnt(0)
	s_and_saveexec_b64 s[8:9], s[6:7]
	s_cbranch_execz .LBB112_346
; %bb.337:
	s_andn2_b64 vcc, exec, s[10:11]
	s_cbranch_vccnz .LBB112_339
; %bb.338:
	buffer_load_dword v109, v101, s[0:3], 0 offen
	ds_read_b32 v110, v100
	s_waitcnt vmcnt(0) lgkmcnt(0)
	v_mul_f32_e32 v109, v109, v110
	s_cbranch_execz .LBB112_340
	s_branch .LBB112_341
.LBB112_339:
                                        ; implicit-def: $vgpr109
.LBB112_340:
	ds_read_b32 v109, v100
.LBB112_341:
	s_and_saveexec_b64 s[12:13], s[4:5]
	s_cbranch_execz .LBB112_345
; %bb.342:
	v_add_u32_e32 v110, -14, v0
	s_movk_i32 s14, 0x108
	s_mov_b64 s[4:5], 0
.LBB112_343:                            ; =>This Inner Loop Header: Depth=1
	buffer_load_dword v111, v108, s[0:3], 0 offen
	v_mov_b32_e32 v112, s14
	ds_read_b32 v112, v112
	v_add_u32_e32 v110, -1, v110
	s_add_i32 s14, s14, 4
	v_cmp_eq_u32_e32 vcc, 0, v110
	v_add_u32_e32 v108, 4, v108
	s_or_b64 s[4:5], vcc, s[4:5]
	s_waitcnt vmcnt(0) lgkmcnt(0)
	v_fmac_f32_e32 v109, v111, v112
	s_andn2_b64 exec, exec, s[4:5]
	s_cbranch_execnz .LBB112_343
; %bb.344:
	s_or_b64 exec, exec, s[4:5]
.LBB112_345:
	s_or_b64 exec, exec, s[12:13]
	v_mov_b32_e32 v108, 0
	ds_read_b32 v108, v108 offset:52
	s_waitcnt lgkmcnt(0)
	v_mul_f32_e32 v108, v109, v108
	buffer_store_dword v108, off, s[0:3], 0 offset:52
.LBB112_346:
	s_or_b64 exec, exec, s[8:9]
	buffer_load_dword v108, off, s[0:3], 0 offset:48
	v_cmp_lt_u32_e64 s[4:5], 12, v0
	s_waitcnt vmcnt(0)
	ds_write_b32 v100, v108
	s_waitcnt lgkmcnt(0)
	; wave barrier
	s_waitcnt lgkmcnt(0)
	s_and_saveexec_b64 s[8:9], s[4:5]
	s_cbranch_execz .LBB112_356
; %bb.347:
	s_andn2_b64 vcc, exec, s[10:11]
	s_cbranch_vccnz .LBB112_349
; %bb.348:
	buffer_load_dword v108, v101, s[0:3], 0 offen
	ds_read_b32 v109, v100
	s_waitcnt vmcnt(0) lgkmcnt(0)
	v_mul_f32_e32 v108, v108, v109
	s_cbranch_execz .LBB112_350
	s_branch .LBB112_351
.LBB112_349:
                                        ; implicit-def: $vgpr108
.LBB112_350:
	ds_read_b32 v108, v100
.LBB112_351:
	s_and_saveexec_b64 s[12:13], s[6:7]
	s_cbranch_execz .LBB112_355
; %bb.352:
	v_mov_b32_e32 v109, 0
	v_add_u32_e32 v109, 52, v109
	v_add_u32_e32 v110, -13, v0
	s_movk_i32 s14, 0x104
	s_mov_b64 s[6:7], 0
.LBB112_353:                            ; =>This Inner Loop Header: Depth=1
	buffer_load_dword v111, v109, s[0:3], 0 offen
	v_mov_b32_e32 v112, s14
	ds_read_b32 v112, v112
	v_add_u32_e32 v110, -1, v110
	s_add_i32 s14, s14, 4
	v_cmp_eq_u32_e32 vcc, 0, v110
	v_add_u32_e32 v109, 4, v109
	s_or_b64 s[6:7], vcc, s[6:7]
	s_waitcnt vmcnt(0) lgkmcnt(0)
	v_fmac_f32_e32 v108, v111, v112
	s_andn2_b64 exec, exec, s[6:7]
	s_cbranch_execnz .LBB112_353
; %bb.354:
	s_or_b64 exec, exec, s[6:7]
.LBB112_355:
	s_or_b64 exec, exec, s[12:13]
	v_mov_b32_e32 v109, 0
	ds_read_b32 v109, v109 offset:48
	s_waitcnt lgkmcnt(0)
	v_mul_f32_e32 v108, v108, v109
	buffer_store_dword v108, off, s[0:3], 0 offset:48
.LBB112_356:
	s_or_b64 exec, exec, s[8:9]
	buffer_load_dword v108, off, s[0:3], 0 offset:44
	v_cmp_lt_u32_e64 s[6:7], 11, v0
	s_waitcnt vmcnt(0)
	ds_write_b32 v100, v108
	s_waitcnt lgkmcnt(0)
	; wave barrier
	s_waitcnt lgkmcnt(0)
	s_and_saveexec_b64 s[8:9], s[6:7]
	s_cbranch_execz .LBB112_366
; %bb.357:
	s_andn2_b64 vcc, exec, s[10:11]
	s_cbranch_vccnz .LBB112_359
; %bb.358:
	buffer_load_dword v108, v101, s[0:3], 0 offen
	ds_read_b32 v109, v100
	s_waitcnt vmcnt(0) lgkmcnt(0)
	v_mul_f32_e32 v108, v108, v109
	s_cbranch_execz .LBB112_360
	s_branch .LBB112_361
.LBB112_359:
                                        ; implicit-def: $vgpr108
.LBB112_360:
	ds_read_b32 v108, v100
.LBB112_361:
	s_and_saveexec_b64 s[12:13], s[4:5]
	s_cbranch_execz .LBB112_365
; %bb.362:
	v_add_u32_e32 v109, -12, v0
	s_movk_i32 s14, 0x100
	s_mov_b64 s[4:5], 0
.LBB112_363:                            ; =>This Inner Loop Header: Depth=1
	buffer_load_dword v110, v107, s[0:3], 0 offen
	v_mov_b32_e32 v111, s14
	ds_read_b32 v111, v111
	v_add_u32_e32 v109, -1, v109
	s_add_i32 s14, s14, 4
	v_cmp_eq_u32_e32 vcc, 0, v109
	v_add_u32_e32 v107, 4, v107
	s_or_b64 s[4:5], vcc, s[4:5]
	s_waitcnt vmcnt(0) lgkmcnt(0)
	v_fmac_f32_e32 v108, v110, v111
	s_andn2_b64 exec, exec, s[4:5]
	s_cbranch_execnz .LBB112_363
; %bb.364:
	s_or_b64 exec, exec, s[4:5]
.LBB112_365:
	s_or_b64 exec, exec, s[12:13]
	v_mov_b32_e32 v107, 0
	ds_read_b32 v107, v107 offset:44
	s_waitcnt lgkmcnt(0)
	v_mul_f32_e32 v107, v108, v107
	buffer_store_dword v107, off, s[0:3], 0 offset:44
.LBB112_366:
	s_or_b64 exec, exec, s[8:9]
	buffer_load_dword v107, off, s[0:3], 0 offset:40
	v_cmp_lt_u32_e64 s[4:5], 10, v0
	s_waitcnt vmcnt(0)
	ds_write_b32 v100, v107
	s_waitcnt lgkmcnt(0)
	; wave barrier
	s_waitcnt lgkmcnt(0)
	s_and_saveexec_b64 s[8:9], s[4:5]
	s_cbranch_execz .LBB112_376
; %bb.367:
	s_andn2_b64 vcc, exec, s[10:11]
	s_cbranch_vccnz .LBB112_369
; %bb.368:
	buffer_load_dword v107, v101, s[0:3], 0 offen
	ds_read_b32 v108, v100
	s_waitcnt vmcnt(0) lgkmcnt(0)
	v_mul_f32_e32 v107, v107, v108
	s_cbranch_execz .LBB112_370
	s_branch .LBB112_371
.LBB112_369:
                                        ; implicit-def: $vgpr107
.LBB112_370:
	ds_read_b32 v107, v100
.LBB112_371:
	s_and_saveexec_b64 s[12:13], s[6:7]
	s_cbranch_execz .LBB112_375
; %bb.372:
	v_mov_b32_e32 v108, 0
	v_add_u32_e32 v108, 44, v108
	v_add_u32_e32 v109, -11, v0
	s_movk_i32 s14, 0xfc
	s_mov_b64 s[6:7], 0
.LBB112_373:                            ; =>This Inner Loop Header: Depth=1
	buffer_load_dword v110, v108, s[0:3], 0 offen
	v_mov_b32_e32 v111, s14
	ds_read_b32 v111, v111
	v_add_u32_e32 v109, -1, v109
	s_add_i32 s14, s14, 4
	v_cmp_eq_u32_e32 vcc, 0, v109
	v_add_u32_e32 v108, 4, v108
	s_or_b64 s[6:7], vcc, s[6:7]
	s_waitcnt vmcnt(0) lgkmcnt(0)
	v_fmac_f32_e32 v107, v110, v111
	s_andn2_b64 exec, exec, s[6:7]
	s_cbranch_execnz .LBB112_373
; %bb.374:
	s_or_b64 exec, exec, s[6:7]
.LBB112_375:
	s_or_b64 exec, exec, s[12:13]
	v_mov_b32_e32 v108, 0
	ds_read_b32 v108, v108 offset:40
	s_waitcnt lgkmcnt(0)
	v_mul_f32_e32 v107, v107, v108
	buffer_store_dword v107, off, s[0:3], 0 offset:40
.LBB112_376:
	s_or_b64 exec, exec, s[8:9]
	buffer_load_dword v107, off, s[0:3], 0 offset:36
	v_cmp_lt_u32_e64 s[6:7], 9, v0
	s_waitcnt vmcnt(0)
	ds_write_b32 v100, v107
	s_waitcnt lgkmcnt(0)
	; wave barrier
	s_waitcnt lgkmcnt(0)
	s_and_saveexec_b64 s[8:9], s[6:7]
	s_cbranch_execz .LBB112_386
; %bb.377:
	s_andn2_b64 vcc, exec, s[10:11]
	s_cbranch_vccnz .LBB112_379
; %bb.378:
	buffer_load_dword v107, v101, s[0:3], 0 offen
	ds_read_b32 v108, v100
	s_waitcnt vmcnt(0) lgkmcnt(0)
	v_mul_f32_e32 v107, v107, v108
	s_cbranch_execz .LBB112_380
	s_branch .LBB112_381
.LBB112_379:
                                        ; implicit-def: $vgpr107
.LBB112_380:
	ds_read_b32 v107, v100
.LBB112_381:
	s_and_saveexec_b64 s[12:13], s[4:5]
	s_cbranch_execz .LBB112_385
; %bb.382:
	v_add_u32_e32 v108, -10, v0
	s_movk_i32 s14, 0xf8
	s_mov_b64 s[4:5], 0
.LBB112_383:                            ; =>This Inner Loop Header: Depth=1
	buffer_load_dword v109, v106, s[0:3], 0 offen
	v_mov_b32_e32 v110, s14
	ds_read_b32 v110, v110
	v_add_u32_e32 v108, -1, v108
	s_add_i32 s14, s14, 4
	v_cmp_eq_u32_e32 vcc, 0, v108
	v_add_u32_e32 v106, 4, v106
	s_or_b64 s[4:5], vcc, s[4:5]
	s_waitcnt vmcnt(0) lgkmcnt(0)
	v_fmac_f32_e32 v107, v109, v110
	s_andn2_b64 exec, exec, s[4:5]
	s_cbranch_execnz .LBB112_383
; %bb.384:
	s_or_b64 exec, exec, s[4:5]
.LBB112_385:
	s_or_b64 exec, exec, s[12:13]
	v_mov_b32_e32 v106, 0
	ds_read_b32 v106, v106 offset:36
	s_waitcnt lgkmcnt(0)
	v_mul_f32_e32 v106, v107, v106
	buffer_store_dword v106, off, s[0:3], 0 offset:36
.LBB112_386:
	s_or_b64 exec, exec, s[8:9]
	buffer_load_dword v106, off, s[0:3], 0 offset:32
	v_cmp_lt_u32_e64 s[4:5], 8, v0
	s_waitcnt vmcnt(0)
	ds_write_b32 v100, v106
	s_waitcnt lgkmcnt(0)
	; wave barrier
	s_waitcnt lgkmcnt(0)
	s_and_saveexec_b64 s[8:9], s[4:5]
	s_cbranch_execz .LBB112_396
; %bb.387:
	s_andn2_b64 vcc, exec, s[10:11]
	s_cbranch_vccnz .LBB112_389
; %bb.388:
	buffer_load_dword v106, v101, s[0:3], 0 offen
	ds_read_b32 v107, v100
	s_waitcnt vmcnt(0) lgkmcnt(0)
	v_mul_f32_e32 v106, v106, v107
	s_cbranch_execz .LBB112_390
	s_branch .LBB112_391
.LBB112_389:
                                        ; implicit-def: $vgpr106
.LBB112_390:
	ds_read_b32 v106, v100
.LBB112_391:
	s_and_saveexec_b64 s[12:13], s[6:7]
	s_cbranch_execz .LBB112_395
; %bb.392:
	v_mov_b32_e32 v107, 0
	v_add_u32_e32 v107, 36, v107
	v_add_u32_e32 v108, -9, v0
	s_movk_i32 s14, 0xf4
	s_mov_b64 s[6:7], 0
.LBB112_393:                            ; =>This Inner Loop Header: Depth=1
	buffer_load_dword v109, v107, s[0:3], 0 offen
	v_mov_b32_e32 v110, s14
	ds_read_b32 v110, v110
	v_add_u32_e32 v108, -1, v108
	s_add_i32 s14, s14, 4
	v_cmp_eq_u32_e32 vcc, 0, v108
	v_add_u32_e32 v107, 4, v107
	s_or_b64 s[6:7], vcc, s[6:7]
	s_waitcnt vmcnt(0) lgkmcnt(0)
	v_fmac_f32_e32 v106, v109, v110
	s_andn2_b64 exec, exec, s[6:7]
	s_cbranch_execnz .LBB112_393
; %bb.394:
	s_or_b64 exec, exec, s[6:7]
.LBB112_395:
	s_or_b64 exec, exec, s[12:13]
	v_mov_b32_e32 v107, 0
	ds_read_b32 v107, v107 offset:32
	s_waitcnt lgkmcnt(0)
	v_mul_f32_e32 v106, v106, v107
	buffer_store_dword v106, off, s[0:3], 0 offset:32
.LBB112_396:
	s_or_b64 exec, exec, s[8:9]
	buffer_load_dword v106, off, s[0:3], 0 offset:28
	v_cmp_lt_u32_e64 s[6:7], 7, v0
	s_waitcnt vmcnt(0)
	ds_write_b32 v100, v106
	s_waitcnt lgkmcnt(0)
	; wave barrier
	s_waitcnt lgkmcnt(0)
	s_and_saveexec_b64 s[8:9], s[6:7]
	s_cbranch_execz .LBB112_406
; %bb.397:
	s_andn2_b64 vcc, exec, s[10:11]
	s_cbranch_vccnz .LBB112_399
; %bb.398:
	buffer_load_dword v106, v101, s[0:3], 0 offen
	ds_read_b32 v107, v100
	s_waitcnt vmcnt(0) lgkmcnt(0)
	v_mul_f32_e32 v106, v106, v107
	s_cbranch_execz .LBB112_400
	s_branch .LBB112_401
.LBB112_399:
                                        ; implicit-def: $vgpr106
.LBB112_400:
	ds_read_b32 v106, v100
.LBB112_401:
	s_and_saveexec_b64 s[12:13], s[4:5]
	s_cbranch_execz .LBB112_405
; %bb.402:
	v_add_u32_e32 v107, -8, v0
	s_movk_i32 s14, 0xf0
	s_mov_b64 s[4:5], 0
.LBB112_403:                            ; =>This Inner Loop Header: Depth=1
	buffer_load_dword v108, v105, s[0:3], 0 offen
	v_mov_b32_e32 v109, s14
	ds_read_b32 v109, v109
	v_add_u32_e32 v107, -1, v107
	s_add_i32 s14, s14, 4
	v_cmp_eq_u32_e32 vcc, 0, v107
	v_add_u32_e32 v105, 4, v105
	s_or_b64 s[4:5], vcc, s[4:5]
	s_waitcnt vmcnt(0) lgkmcnt(0)
	v_fmac_f32_e32 v106, v108, v109
	s_andn2_b64 exec, exec, s[4:5]
	s_cbranch_execnz .LBB112_403
; %bb.404:
	s_or_b64 exec, exec, s[4:5]
.LBB112_405:
	s_or_b64 exec, exec, s[12:13]
	v_mov_b32_e32 v105, 0
	ds_read_b32 v105, v105 offset:28
	s_waitcnt lgkmcnt(0)
	v_mul_f32_e32 v105, v106, v105
	buffer_store_dword v105, off, s[0:3], 0 offset:28
.LBB112_406:
	s_or_b64 exec, exec, s[8:9]
	buffer_load_dword v105, off, s[0:3], 0 offset:24
	v_cmp_lt_u32_e64 s[4:5], 6, v0
	s_waitcnt vmcnt(0)
	ds_write_b32 v100, v105
	s_waitcnt lgkmcnt(0)
	; wave barrier
	s_waitcnt lgkmcnt(0)
	s_and_saveexec_b64 s[8:9], s[4:5]
	s_cbranch_execz .LBB112_416
; %bb.407:
	s_andn2_b64 vcc, exec, s[10:11]
	s_cbranch_vccnz .LBB112_409
; %bb.408:
	buffer_load_dword v105, v101, s[0:3], 0 offen
	ds_read_b32 v106, v100
	s_waitcnt vmcnt(0) lgkmcnt(0)
	v_mul_f32_e32 v105, v105, v106
	s_cbranch_execz .LBB112_410
	s_branch .LBB112_411
.LBB112_409:
                                        ; implicit-def: $vgpr105
.LBB112_410:
	ds_read_b32 v105, v100
.LBB112_411:
	s_and_saveexec_b64 s[12:13], s[6:7]
	s_cbranch_execz .LBB112_415
; %bb.412:
	v_mov_b32_e32 v106, 0
	v_add_u32_e32 v106, 28, v106
	v_add_u32_e32 v107, -7, v0
	s_movk_i32 s14, 0xec
	s_mov_b64 s[6:7], 0
.LBB112_413:                            ; =>This Inner Loop Header: Depth=1
	buffer_load_dword v108, v106, s[0:3], 0 offen
	v_mov_b32_e32 v109, s14
	ds_read_b32 v109, v109
	v_add_u32_e32 v107, -1, v107
	s_add_i32 s14, s14, 4
	v_cmp_eq_u32_e32 vcc, 0, v107
	v_add_u32_e32 v106, 4, v106
	s_or_b64 s[6:7], vcc, s[6:7]
	s_waitcnt vmcnt(0) lgkmcnt(0)
	v_fmac_f32_e32 v105, v108, v109
	s_andn2_b64 exec, exec, s[6:7]
	s_cbranch_execnz .LBB112_413
; %bb.414:
	s_or_b64 exec, exec, s[6:7]
.LBB112_415:
	s_or_b64 exec, exec, s[12:13]
	v_mov_b32_e32 v106, 0
	ds_read_b32 v106, v106 offset:24
	s_waitcnt lgkmcnt(0)
	v_mul_f32_e32 v105, v105, v106
	buffer_store_dword v105, off, s[0:3], 0 offset:24
.LBB112_416:
	s_or_b64 exec, exec, s[8:9]
	buffer_load_dword v105, off, s[0:3], 0 offset:20
	v_cmp_lt_u32_e64 s[6:7], 5, v0
	s_waitcnt vmcnt(0)
	ds_write_b32 v100, v105
	s_waitcnt lgkmcnt(0)
	; wave barrier
	s_waitcnt lgkmcnt(0)
	s_and_saveexec_b64 s[8:9], s[6:7]
	s_cbranch_execz .LBB112_426
; %bb.417:
	s_andn2_b64 vcc, exec, s[10:11]
	s_cbranch_vccnz .LBB112_419
; %bb.418:
	buffer_load_dword v105, v101, s[0:3], 0 offen
	ds_read_b32 v106, v100
	s_waitcnt vmcnt(0) lgkmcnt(0)
	v_mul_f32_e32 v105, v105, v106
	s_cbranch_execz .LBB112_420
	s_branch .LBB112_421
.LBB112_419:
                                        ; implicit-def: $vgpr105
.LBB112_420:
	ds_read_b32 v105, v100
.LBB112_421:
	s_and_saveexec_b64 s[12:13], s[4:5]
	s_cbranch_execz .LBB112_425
; %bb.422:
	v_add_u32_e32 v106, -6, v0
	s_movk_i32 s14, 0xe8
	s_mov_b64 s[4:5], 0
.LBB112_423:                            ; =>This Inner Loop Header: Depth=1
	buffer_load_dword v107, v104, s[0:3], 0 offen
	v_mov_b32_e32 v108, s14
	ds_read_b32 v108, v108
	v_add_u32_e32 v106, -1, v106
	s_add_i32 s14, s14, 4
	v_cmp_eq_u32_e32 vcc, 0, v106
	v_add_u32_e32 v104, 4, v104
	s_or_b64 s[4:5], vcc, s[4:5]
	s_waitcnt vmcnt(0) lgkmcnt(0)
	v_fmac_f32_e32 v105, v107, v108
	s_andn2_b64 exec, exec, s[4:5]
	s_cbranch_execnz .LBB112_423
; %bb.424:
	s_or_b64 exec, exec, s[4:5]
.LBB112_425:
	s_or_b64 exec, exec, s[12:13]
	v_mov_b32_e32 v104, 0
	ds_read_b32 v104, v104 offset:20
	s_waitcnt lgkmcnt(0)
	v_mul_f32_e32 v104, v105, v104
	buffer_store_dword v104, off, s[0:3], 0 offset:20
.LBB112_426:
	s_or_b64 exec, exec, s[8:9]
	buffer_load_dword v104, off, s[0:3], 0 offset:16
	v_cmp_lt_u32_e64 s[4:5], 4, v0
	s_waitcnt vmcnt(0)
	ds_write_b32 v100, v104
	s_waitcnt lgkmcnt(0)
	; wave barrier
	s_waitcnt lgkmcnt(0)
	s_and_saveexec_b64 s[8:9], s[4:5]
	s_cbranch_execz .LBB112_436
; %bb.427:
	s_andn2_b64 vcc, exec, s[10:11]
	s_cbranch_vccnz .LBB112_429
; %bb.428:
	buffer_load_dword v104, v101, s[0:3], 0 offen
	ds_read_b32 v105, v100
	s_waitcnt vmcnt(0) lgkmcnt(0)
	v_mul_f32_e32 v104, v104, v105
	s_cbranch_execz .LBB112_430
	s_branch .LBB112_431
.LBB112_429:
                                        ; implicit-def: $vgpr104
.LBB112_430:
	ds_read_b32 v104, v100
.LBB112_431:
	s_and_saveexec_b64 s[12:13], s[6:7]
	s_cbranch_execz .LBB112_435
; %bb.432:
	v_mov_b32_e32 v105, 0
	v_add_u32_e32 v105, 20, v105
	v_add_u32_e32 v106, -5, v0
	s_movk_i32 s14, 0xe4
	s_mov_b64 s[6:7], 0
.LBB112_433:                            ; =>This Inner Loop Header: Depth=1
	buffer_load_dword v107, v105, s[0:3], 0 offen
	v_mov_b32_e32 v108, s14
	ds_read_b32 v108, v108
	v_add_u32_e32 v106, -1, v106
	s_add_i32 s14, s14, 4
	v_cmp_eq_u32_e32 vcc, 0, v106
	v_add_u32_e32 v105, 4, v105
	s_or_b64 s[6:7], vcc, s[6:7]
	s_waitcnt vmcnt(0) lgkmcnt(0)
	v_fmac_f32_e32 v104, v107, v108
	s_andn2_b64 exec, exec, s[6:7]
	s_cbranch_execnz .LBB112_433
; %bb.434:
	s_or_b64 exec, exec, s[6:7]
.LBB112_435:
	s_or_b64 exec, exec, s[12:13]
	v_mov_b32_e32 v105, 0
	ds_read_b32 v105, v105 offset:16
	s_waitcnt lgkmcnt(0)
	v_mul_f32_e32 v104, v104, v105
	buffer_store_dword v104, off, s[0:3], 0 offset:16
.LBB112_436:
	s_or_b64 exec, exec, s[8:9]
	buffer_load_dword v104, off, s[0:3], 0 offset:12
	v_cmp_lt_u32_e64 s[6:7], 3, v0
	s_waitcnt vmcnt(0)
	ds_write_b32 v100, v104
	s_waitcnt lgkmcnt(0)
	; wave barrier
	s_waitcnt lgkmcnt(0)
	s_and_saveexec_b64 s[8:9], s[6:7]
	s_cbranch_execz .LBB112_446
; %bb.437:
	s_andn2_b64 vcc, exec, s[10:11]
	s_cbranch_vccnz .LBB112_439
; %bb.438:
	buffer_load_dword v104, v101, s[0:3], 0 offen
	ds_read_b32 v105, v100
	s_waitcnt vmcnt(0) lgkmcnt(0)
	v_mul_f32_e32 v104, v104, v105
	s_cbranch_execz .LBB112_440
	s_branch .LBB112_441
.LBB112_439:
                                        ; implicit-def: $vgpr104
.LBB112_440:
	ds_read_b32 v104, v100
.LBB112_441:
	s_and_saveexec_b64 s[12:13], s[4:5]
	s_cbranch_execz .LBB112_445
; %bb.442:
	v_add_u32_e32 v105, -4, v0
	s_movk_i32 s14, 0xe0
	s_mov_b64 s[4:5], 0
.LBB112_443:                            ; =>This Inner Loop Header: Depth=1
	buffer_load_dword v106, v103, s[0:3], 0 offen
	v_mov_b32_e32 v107, s14
	ds_read_b32 v107, v107
	v_add_u32_e32 v105, -1, v105
	s_add_i32 s14, s14, 4
	v_cmp_eq_u32_e32 vcc, 0, v105
	v_add_u32_e32 v103, 4, v103
	s_or_b64 s[4:5], vcc, s[4:5]
	s_waitcnt vmcnt(0) lgkmcnt(0)
	v_fmac_f32_e32 v104, v106, v107
	s_andn2_b64 exec, exec, s[4:5]
	s_cbranch_execnz .LBB112_443
; %bb.444:
	s_or_b64 exec, exec, s[4:5]
.LBB112_445:
	s_or_b64 exec, exec, s[12:13]
	v_mov_b32_e32 v103, 0
	ds_read_b32 v103, v103 offset:12
	s_waitcnt lgkmcnt(0)
	v_mul_f32_e32 v103, v104, v103
	buffer_store_dword v103, off, s[0:3], 0 offset:12
.LBB112_446:
	s_or_b64 exec, exec, s[8:9]
	buffer_load_dword v103, off, s[0:3], 0 offset:8
	v_cmp_lt_u32_e64 s[4:5], 2, v0
	s_waitcnt vmcnt(0)
	ds_write_b32 v100, v103
	s_waitcnt lgkmcnt(0)
	; wave barrier
	s_waitcnt lgkmcnt(0)
	s_and_saveexec_b64 s[8:9], s[4:5]
	s_cbranch_execz .LBB112_456
; %bb.447:
	s_andn2_b64 vcc, exec, s[10:11]
	s_cbranch_vccnz .LBB112_449
; %bb.448:
	buffer_load_dword v103, v101, s[0:3], 0 offen
	ds_read_b32 v104, v100
	s_waitcnt vmcnt(0) lgkmcnt(0)
	v_mul_f32_e32 v103, v103, v104
	s_cbranch_execz .LBB112_450
	s_branch .LBB112_451
.LBB112_449:
                                        ; implicit-def: $vgpr103
.LBB112_450:
	ds_read_b32 v103, v100
.LBB112_451:
	s_and_saveexec_b64 s[12:13], s[6:7]
	s_cbranch_execz .LBB112_455
; %bb.452:
	v_mov_b32_e32 v104, 0
	v_or_b32_e32 v104, 12, v104
	v_add_u32_e32 v105, -3, v0
	s_movk_i32 s14, 0xdc
	s_mov_b64 s[6:7], 0
.LBB112_453:                            ; =>This Inner Loop Header: Depth=1
	buffer_load_dword v106, v104, s[0:3], 0 offen
	v_mov_b32_e32 v107, s14
	ds_read_b32 v107, v107
	v_add_u32_e32 v105, -1, v105
	s_add_i32 s14, s14, 4
	v_cmp_eq_u32_e32 vcc, 0, v105
	v_add_u32_e32 v104, 4, v104
	s_or_b64 s[6:7], vcc, s[6:7]
	s_waitcnt vmcnt(0) lgkmcnt(0)
	v_fmac_f32_e32 v103, v106, v107
	s_andn2_b64 exec, exec, s[6:7]
	s_cbranch_execnz .LBB112_453
; %bb.454:
	s_or_b64 exec, exec, s[6:7]
.LBB112_455:
	s_or_b64 exec, exec, s[12:13]
	v_mov_b32_e32 v104, 0
	ds_read_b32 v104, v104 offset:8
	s_waitcnt lgkmcnt(0)
	v_mul_f32_e32 v103, v103, v104
	buffer_store_dword v103, off, s[0:3], 0 offset:8
.LBB112_456:
	s_or_b64 exec, exec, s[8:9]
	buffer_load_dword v103, off, s[0:3], 0 offset:4
	v_cmp_lt_u32_e64 s[6:7], 1, v0
	s_waitcnt vmcnt(0)
	ds_write_b32 v100, v103
	s_waitcnt lgkmcnt(0)
	; wave barrier
	s_waitcnt lgkmcnt(0)
	s_and_saveexec_b64 s[8:9], s[6:7]
	s_cbranch_execz .LBB112_466
; %bb.457:
	s_andn2_b64 vcc, exec, s[10:11]
	s_cbranch_vccnz .LBB112_459
; %bb.458:
	buffer_load_dword v103, v101, s[0:3], 0 offen
	ds_read_b32 v104, v100
	s_waitcnt vmcnt(0) lgkmcnt(0)
	v_mul_f32_e32 v103, v103, v104
	s_cbranch_execz .LBB112_460
	s_branch .LBB112_461
.LBB112_459:
                                        ; implicit-def: $vgpr103
.LBB112_460:
	ds_read_b32 v103, v100
.LBB112_461:
	s_and_saveexec_b64 s[12:13], s[4:5]
	s_cbranch_execz .LBB112_465
; %bb.462:
	v_add_u32_e32 v104, -2, v0
	s_movk_i32 s14, 0xd8
	s_mov_b64 s[4:5], 0
.LBB112_463:                            ; =>This Inner Loop Header: Depth=1
	buffer_load_dword v105, v102, s[0:3], 0 offen
	v_mov_b32_e32 v106, s14
	ds_read_b32 v106, v106
	v_add_u32_e32 v104, -1, v104
	s_add_i32 s14, s14, 4
	v_cmp_eq_u32_e32 vcc, 0, v104
	v_add_u32_e32 v102, 4, v102
	s_or_b64 s[4:5], vcc, s[4:5]
	s_waitcnt vmcnt(0) lgkmcnt(0)
	v_fmac_f32_e32 v103, v105, v106
	s_andn2_b64 exec, exec, s[4:5]
	s_cbranch_execnz .LBB112_463
; %bb.464:
	s_or_b64 exec, exec, s[4:5]
.LBB112_465:
	s_or_b64 exec, exec, s[12:13]
	v_mov_b32_e32 v102, 0
	ds_read_b32 v102, v102 offset:4
	s_waitcnt lgkmcnt(0)
	v_mul_f32_e32 v102, v103, v102
	buffer_store_dword v102, off, s[0:3], 0 offset:4
.LBB112_466:
	s_or_b64 exec, exec, s[8:9]
	buffer_load_dword v102, off, s[0:3], 0
	v_cmp_ne_u32_e32 vcc, 0, v0
	s_waitcnt vmcnt(0)
	ds_write_b32 v100, v102
	s_waitcnt lgkmcnt(0)
	; wave barrier
	s_waitcnt lgkmcnt(0)
	s_and_saveexec_b64 s[4:5], vcc
	s_cbranch_execz .LBB112_476
; %bb.467:
	s_andn2_b64 vcc, exec, s[10:11]
	s_cbranch_vccnz .LBB112_469
; %bb.468:
	buffer_load_dword v102, v101, s[0:3], 0 offen
	ds_read_b32 v103, v100
	s_waitcnt vmcnt(0) lgkmcnt(0)
	v_mul_f32_e32 v102, v102, v103
	s_cbranch_execz .LBB112_470
	s_branch .LBB112_471
.LBB112_469:
                                        ; implicit-def: $vgpr102
.LBB112_470:
	ds_read_b32 v102, v100
.LBB112_471:
	s_and_saveexec_b64 s[8:9], s[6:7]
	s_cbranch_execz .LBB112_475
; %bb.472:
	v_mov_b32_e32 v103, 0
	v_or_b32_e32 v103, 4, v103
	v_add_u32_e32 v104, -1, v0
	s_movk_i32 s12, 0xd4
	s_mov_b64 s[6:7], 0
.LBB112_473:                            ; =>This Inner Loop Header: Depth=1
	buffer_load_dword v105, v103, s[0:3], 0 offen
	v_mov_b32_e32 v106, s12
	ds_read_b32 v106, v106
	v_add_u32_e32 v104, -1, v104
	s_add_i32 s12, s12, 4
	v_cmp_eq_u32_e32 vcc, 0, v104
	v_add_u32_e32 v103, 4, v103
	s_or_b64 s[6:7], vcc, s[6:7]
	s_waitcnt vmcnt(0) lgkmcnt(0)
	v_fmac_f32_e32 v102, v105, v106
	s_andn2_b64 exec, exec, s[6:7]
	s_cbranch_execnz .LBB112_473
; %bb.474:
	s_or_b64 exec, exec, s[6:7]
.LBB112_475:
	s_or_b64 exec, exec, s[8:9]
	v_mov_b32_e32 v103, 0
	ds_read_b32 v103, v103
	s_waitcnt lgkmcnt(0)
	v_mul_f32_e32 v102, v102, v103
	buffer_store_dword v102, off, s[0:3], 0
.LBB112_476:
	s_or_b64 exec, exec, s[4:5]
	s_mov_b64 s[4:5], 0
.LBB112_477:
	s_and_b64 vcc, exec, s[4:5]
	s_cbranch_vccz .LBB112_951
; %bb.478:
	buffer_load_dword v102, off, s[0:3], 0 offset:4
	v_cmp_eq_u32_e64 s[6:7], 0, v0
	s_waitcnt vmcnt(0)
	ds_write_b32 v100, v102
	s_waitcnt lgkmcnt(0)
	; wave barrier
	s_waitcnt lgkmcnt(0)
	s_and_saveexec_b64 s[4:5], s[6:7]
	s_cbranch_execz .LBB112_484
; %bb.479:
	s_and_b64 vcc, exec, s[10:11]
	s_cbranch_vccz .LBB112_481
; %bb.480:
	buffer_load_dword v102, v101, s[0:3], 0 offen
	ds_read_b32 v103, v100
	s_waitcnt vmcnt(0) lgkmcnt(0)
	v_mul_f32_e32 v102, v102, v103
	s_cbranch_execz .LBB112_482
	s_branch .LBB112_483
.LBB112_481:
                                        ; implicit-def: $vgpr102
.LBB112_482:
	ds_read_b32 v102, v100
.LBB112_483:
	v_mov_b32_e32 v103, 0
	ds_read_b32 v103, v103 offset:4
	s_waitcnt lgkmcnt(0)
	v_mul_f32_e32 v102, v102, v103
	buffer_store_dword v102, off, s[0:3], 0 offset:4
.LBB112_484:
	s_or_b64 exec, exec, s[4:5]
	buffer_load_dword v102, off, s[0:3], 0 offset:8
	v_cndmask_b32_e64 v103, 0, 1, s[10:11]
	v_cmp_gt_u32_e32 vcc, 2, v0
	v_cmp_ne_u32_e64 s[4:5], 1, v103
	s_waitcnt vmcnt(0)
	ds_write_b32 v100, v102
	s_waitcnt lgkmcnt(0)
	; wave barrier
	s_waitcnt lgkmcnt(0)
	s_and_saveexec_b64 s[8:9], vcc
	s_cbranch_execz .LBB112_492
; %bb.485:
	s_and_b64 vcc, exec, s[4:5]
	s_cbranch_vccnz .LBB112_487
; %bb.486:
	buffer_load_dword v102, v101, s[0:3], 0 offen
	ds_read_b32 v103, v100
	s_waitcnt vmcnt(0) lgkmcnt(0)
	v_mul_f32_e32 v102, v102, v103
	s_cbranch_execz .LBB112_488
	s_branch .LBB112_489
.LBB112_487:
                                        ; implicit-def: $vgpr102
.LBB112_488:
	ds_read_b32 v102, v100
.LBB112_489:
	s_and_saveexec_b64 s[10:11], s[6:7]
	s_cbranch_execz .LBB112_491
; %bb.490:
	buffer_load_dword v103, v101, s[0:3], 0 offen offset:4
	ds_read_b32 v104, v100 offset:4
	s_waitcnt vmcnt(0) lgkmcnt(0)
	v_fmac_f32_e32 v102, v103, v104
.LBB112_491:
	s_or_b64 exec, exec, s[10:11]
	v_mov_b32_e32 v103, 0
	ds_read_b32 v103, v103 offset:8
	s_waitcnt lgkmcnt(0)
	v_mul_f32_e32 v102, v102, v103
	buffer_store_dword v102, off, s[0:3], 0 offset:8
.LBB112_492:
	s_or_b64 exec, exec, s[8:9]
	buffer_load_dword v102, off, s[0:3], 0 offset:12
	v_cmp_gt_u32_e32 vcc, 3, v0
	s_waitcnt vmcnt(0)
	ds_write_b32 v100, v102
	s_waitcnt lgkmcnt(0)
	; wave barrier
	s_waitcnt lgkmcnt(0)
	s_and_saveexec_b64 s[8:9], vcc
	s_cbranch_execz .LBB112_500
; %bb.493:
	s_and_b64 vcc, exec, s[4:5]
	s_cbranch_vccnz .LBB112_495
; %bb.494:
	buffer_load_dword v102, v101, s[0:3], 0 offen
	ds_read_b32 v103, v100
	s_waitcnt vmcnt(0) lgkmcnt(0)
	v_mul_f32_e32 v102, v102, v103
	s_cbranch_execz .LBB112_496
	s_branch .LBB112_497
.LBB112_495:
                                        ; implicit-def: $vgpr102
.LBB112_496:
	ds_read_b32 v102, v100
.LBB112_497:
	v_cmp_ne_u32_e32 vcc, 2, v0
	s_and_saveexec_b64 s[10:11], vcc
	s_cbranch_execz .LBB112_499
; %bb.498:
	buffer_load_dword v103, v101, s[0:3], 0 offen offset:4
	buffer_load_dword v104, off, s[0:3], 0 offset:8
	v_mov_b32_e32 v105, 0
	ds_read_b32 v106, v100 offset:4
	ds_read_b32 v105, v105 offset:216
	s_waitcnt vmcnt(1) lgkmcnt(1)
	v_fmac_f32_e32 v102, v103, v106
	s_waitcnt vmcnt(0) lgkmcnt(0)
	v_fma_f32 v103, v104, v105, v102
	v_cndmask_b32_e64 v102, v102, v103, s[6:7]
.LBB112_499:
	s_or_b64 exec, exec, s[10:11]
	v_mov_b32_e32 v103, 0
	ds_read_b32 v103, v103 offset:12
	s_waitcnt lgkmcnt(0)
	v_mul_f32_e32 v102, v102, v103
	buffer_store_dword v102, off, s[0:3], 0 offset:12
.LBB112_500:
	s_or_b64 exec, exec, s[8:9]
	buffer_load_dword v102, off, s[0:3], 0 offset:16
	v_cmp_gt_u32_e32 vcc, 4, v0
	s_waitcnt vmcnt(0)
	ds_write_b32 v100, v102
	s_waitcnt lgkmcnt(0)
	; wave barrier
	s_waitcnt lgkmcnt(0)
	s_and_saveexec_b64 s[6:7], vcc
	s_cbranch_execz .LBB112_510
; %bb.501:
	s_and_b64 vcc, exec, s[4:5]
	s_cbranch_vccnz .LBB112_503
; %bb.502:
	buffer_load_dword v102, v101, s[0:3], 0 offen
	ds_read_b32 v103, v100
	s_waitcnt vmcnt(0) lgkmcnt(0)
	v_mul_f32_e32 v102, v102, v103
	s_cbranch_execz .LBB112_504
	s_branch .LBB112_505
.LBB112_503:
                                        ; implicit-def: $vgpr102
.LBB112_504:
	ds_read_b32 v102, v100
.LBB112_505:
	v_cmp_ne_u32_e32 vcc, 3, v0
	s_and_saveexec_b64 s[8:9], vcc
	s_cbranch_execz .LBB112_509
; %bb.506:
	v_mov_b32_e32 v104, 0
	v_add_u32_e32 v103, 0xd4, v1
	v_add3_u32 v104, v1, v104, 4
	s_mov_b64 s[10:11], 0
	v_mov_b32_e32 v105, v0
.LBB112_507:                            ; =>This Inner Loop Header: Depth=1
	buffer_load_dword v106, v104, s[0:3], 0 offen
	ds_read_b32 v107, v103
	v_add_u32_e32 v105, 1, v105
	v_cmp_lt_u32_e32 vcc, 2, v105
	v_add_u32_e32 v103, 4, v103
	v_add_u32_e32 v104, 4, v104
	s_or_b64 s[10:11], vcc, s[10:11]
	s_waitcnt vmcnt(0) lgkmcnt(0)
	v_fmac_f32_e32 v102, v106, v107
	s_andn2_b64 exec, exec, s[10:11]
	s_cbranch_execnz .LBB112_507
; %bb.508:
	s_or_b64 exec, exec, s[10:11]
.LBB112_509:
	s_or_b64 exec, exec, s[8:9]
	v_mov_b32_e32 v103, 0
	ds_read_b32 v103, v103 offset:16
	s_waitcnt lgkmcnt(0)
	v_mul_f32_e32 v102, v102, v103
	buffer_store_dword v102, off, s[0:3], 0 offset:16
.LBB112_510:
	s_or_b64 exec, exec, s[6:7]
	buffer_load_dword v102, off, s[0:3], 0 offset:20
	v_cmp_gt_u32_e32 vcc, 5, v0
	s_waitcnt vmcnt(0)
	ds_write_b32 v100, v102
	s_waitcnt lgkmcnt(0)
	; wave barrier
	s_waitcnt lgkmcnt(0)
	s_and_saveexec_b64 s[6:7], vcc
	s_cbranch_execz .LBB112_520
; %bb.511:
	s_and_b64 vcc, exec, s[4:5]
	s_cbranch_vccnz .LBB112_513
; %bb.512:
	buffer_load_dword v102, v101, s[0:3], 0 offen
	ds_read_b32 v103, v100
	s_waitcnt vmcnt(0) lgkmcnt(0)
	v_mul_f32_e32 v102, v102, v103
	s_cbranch_execz .LBB112_514
	s_branch .LBB112_515
.LBB112_513:
                                        ; implicit-def: $vgpr102
.LBB112_514:
	ds_read_b32 v102, v100
.LBB112_515:
	v_cmp_ne_u32_e32 vcc, 4, v0
	s_and_saveexec_b64 s[8:9], vcc
	s_cbranch_execz .LBB112_519
; %bb.516:
	v_mov_b32_e32 v104, 0
	v_add_u32_e32 v103, 0xd4, v1
	v_add3_u32 v104, v1, v104, 4
	s_mov_b64 s[10:11], 0
	v_mov_b32_e32 v105, v0
.LBB112_517:                            ; =>This Inner Loop Header: Depth=1
	buffer_load_dword v106, v104, s[0:3], 0 offen
	ds_read_b32 v107, v103
	v_add_u32_e32 v105, 1, v105
	v_cmp_lt_u32_e32 vcc, 3, v105
	v_add_u32_e32 v103, 4, v103
	v_add_u32_e32 v104, 4, v104
	s_or_b64 s[10:11], vcc, s[10:11]
	s_waitcnt vmcnt(0) lgkmcnt(0)
	v_fmac_f32_e32 v102, v106, v107
	s_andn2_b64 exec, exec, s[10:11]
	s_cbranch_execnz .LBB112_517
; %bb.518:
	s_or_b64 exec, exec, s[10:11]
.LBB112_519:
	s_or_b64 exec, exec, s[8:9]
	v_mov_b32_e32 v103, 0
	ds_read_b32 v103, v103 offset:20
	s_waitcnt lgkmcnt(0)
	v_mul_f32_e32 v102, v102, v103
	buffer_store_dword v102, off, s[0:3], 0 offset:20
.LBB112_520:
	;; [unrolled: 56-line block ×43, first 2 shown]
	s_or_b64 exec, exec, s[6:7]
	buffer_load_dword v102, off, s[0:3], 0 offset:188
	v_cmp_gt_u32_e64 s[6:7], 47, v0
	s_waitcnt vmcnt(0)
	ds_write_b32 v100, v102
	s_waitcnt lgkmcnt(0)
	; wave barrier
	s_waitcnt lgkmcnt(0)
	s_and_saveexec_b64 s[8:9], s[6:7]
	s_cbranch_execz .LBB112_940
; %bb.931:
	s_and_b64 vcc, exec, s[4:5]
	s_cbranch_vccnz .LBB112_933
; %bb.932:
	buffer_load_dword v102, v101, s[0:3], 0 offen
	ds_read_b32 v103, v100
	s_waitcnt vmcnt(0) lgkmcnt(0)
	v_mul_f32_e32 v102, v102, v103
	s_cbranch_execz .LBB112_934
	s_branch .LBB112_935
.LBB112_933:
                                        ; implicit-def: $vgpr102
.LBB112_934:
	ds_read_b32 v102, v100
.LBB112_935:
	v_cmp_ne_u32_e32 vcc, 46, v0
	s_and_saveexec_b64 s[10:11], vcc
	s_cbranch_execz .LBB112_939
; %bb.936:
	v_mov_b32_e32 v104, 0
	v_add_u32_e32 v103, 0xd4, v1
	v_add3_u32 v104, v1, v104, 4
	s_mov_b64 s[12:13], 0
	v_mov_b32_e32 v105, v0
.LBB112_937:                            ; =>This Inner Loop Header: Depth=1
	buffer_load_dword v106, v104, s[0:3], 0 offen
	ds_read_b32 v107, v103
	v_add_u32_e32 v105, 1, v105
	v_cmp_lt_u32_e32 vcc, 45, v105
	v_add_u32_e32 v103, 4, v103
	v_add_u32_e32 v104, 4, v104
	s_or_b64 s[12:13], vcc, s[12:13]
	s_waitcnt vmcnt(0) lgkmcnt(0)
	v_fmac_f32_e32 v102, v106, v107
	s_andn2_b64 exec, exec, s[12:13]
	s_cbranch_execnz .LBB112_937
; %bb.938:
	s_or_b64 exec, exec, s[12:13]
.LBB112_939:
	s_or_b64 exec, exec, s[10:11]
	v_mov_b32_e32 v103, 0
	ds_read_b32 v103, v103 offset:188
	s_waitcnt lgkmcnt(0)
	v_mul_f32_e32 v102, v102, v103
	buffer_store_dword v102, off, s[0:3], 0 offset:188
.LBB112_940:
	s_or_b64 exec, exec, s[8:9]
	buffer_load_dword v102, off, s[0:3], 0 offset:192
	v_cmp_ne_u32_e32 vcc, 48, v0
	s_waitcnt vmcnt(0)
	ds_write_b32 v100, v102
	s_waitcnt lgkmcnt(0)
	; wave barrier
	s_waitcnt lgkmcnt(0)
	s_and_saveexec_b64 s[8:9], vcc
	s_cbranch_execz .LBB112_950
; %bb.941:
	s_and_b64 vcc, exec, s[4:5]
	s_cbranch_vccnz .LBB112_943
; %bb.942:
	buffer_load_dword v101, v101, s[0:3], 0 offen
	ds_read_b32 v102, v100
	s_waitcnt vmcnt(0) lgkmcnt(0)
	v_mul_f32_e32 v101, v101, v102
	s_cbranch_execz .LBB112_944
	s_branch .LBB112_945
.LBB112_943:
                                        ; implicit-def: $vgpr101
.LBB112_944:
	ds_read_b32 v101, v100
.LBB112_945:
	s_and_saveexec_b64 s[4:5], s[6:7]
	s_cbranch_execz .LBB112_949
; %bb.946:
	v_mov_b32_e32 v102, 0
	v_add_u32_e32 v100, 0xd4, v1
	v_add3_u32 v1, v1, v102, 4
	s_mov_b64 s[6:7], 0
.LBB112_947:                            ; =>This Inner Loop Header: Depth=1
	buffer_load_dword v102, v1, s[0:3], 0 offen
	ds_read_b32 v103, v100
	v_add_u32_e32 v0, 1, v0
	v_cmp_lt_u32_e32 vcc, 46, v0
	v_add_u32_e32 v100, 4, v100
	v_add_u32_e32 v1, 4, v1
	s_or_b64 s[6:7], vcc, s[6:7]
	s_waitcnt vmcnt(0) lgkmcnt(0)
	v_fmac_f32_e32 v101, v102, v103
	s_andn2_b64 exec, exec, s[6:7]
	s_cbranch_execnz .LBB112_947
; %bb.948:
	s_or_b64 exec, exec, s[6:7]
.LBB112_949:
	s_or_b64 exec, exec, s[4:5]
	v_mov_b32_e32 v0, 0
	ds_read_b32 v0, v0 offset:192
	s_waitcnt lgkmcnt(0)
	v_mul_f32_e32 v0, v101, v0
	buffer_store_dword v0, off, s[0:3], 0 offset:192
.LBB112_950:
	s_or_b64 exec, exec, s[8:9]
.LBB112_951:
	buffer_load_dword v0, off, s[0:3], 0
	buffer_load_dword v1, off, s[0:3], 0 offset:4
	buffer_load_dword v100, off, s[0:3], 0 offset:8
	;; [unrolled: 1-line block ×48, first 2 shown]
	s_waitcnt vmcnt(48)
	global_store_dword v[94:95], v0, off
	s_waitcnt vmcnt(48)
	global_store_dword v[96:97], v1, off
	;; [unrolled: 2-line block ×49, first 2 shown]
.LBB112_952:
	s_endpgm
	.section	.rodata,"a",@progbits
	.p2align	6, 0x0
	.amdhsa_kernel _ZN9rocsolver6v33100L18trti2_kernel_smallILi49EfPKPfEEv13rocblas_fill_17rocblas_diagonal_T1_iil
		.amdhsa_group_segment_fixed_size 404
		.amdhsa_private_segment_fixed_size 208
		.amdhsa_kernarg_size 32
		.amdhsa_user_sgpr_count 8
		.amdhsa_user_sgpr_private_segment_buffer 1
		.amdhsa_user_sgpr_dispatch_ptr 0
		.amdhsa_user_sgpr_queue_ptr 0
		.amdhsa_user_sgpr_kernarg_segment_ptr 1
		.amdhsa_user_sgpr_dispatch_id 0
		.amdhsa_user_sgpr_flat_scratch_init 1
		.amdhsa_user_sgpr_kernarg_preload_length 0
		.amdhsa_user_sgpr_kernarg_preload_offset 0
		.amdhsa_user_sgpr_private_segment_size 0
		.amdhsa_uses_dynamic_stack 0
		.amdhsa_system_sgpr_private_segment_wavefront_offset 1
		.amdhsa_system_sgpr_workgroup_id_x 1
		.amdhsa_system_sgpr_workgroup_id_y 0
		.amdhsa_system_sgpr_workgroup_id_z 0
		.amdhsa_system_sgpr_workgroup_info 0
		.amdhsa_system_vgpr_workitem_id 0
		.amdhsa_next_free_vgpr 149
		.amdhsa_next_free_sgpr 16
		.amdhsa_accum_offset 152
		.amdhsa_reserve_vcc 1
		.amdhsa_reserve_flat_scratch 0
		.amdhsa_float_round_mode_32 0
		.amdhsa_float_round_mode_16_64 0
		.amdhsa_float_denorm_mode_32 3
		.amdhsa_float_denorm_mode_16_64 3
		.amdhsa_dx10_clamp 1
		.amdhsa_ieee_mode 1
		.amdhsa_fp16_overflow 0
		.amdhsa_tg_split 0
		.amdhsa_exception_fp_ieee_invalid_op 0
		.amdhsa_exception_fp_denorm_src 0
		.amdhsa_exception_fp_ieee_div_zero 0
		.amdhsa_exception_fp_ieee_overflow 0
		.amdhsa_exception_fp_ieee_underflow 0
		.amdhsa_exception_fp_ieee_inexact 0
		.amdhsa_exception_int_div_zero 0
	.end_amdhsa_kernel
	.section	.text._ZN9rocsolver6v33100L18trti2_kernel_smallILi49EfPKPfEEv13rocblas_fill_17rocblas_diagonal_T1_iil,"axG",@progbits,_ZN9rocsolver6v33100L18trti2_kernel_smallILi49EfPKPfEEv13rocblas_fill_17rocblas_diagonal_T1_iil,comdat
.Lfunc_end112:
	.size	_ZN9rocsolver6v33100L18trti2_kernel_smallILi49EfPKPfEEv13rocblas_fill_17rocblas_diagonal_T1_iil, .Lfunc_end112-_ZN9rocsolver6v33100L18trti2_kernel_smallILi49EfPKPfEEv13rocblas_fill_17rocblas_diagonal_T1_iil
                                        ; -- End function
	.section	.AMDGPU.csdata,"",@progbits
; Kernel info:
; codeLenInByte = 23944
; NumSgprs: 20
; NumVgprs: 149
; NumAgprs: 0
; TotalNumVgprs: 149
; ScratchSize: 208
; MemoryBound: 0
; FloatMode: 240
; IeeeMode: 1
; LDSByteSize: 404 bytes/workgroup (compile time only)
; SGPRBlocks: 2
; VGPRBlocks: 18
; NumSGPRsForWavesPerEU: 20
; NumVGPRsForWavesPerEU: 149
; AccumOffset: 152
; Occupancy: 3
; WaveLimiterHint : 1
; COMPUTE_PGM_RSRC2:SCRATCH_EN: 1
; COMPUTE_PGM_RSRC2:USER_SGPR: 8
; COMPUTE_PGM_RSRC2:TRAP_HANDLER: 0
; COMPUTE_PGM_RSRC2:TGID_X_EN: 1
; COMPUTE_PGM_RSRC2:TGID_Y_EN: 0
; COMPUTE_PGM_RSRC2:TGID_Z_EN: 0
; COMPUTE_PGM_RSRC2:TIDIG_COMP_CNT: 0
; COMPUTE_PGM_RSRC3_GFX90A:ACCUM_OFFSET: 37
; COMPUTE_PGM_RSRC3_GFX90A:TG_SPLIT: 0
	.section	.text._ZN9rocsolver6v33100L18trti2_kernel_smallILi50EfPKPfEEv13rocblas_fill_17rocblas_diagonal_T1_iil,"axG",@progbits,_ZN9rocsolver6v33100L18trti2_kernel_smallILi50EfPKPfEEv13rocblas_fill_17rocblas_diagonal_T1_iil,comdat
	.globl	_ZN9rocsolver6v33100L18trti2_kernel_smallILi50EfPKPfEEv13rocblas_fill_17rocblas_diagonal_T1_iil ; -- Begin function _ZN9rocsolver6v33100L18trti2_kernel_smallILi50EfPKPfEEv13rocblas_fill_17rocblas_diagonal_T1_iil
	.p2align	8
	.type	_ZN9rocsolver6v33100L18trti2_kernel_smallILi50EfPKPfEEv13rocblas_fill_17rocblas_diagonal_T1_iil,@function
_ZN9rocsolver6v33100L18trti2_kernel_smallILi50EfPKPfEEv13rocblas_fill_17rocblas_diagonal_T1_iil: ; @_ZN9rocsolver6v33100L18trti2_kernel_smallILi50EfPKPfEEv13rocblas_fill_17rocblas_diagonal_T1_iil
; %bb.0:
	s_add_u32 s0, s0, s9
	s_addc_u32 s1, s1, 0
	v_cmp_gt_u32_e32 vcc, 50, v0
	s_and_saveexec_b64 s[6:7], vcc
	s_cbranch_execz .LBB113_972
; %bb.1:
	s_load_dwordx2 s[6:7], s[4:5], 0x10
	s_load_dwordx4 s[12:15], s[4:5], 0x0
	s_ashr_i32 s9, s8, 31
	s_lshl_b64 s[4:5], s[8:9], 3
	s_waitcnt lgkmcnt(0)
	s_ashr_i32 s9, s6, 31
	s_add_u32 s4, s14, s4
	s_addc_u32 s5, s15, s5
	s_load_dwordx2 s[4:5], s[4:5], 0x0
	s_mov_b32 s8, s6
	s_lshl_b64 s[8:9], s[8:9], 2
	s_waitcnt lgkmcnt(0)
	s_add_u32 s4, s4, s8
	s_addc_u32 s5, s5, s9
	s_add_i32 s6, s7, s7
	v_add_u32_e32 v4, s6, v0
	v_ashrrev_i32_e32 v5, 31, v4
	v_lshlrev_b64 v[2:3], 2, v[4:5]
	v_add_u32_e32 v6, s7, v4
	v_mov_b32_e32 v1, s5
	v_add_co_u32_e32 v2, vcc, s4, v2
	v_ashrrev_i32_e32 v7, 31, v6
	v_addc_co_u32_e32 v3, vcc, v1, v3, vcc
	v_lshlrev_b64 v[4:5], 2, v[6:7]
	v_add_u32_e32 v8, s7, v6
	v_add_co_u32_e32 v4, vcc, s4, v4
	v_ashrrev_i32_e32 v9, 31, v8
	v_addc_co_u32_e32 v5, vcc, v1, v5, vcc
	v_lshlrev_b64 v[6:7], 2, v[8:9]
	v_add_u32_e32 v10, s7, v8
	;; [unrolled: 5-line block ×45, first 2 shown]
	v_add_co_u32_e32 v92, vcc, s4, v92
	v_ashrrev_i32_e32 v97, 31, v96
	v_addc_co_u32_e32 v93, vcc, v1, v93, vcc
	v_lshlrev_b64 v[94:95], 2, v[96:97]
	v_add_co_u32_e32 v94, vcc, s4, v94
	v_add_u32_e32 v96, s7, v96
	v_addc_co_u32_e32 v95, vcc, v1, v95, vcc
	v_ashrrev_i32_e32 v97, 31, v96
	v_lshlrev_b32_e32 v1, 2, v0
	v_lshlrev_b64 v[100:101], 2, v[96:97]
	v_mov_b32_e32 v97, s5
	v_add_co_u32_e32 v96, vcc, s4, v1
	s_ashr_i32 s9, s7, 31
	s_mov_b32 s8, s7
	v_addc_co_u32_e32 v97, vcc, 0, v97, vcc
	s_lshl_b64 s[6:7], s[8:9], 2
	v_mov_b32_e32 v99, s7
	v_add_co_u32_e32 v98, vcc, s6, v96
	v_addc_co_u32_e32 v99, vcc, v97, v99, vcc
	global_load_dword v103, v1, s[4:5]
	global_load_dword v104, v[98:99], off
	global_load_dword v105, v[2:3], off
	;; [unrolled: 1-line block ×14, first 2 shown]
                                        ; kill: killed $sgpr5
	global_load_dword v118, v[20:21], off
	global_load_dword v119, v[18:19], off
	;; [unrolled: 1-line block ×34, first 2 shown]
	v_mov_b32_e32 v102, s5
	v_add_co_u32_e32 v100, vcc, s4, v100
	v_addc_co_u32_e32 v101, vcc, v102, v101, vcc
	global_load_dword v102, v[100:101], off
	s_cmpk_lg_i32 s13, 0x84
	s_waitcnt vmcnt(49)
	buffer_store_dword v103, off, s[0:3], 0
	s_waitcnt vmcnt(49)
	buffer_store_dword v104, off, s[0:3], 0 offset:4
	s_waitcnt vmcnt(49)
	buffer_store_dword v105, off, s[0:3], 0 offset:8
	;; [unrolled: 2-line block ×11, first 2 shown]
	buffer_store_dword v113, off, s[0:3], 0 offset:48
	buffer_store_dword v114, off, s[0:3], 0 offset:52
	;; [unrolled: 1-line block ×5, first 2 shown]
	s_waitcnt vmcnt(49)
	buffer_store_dword v120, off, s[0:3], 0 offset:68
	s_waitcnt vmcnt(49)
	buffer_store_dword v121, off, s[0:3], 0 offset:72
	;; [unrolled: 2-line block ×5, first 2 shown]
	buffer_store_dword v124, off, s[0:3], 0 offset:92
	buffer_store_dword v125, off, s[0:3], 0 offset:88
	s_waitcnt vmcnt(48)
	buffer_store_dword v128, off, s[0:3], 0 offset:100
	buffer_store_dword v123, off, s[0:3], 0 offset:96
	s_waitcnt vmcnt(44)
	buffer_store_dword v134, off, s[0:3], 0 offset:108
	s_waitcnt vmcnt(44)
	buffer_store_dword v135, off, s[0:3], 0 offset:104
	buffer_store_dword v132, off, s[0:3], 0 offset:116
	buffer_store_dword v133, off, s[0:3], 0 offset:112
	buffer_store_dword v130, off, s[0:3], 0 offset:124
	buffer_store_dword v131, off, s[0:3], 0 offset:120
	s_waitcnt vmcnt(48)
	buffer_store_dword v136, off, s[0:3], 0 offset:132
	buffer_store_dword v129, off, s[0:3], 0 offset:128
	s_waitcnt vmcnt(44)
	buffer_store_dword v142, off, s[0:3], 0 offset:140
	s_waitcnt vmcnt(44)
	buffer_store_dword v143, off, s[0:3], 0 offset:136
	buffer_store_dword v140, off, s[0:3], 0 offset:148
	buffer_store_dword v141, off, s[0:3], 0 offset:144
	;; [unrolled: 11-line block ×3, first 2 shown]
	buffer_store_dword v146, off, s[0:3], 0 offset:188
	buffer_store_dword v147, off, s[0:3], 0 offset:184
	s_waitcnt vmcnt(48)
	buffer_store_dword v102, off, s[0:3], 0 offset:196
	buffer_store_dword v145, off, s[0:3], 0 offset:192
	s_cselect_b64 s[8:9], -1, 0
	s_cmpk_eq_i32 s13, 0x84
	v_mov_b32_e32 v126, 0
	v_mov_b32_e32 v102, -1.0
	s_cbranch_scc1 .LBB113_3
; %bb.2:
	v_lshl_add_u32 v102, v0, 2, v126
	buffer_load_dword v103, v102, s[0:3], 0 offen
	s_waitcnt vmcnt(0)
	v_div_scale_f32 v104, s[4:5], v103, v103, 1.0
	v_rcp_f32_e32 v105, v104
	v_div_scale_f32 v106, vcc, 1.0, v103, 1.0
	v_fma_f32 v107, -v104, v105, 1.0
	v_fmac_f32_e32 v105, v107, v105
	v_mul_f32_e32 v107, v106, v105
	v_fma_f32 v108, -v104, v107, v106
	v_fmac_f32_e32 v107, v108, v105
	v_fma_f32 v104, -v104, v107, v106
	v_div_fmas_f32 v104, v104, v105, v107
	v_div_fixup_f32 v103, v104, v103, 1.0
	buffer_store_dword v103, v102, s[0:3], 0 offen
	v_xor_b32_e32 v102, 0x80000000, v103
.LBB113_3:
	ds_write_b32 v1, v102
	s_cmpk_eq_i32 s12, 0x79
	v_add_u32_e32 v102, 0xd0, v1
	v_add_u32_e32 v103, 0, v1
	s_mov_b64 s[4:5], -1
	s_cbranch_scc1 .LBB113_487
; %bb.4:
	buffer_load_dword v104, off, s[0:3], 0 offset:192
	v_cmp_eq_u32_e64 s[4:5], 49, v0
	s_waitcnt vmcnt(0)
	ds_write_b32 v102, v104
	s_waitcnt lgkmcnt(0)
	; wave barrier
	s_waitcnt lgkmcnt(0)
	s_and_saveexec_b64 s[6:7], s[4:5]
	s_cbranch_execz .LBB113_10
; %bb.5:
	s_and_b64 vcc, exec, s[8:9]
	s_cbranch_vccz .LBB113_7
; %bb.6:
	buffer_load_dword v104, v103, s[0:3], 0 offen
	ds_read_b32 v105, v102
	s_waitcnt vmcnt(0) lgkmcnt(0)
	v_mul_f32_e32 v104, v104, v105
	s_cbranch_execz .LBB113_8
	s_branch .LBB113_9
.LBB113_7:
                                        ; implicit-def: $vgpr104
.LBB113_8:
	ds_read_b32 v104, v102
.LBB113_9:
	v_mov_b32_e32 v105, 0
	ds_read_b32 v105, v105 offset:192
	s_waitcnt lgkmcnt(0)
	v_mul_f32_e32 v104, v104, v105
	buffer_store_dword v104, off, s[0:3], 0 offset:192
.LBB113_10:
	s_or_b64 exec, exec, s[6:7]
	buffer_load_dword v127, off, s[0:3], 0 offset:188
	v_or_b32_e32 v104, 8, v126
	v_add_u32_e32 v105, 16, v126
	v_add_u32_e32 v106, 24, v126
	;; [unrolled: 1-line block ×22, first 2 shown]
	v_cmp_lt_u32_e64 s[6:7], 47, v0
	s_waitcnt vmcnt(0)
	ds_write_b32 v102, v127
	s_waitcnt lgkmcnt(0)
	; wave barrier
	s_waitcnt lgkmcnt(0)
	s_and_saveexec_b64 s[10:11], s[6:7]
	s_cbranch_execz .LBB113_16
; %bb.11:
	s_andn2_b64 vcc, exec, s[8:9]
	s_cbranch_vccnz .LBB113_13
; %bb.12:
	buffer_load_dword v127, v103, s[0:3], 0 offen
	ds_read_b32 v128, v102
	s_waitcnt vmcnt(0) lgkmcnt(0)
	v_mul_f32_e32 v127, v127, v128
	s_cbranch_execz .LBB113_14
	s_branch .LBB113_15
.LBB113_13:
                                        ; implicit-def: $vgpr127
.LBB113_14:
	ds_read_b32 v127, v102
.LBB113_15:
	buffer_load_dword v130, off, s[0:3], 0 offset:192
	v_mov_b32_e32 v128, 0
	ds_read2_b32 v[128:129], v128 offset0:47 offset1:100
	s_waitcnt vmcnt(0) lgkmcnt(0)
	v_fma_f32 v129, v130, v129, v127
	v_cndmask_b32_e64 v127, v127, v129, s[4:5]
	v_mul_f32_e32 v127, v127, v128
	buffer_store_dword v127, off, s[0:3], 0 offset:188
.LBB113_16:
	s_or_b64 exec, exec, s[10:11]
	buffer_load_dword v127, off, s[0:3], 0 offset:184
	v_cmp_lt_u32_e64 s[4:5], 46, v0
	s_waitcnt vmcnt(0)
	ds_write_b32 v102, v127
	s_waitcnt lgkmcnt(0)
	; wave barrier
	s_waitcnt lgkmcnt(0)
	s_and_saveexec_b64 s[10:11], s[4:5]
	s_cbranch_execz .LBB113_26
; %bb.17:
	s_andn2_b64 vcc, exec, s[8:9]
	s_cbranch_vccnz .LBB113_19
; %bb.18:
	buffer_load_dword v127, v103, s[0:3], 0 offen
	ds_read_b32 v128, v102
	s_waitcnt vmcnt(0) lgkmcnt(0)
	v_mul_f32_e32 v127, v127, v128
	s_cbranch_execz .LBB113_20
	s_branch .LBB113_21
.LBB113_19:
                                        ; implicit-def: $vgpr127
.LBB113_20:
	ds_read_b32 v127, v102
.LBB113_21:
	s_and_saveexec_b64 s[12:13], s[6:7]
	s_cbranch_execz .LBB113_25
; %bb.22:
	v_mov_b32_e32 v128, 0
	v_add_u32_e32 v128, 0xbc, v128
	v_subrev_u32_e32 v129, 47, v0
	s_movk_i32 s14, 0x18c
	s_mov_b64 s[6:7], 0
.LBB113_23:                             ; =>This Inner Loop Header: Depth=1
	buffer_load_dword v130, v128, s[0:3], 0 offen
	v_mov_b32_e32 v131, s14
	ds_read_b32 v131, v131
	v_add_u32_e32 v129, -1, v129
	s_add_i32 s14, s14, 4
	v_cmp_eq_u32_e32 vcc, 0, v129
	v_add_u32_e32 v128, 4, v128
	s_or_b64 s[6:7], vcc, s[6:7]
	s_waitcnt vmcnt(0) lgkmcnt(0)
	v_fmac_f32_e32 v127, v130, v131
	s_andn2_b64 exec, exec, s[6:7]
	s_cbranch_execnz .LBB113_23
; %bb.24:
	s_or_b64 exec, exec, s[6:7]
.LBB113_25:
	s_or_b64 exec, exec, s[12:13]
	v_mov_b32_e32 v128, 0
	ds_read_b32 v128, v128 offset:184
	s_waitcnt lgkmcnt(0)
	v_mul_f32_e32 v127, v127, v128
	buffer_store_dword v127, off, s[0:3], 0 offset:184
.LBB113_26:
	s_or_b64 exec, exec, s[10:11]
	buffer_load_dword v127, off, s[0:3], 0 offset:180
	v_cmp_lt_u32_e64 s[6:7], 45, v0
	s_waitcnt vmcnt(0)
	ds_write_b32 v102, v127
	s_waitcnt lgkmcnt(0)
	; wave barrier
	s_waitcnt lgkmcnt(0)
	s_and_saveexec_b64 s[10:11], s[6:7]
	s_cbranch_execz .LBB113_36
; %bb.27:
	s_andn2_b64 vcc, exec, s[8:9]
	s_cbranch_vccnz .LBB113_29
; %bb.28:
	buffer_load_dword v127, v103, s[0:3], 0 offen
	ds_read_b32 v128, v102
	s_waitcnt vmcnt(0) lgkmcnt(0)
	v_mul_f32_e32 v127, v127, v128
	s_cbranch_execz .LBB113_30
	s_branch .LBB113_31
.LBB113_29:
                                        ; implicit-def: $vgpr127
.LBB113_30:
	ds_read_b32 v127, v102
.LBB113_31:
	s_and_saveexec_b64 s[12:13], s[4:5]
	s_cbranch_execz .LBB113_35
; %bb.32:
	v_subrev_u32_e32 v128, 46, v0
	s_movk_i32 s14, 0x188
	s_mov_b64 s[4:5], 0
.LBB113_33:                             ; =>This Inner Loop Header: Depth=1
	buffer_load_dword v129, v126, s[0:3], 0 offen
	v_mov_b32_e32 v130, s14
	ds_read_b32 v130, v130
	v_add_u32_e32 v128, -1, v128
	s_add_i32 s14, s14, 4
	v_cmp_eq_u32_e32 vcc, 0, v128
	v_add_u32_e32 v126, 4, v126
	s_or_b64 s[4:5], vcc, s[4:5]
	s_waitcnt vmcnt(0) lgkmcnt(0)
	v_fmac_f32_e32 v127, v129, v130
	s_andn2_b64 exec, exec, s[4:5]
	s_cbranch_execnz .LBB113_33
; %bb.34:
	s_or_b64 exec, exec, s[4:5]
.LBB113_35:
	s_or_b64 exec, exec, s[12:13]
	v_mov_b32_e32 v126, 0
	ds_read_b32 v126, v126 offset:180
	s_waitcnt lgkmcnt(0)
	v_mul_f32_e32 v126, v127, v126
	buffer_store_dword v126, off, s[0:3], 0 offset:180
.LBB113_36:
	s_or_b64 exec, exec, s[10:11]
	buffer_load_dword v126, off, s[0:3], 0 offset:176
	v_cmp_lt_u32_e64 s[4:5], 44, v0
	s_waitcnt vmcnt(0)
	ds_write_b32 v102, v126
	s_waitcnt lgkmcnt(0)
	; wave barrier
	s_waitcnt lgkmcnt(0)
	s_and_saveexec_b64 s[10:11], s[4:5]
	s_cbranch_execz .LBB113_46
; %bb.37:
	s_andn2_b64 vcc, exec, s[8:9]
	s_cbranch_vccnz .LBB113_39
; %bb.38:
	buffer_load_dword v126, v103, s[0:3], 0 offen
	ds_read_b32 v127, v102
	s_waitcnt vmcnt(0) lgkmcnt(0)
	v_mul_f32_e32 v126, v126, v127
	s_cbranch_execz .LBB113_40
	s_branch .LBB113_41
.LBB113_39:
                                        ; implicit-def: $vgpr126
.LBB113_40:
	ds_read_b32 v126, v102
.LBB113_41:
	s_and_saveexec_b64 s[12:13], s[6:7]
	s_cbranch_execz .LBB113_45
; %bb.42:
	v_mov_b32_e32 v127, 0
	v_add_u32_e32 v127, 0xb4, v127
	v_subrev_u32_e32 v128, 45, v0
	s_movk_i32 s14, 0x184
	s_mov_b64 s[6:7], 0
.LBB113_43:                             ; =>This Inner Loop Header: Depth=1
	buffer_load_dword v129, v127, s[0:3], 0 offen
	v_mov_b32_e32 v130, s14
	ds_read_b32 v130, v130
	v_add_u32_e32 v128, -1, v128
	s_add_i32 s14, s14, 4
	v_cmp_eq_u32_e32 vcc, 0, v128
	v_add_u32_e32 v127, 4, v127
	s_or_b64 s[6:7], vcc, s[6:7]
	s_waitcnt vmcnt(0) lgkmcnt(0)
	v_fmac_f32_e32 v126, v129, v130
	s_andn2_b64 exec, exec, s[6:7]
	s_cbranch_execnz .LBB113_43
; %bb.44:
	s_or_b64 exec, exec, s[6:7]
.LBB113_45:
	s_or_b64 exec, exec, s[12:13]
	v_mov_b32_e32 v127, 0
	ds_read_b32 v127, v127 offset:176
	s_waitcnt lgkmcnt(0)
	v_mul_f32_e32 v126, v126, v127
	buffer_store_dword v126, off, s[0:3], 0 offset:176
.LBB113_46:
	s_or_b64 exec, exec, s[10:11]
	buffer_load_dword v126, off, s[0:3], 0 offset:172
	v_cmp_lt_u32_e64 s[6:7], 43, v0
	s_waitcnt vmcnt(0)
	ds_write_b32 v102, v126
	s_waitcnt lgkmcnt(0)
	; wave barrier
	s_waitcnt lgkmcnt(0)
	s_and_saveexec_b64 s[10:11], s[6:7]
	s_cbranch_execz .LBB113_56
; %bb.47:
	s_andn2_b64 vcc, exec, s[8:9]
	s_cbranch_vccnz .LBB113_49
; %bb.48:
	buffer_load_dword v126, v103, s[0:3], 0 offen
	ds_read_b32 v127, v102
	s_waitcnt vmcnt(0) lgkmcnt(0)
	v_mul_f32_e32 v126, v126, v127
	s_cbranch_execz .LBB113_50
	s_branch .LBB113_51
.LBB113_49:
                                        ; implicit-def: $vgpr126
.LBB113_50:
	ds_read_b32 v126, v102
.LBB113_51:
	s_and_saveexec_b64 s[12:13], s[4:5]
	s_cbranch_execz .LBB113_55
; %bb.52:
	v_subrev_u32_e32 v127, 44, v0
	s_movk_i32 s14, 0x180
	s_mov_b64 s[4:5], 0
.LBB113_53:                             ; =>This Inner Loop Header: Depth=1
	buffer_load_dword v128, v125, s[0:3], 0 offen
	v_mov_b32_e32 v129, s14
	ds_read_b32 v129, v129
	v_add_u32_e32 v127, -1, v127
	s_add_i32 s14, s14, 4
	v_cmp_eq_u32_e32 vcc, 0, v127
	v_add_u32_e32 v125, 4, v125
	s_or_b64 s[4:5], vcc, s[4:5]
	s_waitcnt vmcnt(0) lgkmcnt(0)
	v_fmac_f32_e32 v126, v128, v129
	s_andn2_b64 exec, exec, s[4:5]
	s_cbranch_execnz .LBB113_53
; %bb.54:
	s_or_b64 exec, exec, s[4:5]
.LBB113_55:
	s_or_b64 exec, exec, s[12:13]
	v_mov_b32_e32 v125, 0
	ds_read_b32 v125, v125 offset:172
	s_waitcnt lgkmcnt(0)
	v_mul_f32_e32 v125, v126, v125
	buffer_store_dword v125, off, s[0:3], 0 offset:172
.LBB113_56:
	s_or_b64 exec, exec, s[10:11]
	buffer_load_dword v125, off, s[0:3], 0 offset:168
	v_cmp_lt_u32_e64 s[4:5], 42, v0
	s_waitcnt vmcnt(0)
	ds_write_b32 v102, v125
	s_waitcnt lgkmcnt(0)
	; wave barrier
	s_waitcnt lgkmcnt(0)
	s_and_saveexec_b64 s[10:11], s[4:5]
	s_cbranch_execz .LBB113_66
; %bb.57:
	s_andn2_b64 vcc, exec, s[8:9]
	s_cbranch_vccnz .LBB113_59
; %bb.58:
	buffer_load_dword v125, v103, s[0:3], 0 offen
	ds_read_b32 v126, v102
	s_waitcnt vmcnt(0) lgkmcnt(0)
	v_mul_f32_e32 v125, v125, v126
	s_cbranch_execz .LBB113_60
	s_branch .LBB113_61
.LBB113_59:
                                        ; implicit-def: $vgpr125
.LBB113_60:
	ds_read_b32 v125, v102
.LBB113_61:
	s_and_saveexec_b64 s[12:13], s[6:7]
	s_cbranch_execz .LBB113_65
; %bb.62:
	v_mov_b32_e32 v126, 0
	v_add_u32_e32 v126, 0xac, v126
	v_subrev_u32_e32 v127, 43, v0
	s_movk_i32 s14, 0x17c
	s_mov_b64 s[6:7], 0
.LBB113_63:                             ; =>This Inner Loop Header: Depth=1
	buffer_load_dword v128, v126, s[0:3], 0 offen
	v_mov_b32_e32 v129, s14
	ds_read_b32 v129, v129
	v_add_u32_e32 v127, -1, v127
	s_add_i32 s14, s14, 4
	v_cmp_eq_u32_e32 vcc, 0, v127
	v_add_u32_e32 v126, 4, v126
	s_or_b64 s[6:7], vcc, s[6:7]
	s_waitcnt vmcnt(0) lgkmcnt(0)
	v_fmac_f32_e32 v125, v128, v129
	s_andn2_b64 exec, exec, s[6:7]
	s_cbranch_execnz .LBB113_63
; %bb.64:
	s_or_b64 exec, exec, s[6:7]
.LBB113_65:
	s_or_b64 exec, exec, s[12:13]
	v_mov_b32_e32 v126, 0
	ds_read_b32 v126, v126 offset:168
	s_waitcnt lgkmcnt(0)
	v_mul_f32_e32 v125, v125, v126
	buffer_store_dword v125, off, s[0:3], 0 offset:168
.LBB113_66:
	s_or_b64 exec, exec, s[10:11]
	buffer_load_dword v125, off, s[0:3], 0 offset:164
	v_cmp_lt_u32_e64 s[6:7], 41, v0
	s_waitcnt vmcnt(0)
	ds_write_b32 v102, v125
	s_waitcnt lgkmcnt(0)
	; wave barrier
	s_waitcnt lgkmcnt(0)
	s_and_saveexec_b64 s[10:11], s[6:7]
	s_cbranch_execz .LBB113_76
; %bb.67:
	s_andn2_b64 vcc, exec, s[8:9]
	s_cbranch_vccnz .LBB113_69
; %bb.68:
	buffer_load_dword v125, v103, s[0:3], 0 offen
	ds_read_b32 v126, v102
	s_waitcnt vmcnt(0) lgkmcnt(0)
	v_mul_f32_e32 v125, v125, v126
	s_cbranch_execz .LBB113_70
	s_branch .LBB113_71
.LBB113_69:
                                        ; implicit-def: $vgpr125
.LBB113_70:
	ds_read_b32 v125, v102
.LBB113_71:
	s_and_saveexec_b64 s[12:13], s[4:5]
	s_cbranch_execz .LBB113_75
; %bb.72:
	v_subrev_u32_e32 v126, 42, v0
	s_movk_i32 s14, 0x178
	s_mov_b64 s[4:5], 0
.LBB113_73:                             ; =>This Inner Loop Header: Depth=1
	buffer_load_dword v127, v124, s[0:3], 0 offen
	v_mov_b32_e32 v128, s14
	ds_read_b32 v128, v128
	v_add_u32_e32 v126, -1, v126
	s_add_i32 s14, s14, 4
	v_cmp_eq_u32_e32 vcc, 0, v126
	v_add_u32_e32 v124, 4, v124
	s_or_b64 s[4:5], vcc, s[4:5]
	s_waitcnt vmcnt(0) lgkmcnt(0)
	v_fmac_f32_e32 v125, v127, v128
	s_andn2_b64 exec, exec, s[4:5]
	s_cbranch_execnz .LBB113_73
; %bb.74:
	s_or_b64 exec, exec, s[4:5]
.LBB113_75:
	s_or_b64 exec, exec, s[12:13]
	v_mov_b32_e32 v124, 0
	ds_read_b32 v124, v124 offset:164
	s_waitcnt lgkmcnt(0)
	v_mul_f32_e32 v124, v125, v124
	buffer_store_dword v124, off, s[0:3], 0 offset:164
.LBB113_76:
	s_or_b64 exec, exec, s[10:11]
	buffer_load_dword v124, off, s[0:3], 0 offset:160
	v_cmp_lt_u32_e64 s[4:5], 40, v0
	s_waitcnt vmcnt(0)
	ds_write_b32 v102, v124
	s_waitcnt lgkmcnt(0)
	; wave barrier
	s_waitcnt lgkmcnt(0)
	s_and_saveexec_b64 s[10:11], s[4:5]
	s_cbranch_execz .LBB113_86
; %bb.77:
	s_andn2_b64 vcc, exec, s[8:9]
	s_cbranch_vccnz .LBB113_79
; %bb.78:
	buffer_load_dword v124, v103, s[0:3], 0 offen
	ds_read_b32 v125, v102
	s_waitcnt vmcnt(0) lgkmcnt(0)
	v_mul_f32_e32 v124, v124, v125
	s_cbranch_execz .LBB113_80
	s_branch .LBB113_81
.LBB113_79:
                                        ; implicit-def: $vgpr124
.LBB113_80:
	ds_read_b32 v124, v102
.LBB113_81:
	s_and_saveexec_b64 s[12:13], s[6:7]
	s_cbranch_execz .LBB113_85
; %bb.82:
	v_mov_b32_e32 v125, 0
	v_add_u32_e32 v125, 0xa4, v125
	v_subrev_u32_e32 v126, 41, v0
	s_movk_i32 s14, 0x174
	s_mov_b64 s[6:7], 0
.LBB113_83:                             ; =>This Inner Loop Header: Depth=1
	buffer_load_dword v127, v125, s[0:3], 0 offen
	v_mov_b32_e32 v128, s14
	ds_read_b32 v128, v128
	v_add_u32_e32 v126, -1, v126
	s_add_i32 s14, s14, 4
	v_cmp_eq_u32_e32 vcc, 0, v126
	v_add_u32_e32 v125, 4, v125
	s_or_b64 s[6:7], vcc, s[6:7]
	s_waitcnt vmcnt(0) lgkmcnt(0)
	v_fmac_f32_e32 v124, v127, v128
	s_andn2_b64 exec, exec, s[6:7]
	s_cbranch_execnz .LBB113_83
; %bb.84:
	s_or_b64 exec, exec, s[6:7]
.LBB113_85:
	s_or_b64 exec, exec, s[12:13]
	v_mov_b32_e32 v125, 0
	ds_read_b32 v125, v125 offset:160
	s_waitcnt lgkmcnt(0)
	v_mul_f32_e32 v124, v124, v125
	buffer_store_dword v124, off, s[0:3], 0 offset:160
.LBB113_86:
	s_or_b64 exec, exec, s[10:11]
	buffer_load_dword v124, off, s[0:3], 0 offset:156
	v_cmp_lt_u32_e64 s[6:7], 39, v0
	s_waitcnt vmcnt(0)
	ds_write_b32 v102, v124
	s_waitcnt lgkmcnt(0)
	; wave barrier
	s_waitcnt lgkmcnt(0)
	s_and_saveexec_b64 s[10:11], s[6:7]
	s_cbranch_execz .LBB113_96
; %bb.87:
	s_andn2_b64 vcc, exec, s[8:9]
	s_cbranch_vccnz .LBB113_89
; %bb.88:
	buffer_load_dword v124, v103, s[0:3], 0 offen
	ds_read_b32 v125, v102
	s_waitcnt vmcnt(0) lgkmcnt(0)
	v_mul_f32_e32 v124, v124, v125
	s_cbranch_execz .LBB113_90
	s_branch .LBB113_91
.LBB113_89:
                                        ; implicit-def: $vgpr124
.LBB113_90:
	ds_read_b32 v124, v102
.LBB113_91:
	s_and_saveexec_b64 s[12:13], s[4:5]
	s_cbranch_execz .LBB113_95
; %bb.92:
	v_subrev_u32_e32 v125, 40, v0
	s_movk_i32 s14, 0x170
	s_mov_b64 s[4:5], 0
.LBB113_93:                             ; =>This Inner Loop Header: Depth=1
	buffer_load_dword v126, v123, s[0:3], 0 offen
	v_mov_b32_e32 v127, s14
	ds_read_b32 v127, v127
	v_add_u32_e32 v125, -1, v125
	s_add_i32 s14, s14, 4
	v_cmp_eq_u32_e32 vcc, 0, v125
	v_add_u32_e32 v123, 4, v123
	s_or_b64 s[4:5], vcc, s[4:5]
	s_waitcnt vmcnt(0) lgkmcnt(0)
	v_fmac_f32_e32 v124, v126, v127
	s_andn2_b64 exec, exec, s[4:5]
	s_cbranch_execnz .LBB113_93
; %bb.94:
	s_or_b64 exec, exec, s[4:5]
.LBB113_95:
	s_or_b64 exec, exec, s[12:13]
	v_mov_b32_e32 v123, 0
	ds_read_b32 v123, v123 offset:156
	s_waitcnt lgkmcnt(0)
	v_mul_f32_e32 v123, v124, v123
	buffer_store_dword v123, off, s[0:3], 0 offset:156
.LBB113_96:
	s_or_b64 exec, exec, s[10:11]
	buffer_load_dword v123, off, s[0:3], 0 offset:152
	v_cmp_lt_u32_e64 s[4:5], 38, v0
	s_waitcnt vmcnt(0)
	ds_write_b32 v102, v123
	s_waitcnt lgkmcnt(0)
	; wave barrier
	s_waitcnt lgkmcnt(0)
	s_and_saveexec_b64 s[10:11], s[4:5]
	s_cbranch_execz .LBB113_106
; %bb.97:
	s_andn2_b64 vcc, exec, s[8:9]
	s_cbranch_vccnz .LBB113_99
; %bb.98:
	buffer_load_dword v123, v103, s[0:3], 0 offen
	ds_read_b32 v124, v102
	s_waitcnt vmcnt(0) lgkmcnt(0)
	v_mul_f32_e32 v123, v123, v124
	s_cbranch_execz .LBB113_100
	s_branch .LBB113_101
.LBB113_99:
                                        ; implicit-def: $vgpr123
.LBB113_100:
	ds_read_b32 v123, v102
.LBB113_101:
	s_and_saveexec_b64 s[12:13], s[6:7]
	s_cbranch_execz .LBB113_105
; %bb.102:
	v_mov_b32_e32 v124, 0
	v_add_u32_e32 v124, 0x9c, v124
	v_subrev_u32_e32 v125, 39, v0
	s_movk_i32 s14, 0x16c
	s_mov_b64 s[6:7], 0
.LBB113_103:                            ; =>This Inner Loop Header: Depth=1
	buffer_load_dword v126, v124, s[0:3], 0 offen
	v_mov_b32_e32 v127, s14
	ds_read_b32 v127, v127
	v_add_u32_e32 v125, -1, v125
	s_add_i32 s14, s14, 4
	v_cmp_eq_u32_e32 vcc, 0, v125
	v_add_u32_e32 v124, 4, v124
	s_or_b64 s[6:7], vcc, s[6:7]
	s_waitcnt vmcnt(0) lgkmcnt(0)
	v_fmac_f32_e32 v123, v126, v127
	s_andn2_b64 exec, exec, s[6:7]
	s_cbranch_execnz .LBB113_103
; %bb.104:
	s_or_b64 exec, exec, s[6:7]
.LBB113_105:
	s_or_b64 exec, exec, s[12:13]
	v_mov_b32_e32 v124, 0
	ds_read_b32 v124, v124 offset:152
	s_waitcnt lgkmcnt(0)
	v_mul_f32_e32 v123, v123, v124
	buffer_store_dword v123, off, s[0:3], 0 offset:152
.LBB113_106:
	s_or_b64 exec, exec, s[10:11]
	buffer_load_dword v123, off, s[0:3], 0 offset:148
	v_cmp_lt_u32_e64 s[6:7], 37, v0
	s_waitcnt vmcnt(0)
	ds_write_b32 v102, v123
	s_waitcnt lgkmcnt(0)
	; wave barrier
	s_waitcnt lgkmcnt(0)
	s_and_saveexec_b64 s[10:11], s[6:7]
	s_cbranch_execz .LBB113_116
; %bb.107:
	s_andn2_b64 vcc, exec, s[8:9]
	s_cbranch_vccnz .LBB113_109
; %bb.108:
	buffer_load_dword v123, v103, s[0:3], 0 offen
	ds_read_b32 v124, v102
	s_waitcnt vmcnt(0) lgkmcnt(0)
	v_mul_f32_e32 v123, v123, v124
	s_cbranch_execz .LBB113_110
	s_branch .LBB113_111
.LBB113_109:
                                        ; implicit-def: $vgpr123
.LBB113_110:
	ds_read_b32 v123, v102
.LBB113_111:
	s_and_saveexec_b64 s[12:13], s[4:5]
	s_cbranch_execz .LBB113_115
; %bb.112:
	v_subrev_u32_e32 v124, 38, v0
	s_movk_i32 s14, 0x168
	s_mov_b64 s[4:5], 0
.LBB113_113:                            ; =>This Inner Loop Header: Depth=1
	buffer_load_dword v125, v122, s[0:3], 0 offen
	v_mov_b32_e32 v126, s14
	ds_read_b32 v126, v126
	v_add_u32_e32 v124, -1, v124
	s_add_i32 s14, s14, 4
	v_cmp_eq_u32_e32 vcc, 0, v124
	v_add_u32_e32 v122, 4, v122
	s_or_b64 s[4:5], vcc, s[4:5]
	s_waitcnt vmcnt(0) lgkmcnt(0)
	v_fmac_f32_e32 v123, v125, v126
	s_andn2_b64 exec, exec, s[4:5]
	s_cbranch_execnz .LBB113_113
; %bb.114:
	s_or_b64 exec, exec, s[4:5]
.LBB113_115:
	s_or_b64 exec, exec, s[12:13]
	v_mov_b32_e32 v122, 0
	ds_read_b32 v122, v122 offset:148
	s_waitcnt lgkmcnt(0)
	v_mul_f32_e32 v122, v123, v122
	buffer_store_dword v122, off, s[0:3], 0 offset:148
.LBB113_116:
	s_or_b64 exec, exec, s[10:11]
	buffer_load_dword v122, off, s[0:3], 0 offset:144
	v_cmp_lt_u32_e64 s[4:5], 36, v0
	s_waitcnt vmcnt(0)
	ds_write_b32 v102, v122
	s_waitcnt lgkmcnt(0)
	; wave barrier
	s_waitcnt lgkmcnt(0)
	s_and_saveexec_b64 s[10:11], s[4:5]
	s_cbranch_execz .LBB113_126
; %bb.117:
	s_andn2_b64 vcc, exec, s[8:9]
	s_cbranch_vccnz .LBB113_119
; %bb.118:
	buffer_load_dword v122, v103, s[0:3], 0 offen
	ds_read_b32 v123, v102
	s_waitcnt vmcnt(0) lgkmcnt(0)
	v_mul_f32_e32 v122, v122, v123
	s_cbranch_execz .LBB113_120
	s_branch .LBB113_121
.LBB113_119:
                                        ; implicit-def: $vgpr122
.LBB113_120:
	ds_read_b32 v122, v102
.LBB113_121:
	s_and_saveexec_b64 s[12:13], s[6:7]
	s_cbranch_execz .LBB113_125
; %bb.122:
	v_mov_b32_e32 v123, 0
	v_add_u32_e32 v123, 0x94, v123
	v_subrev_u32_e32 v124, 37, v0
	s_movk_i32 s14, 0x164
	s_mov_b64 s[6:7], 0
.LBB113_123:                            ; =>This Inner Loop Header: Depth=1
	buffer_load_dword v125, v123, s[0:3], 0 offen
	v_mov_b32_e32 v126, s14
	ds_read_b32 v126, v126
	v_add_u32_e32 v124, -1, v124
	s_add_i32 s14, s14, 4
	v_cmp_eq_u32_e32 vcc, 0, v124
	v_add_u32_e32 v123, 4, v123
	s_or_b64 s[6:7], vcc, s[6:7]
	s_waitcnt vmcnt(0) lgkmcnt(0)
	v_fmac_f32_e32 v122, v125, v126
	s_andn2_b64 exec, exec, s[6:7]
	s_cbranch_execnz .LBB113_123
; %bb.124:
	s_or_b64 exec, exec, s[6:7]
.LBB113_125:
	s_or_b64 exec, exec, s[12:13]
	v_mov_b32_e32 v123, 0
	ds_read_b32 v123, v123 offset:144
	s_waitcnt lgkmcnt(0)
	v_mul_f32_e32 v122, v122, v123
	buffer_store_dword v122, off, s[0:3], 0 offset:144
.LBB113_126:
	s_or_b64 exec, exec, s[10:11]
	buffer_load_dword v122, off, s[0:3], 0 offset:140
	v_cmp_lt_u32_e64 s[6:7], 35, v0
	s_waitcnt vmcnt(0)
	ds_write_b32 v102, v122
	s_waitcnt lgkmcnt(0)
	; wave barrier
	s_waitcnt lgkmcnt(0)
	s_and_saveexec_b64 s[10:11], s[6:7]
	s_cbranch_execz .LBB113_136
; %bb.127:
	s_andn2_b64 vcc, exec, s[8:9]
	s_cbranch_vccnz .LBB113_129
; %bb.128:
	buffer_load_dword v122, v103, s[0:3], 0 offen
	ds_read_b32 v123, v102
	s_waitcnt vmcnt(0) lgkmcnt(0)
	v_mul_f32_e32 v122, v122, v123
	s_cbranch_execz .LBB113_130
	s_branch .LBB113_131
.LBB113_129:
                                        ; implicit-def: $vgpr122
.LBB113_130:
	ds_read_b32 v122, v102
.LBB113_131:
	s_and_saveexec_b64 s[12:13], s[4:5]
	s_cbranch_execz .LBB113_135
; %bb.132:
	v_subrev_u32_e32 v123, 36, v0
	s_movk_i32 s14, 0x160
	s_mov_b64 s[4:5], 0
.LBB113_133:                            ; =>This Inner Loop Header: Depth=1
	buffer_load_dword v124, v121, s[0:3], 0 offen
	v_mov_b32_e32 v125, s14
	ds_read_b32 v125, v125
	v_add_u32_e32 v123, -1, v123
	s_add_i32 s14, s14, 4
	v_cmp_eq_u32_e32 vcc, 0, v123
	v_add_u32_e32 v121, 4, v121
	s_or_b64 s[4:5], vcc, s[4:5]
	s_waitcnt vmcnt(0) lgkmcnt(0)
	v_fmac_f32_e32 v122, v124, v125
	s_andn2_b64 exec, exec, s[4:5]
	s_cbranch_execnz .LBB113_133
; %bb.134:
	s_or_b64 exec, exec, s[4:5]
.LBB113_135:
	s_or_b64 exec, exec, s[12:13]
	v_mov_b32_e32 v121, 0
	ds_read_b32 v121, v121 offset:140
	s_waitcnt lgkmcnt(0)
	v_mul_f32_e32 v121, v122, v121
	buffer_store_dword v121, off, s[0:3], 0 offset:140
.LBB113_136:
	s_or_b64 exec, exec, s[10:11]
	buffer_load_dword v121, off, s[0:3], 0 offset:136
	v_cmp_lt_u32_e64 s[4:5], 34, v0
	s_waitcnt vmcnt(0)
	ds_write_b32 v102, v121
	s_waitcnt lgkmcnt(0)
	; wave barrier
	s_waitcnt lgkmcnt(0)
	s_and_saveexec_b64 s[10:11], s[4:5]
	s_cbranch_execz .LBB113_146
; %bb.137:
	s_andn2_b64 vcc, exec, s[8:9]
	s_cbranch_vccnz .LBB113_139
; %bb.138:
	buffer_load_dword v121, v103, s[0:3], 0 offen
	ds_read_b32 v122, v102
	s_waitcnt vmcnt(0) lgkmcnt(0)
	v_mul_f32_e32 v121, v121, v122
	s_cbranch_execz .LBB113_140
	s_branch .LBB113_141
.LBB113_139:
                                        ; implicit-def: $vgpr121
.LBB113_140:
	ds_read_b32 v121, v102
.LBB113_141:
	s_and_saveexec_b64 s[12:13], s[6:7]
	s_cbranch_execz .LBB113_145
; %bb.142:
	v_mov_b32_e32 v122, 0
	v_add_u32_e32 v122, 0x8c, v122
	v_subrev_u32_e32 v123, 35, v0
	s_movk_i32 s14, 0x15c
	s_mov_b64 s[6:7], 0
.LBB113_143:                            ; =>This Inner Loop Header: Depth=1
	buffer_load_dword v124, v122, s[0:3], 0 offen
	v_mov_b32_e32 v125, s14
	ds_read_b32 v125, v125
	v_add_u32_e32 v123, -1, v123
	s_add_i32 s14, s14, 4
	v_cmp_eq_u32_e32 vcc, 0, v123
	v_add_u32_e32 v122, 4, v122
	s_or_b64 s[6:7], vcc, s[6:7]
	s_waitcnt vmcnt(0) lgkmcnt(0)
	v_fmac_f32_e32 v121, v124, v125
	s_andn2_b64 exec, exec, s[6:7]
	s_cbranch_execnz .LBB113_143
; %bb.144:
	s_or_b64 exec, exec, s[6:7]
.LBB113_145:
	s_or_b64 exec, exec, s[12:13]
	v_mov_b32_e32 v122, 0
	ds_read_b32 v122, v122 offset:136
	s_waitcnt lgkmcnt(0)
	v_mul_f32_e32 v121, v121, v122
	buffer_store_dword v121, off, s[0:3], 0 offset:136
.LBB113_146:
	s_or_b64 exec, exec, s[10:11]
	buffer_load_dword v121, off, s[0:3], 0 offset:132
	v_cmp_lt_u32_e64 s[6:7], 33, v0
	s_waitcnt vmcnt(0)
	ds_write_b32 v102, v121
	s_waitcnt lgkmcnt(0)
	; wave barrier
	s_waitcnt lgkmcnt(0)
	s_and_saveexec_b64 s[10:11], s[6:7]
	s_cbranch_execz .LBB113_156
; %bb.147:
	s_andn2_b64 vcc, exec, s[8:9]
	s_cbranch_vccnz .LBB113_149
; %bb.148:
	buffer_load_dword v121, v103, s[0:3], 0 offen
	ds_read_b32 v122, v102
	s_waitcnt vmcnt(0) lgkmcnt(0)
	v_mul_f32_e32 v121, v121, v122
	s_cbranch_execz .LBB113_150
	s_branch .LBB113_151
.LBB113_149:
                                        ; implicit-def: $vgpr121
.LBB113_150:
	ds_read_b32 v121, v102
.LBB113_151:
	s_and_saveexec_b64 s[12:13], s[4:5]
	s_cbranch_execz .LBB113_155
; %bb.152:
	v_subrev_u32_e32 v122, 34, v0
	s_movk_i32 s14, 0x158
	s_mov_b64 s[4:5], 0
.LBB113_153:                            ; =>This Inner Loop Header: Depth=1
	buffer_load_dword v123, v120, s[0:3], 0 offen
	v_mov_b32_e32 v124, s14
	ds_read_b32 v124, v124
	v_add_u32_e32 v122, -1, v122
	s_add_i32 s14, s14, 4
	v_cmp_eq_u32_e32 vcc, 0, v122
	v_add_u32_e32 v120, 4, v120
	s_or_b64 s[4:5], vcc, s[4:5]
	s_waitcnt vmcnt(0) lgkmcnt(0)
	v_fmac_f32_e32 v121, v123, v124
	s_andn2_b64 exec, exec, s[4:5]
	s_cbranch_execnz .LBB113_153
; %bb.154:
	s_or_b64 exec, exec, s[4:5]
.LBB113_155:
	s_or_b64 exec, exec, s[12:13]
	v_mov_b32_e32 v120, 0
	ds_read_b32 v120, v120 offset:132
	s_waitcnt lgkmcnt(0)
	v_mul_f32_e32 v120, v121, v120
	buffer_store_dword v120, off, s[0:3], 0 offset:132
.LBB113_156:
	s_or_b64 exec, exec, s[10:11]
	buffer_load_dword v120, off, s[0:3], 0 offset:128
	v_cmp_lt_u32_e64 s[4:5], 32, v0
	s_waitcnt vmcnt(0)
	ds_write_b32 v102, v120
	s_waitcnt lgkmcnt(0)
	; wave barrier
	s_waitcnt lgkmcnt(0)
	s_and_saveexec_b64 s[10:11], s[4:5]
	s_cbranch_execz .LBB113_166
; %bb.157:
	s_andn2_b64 vcc, exec, s[8:9]
	s_cbranch_vccnz .LBB113_159
; %bb.158:
	buffer_load_dword v120, v103, s[0:3], 0 offen
	ds_read_b32 v121, v102
	s_waitcnt vmcnt(0) lgkmcnt(0)
	v_mul_f32_e32 v120, v120, v121
	s_cbranch_execz .LBB113_160
	s_branch .LBB113_161
.LBB113_159:
                                        ; implicit-def: $vgpr120
.LBB113_160:
	ds_read_b32 v120, v102
.LBB113_161:
	s_and_saveexec_b64 s[12:13], s[6:7]
	s_cbranch_execz .LBB113_165
; %bb.162:
	v_mov_b32_e32 v121, 0
	v_add_u32_e32 v121, 0x84, v121
	v_subrev_u32_e32 v122, 33, v0
	s_movk_i32 s14, 0x154
	s_mov_b64 s[6:7], 0
.LBB113_163:                            ; =>This Inner Loop Header: Depth=1
	buffer_load_dword v123, v121, s[0:3], 0 offen
	v_mov_b32_e32 v124, s14
	ds_read_b32 v124, v124
	v_add_u32_e32 v122, -1, v122
	s_add_i32 s14, s14, 4
	v_cmp_eq_u32_e32 vcc, 0, v122
	v_add_u32_e32 v121, 4, v121
	s_or_b64 s[6:7], vcc, s[6:7]
	s_waitcnt vmcnt(0) lgkmcnt(0)
	v_fmac_f32_e32 v120, v123, v124
	s_andn2_b64 exec, exec, s[6:7]
	s_cbranch_execnz .LBB113_163
; %bb.164:
	s_or_b64 exec, exec, s[6:7]
.LBB113_165:
	s_or_b64 exec, exec, s[12:13]
	v_mov_b32_e32 v121, 0
	ds_read_b32 v121, v121 offset:128
	s_waitcnt lgkmcnt(0)
	v_mul_f32_e32 v120, v120, v121
	buffer_store_dword v120, off, s[0:3], 0 offset:128
.LBB113_166:
	s_or_b64 exec, exec, s[10:11]
	buffer_load_dword v120, off, s[0:3], 0 offset:124
	v_cmp_lt_u32_e64 s[6:7], 31, v0
	s_waitcnt vmcnt(0)
	ds_write_b32 v102, v120
	s_waitcnt lgkmcnt(0)
	; wave barrier
	s_waitcnt lgkmcnt(0)
	s_and_saveexec_b64 s[10:11], s[6:7]
	s_cbranch_execz .LBB113_176
; %bb.167:
	s_andn2_b64 vcc, exec, s[8:9]
	s_cbranch_vccnz .LBB113_169
; %bb.168:
	buffer_load_dword v120, v103, s[0:3], 0 offen
	ds_read_b32 v121, v102
	s_waitcnt vmcnt(0) lgkmcnt(0)
	v_mul_f32_e32 v120, v120, v121
	s_cbranch_execz .LBB113_170
	s_branch .LBB113_171
.LBB113_169:
                                        ; implicit-def: $vgpr120
.LBB113_170:
	ds_read_b32 v120, v102
.LBB113_171:
	s_and_saveexec_b64 s[12:13], s[4:5]
	s_cbranch_execz .LBB113_175
; %bb.172:
	v_subrev_u32_e32 v121, 32, v0
	s_movk_i32 s14, 0x150
	s_mov_b64 s[4:5], 0
.LBB113_173:                            ; =>This Inner Loop Header: Depth=1
	buffer_load_dword v122, v119, s[0:3], 0 offen
	v_mov_b32_e32 v123, s14
	ds_read_b32 v123, v123
	v_add_u32_e32 v121, -1, v121
	s_add_i32 s14, s14, 4
	v_cmp_eq_u32_e32 vcc, 0, v121
	v_add_u32_e32 v119, 4, v119
	s_or_b64 s[4:5], vcc, s[4:5]
	s_waitcnt vmcnt(0) lgkmcnt(0)
	v_fmac_f32_e32 v120, v122, v123
	s_andn2_b64 exec, exec, s[4:5]
	s_cbranch_execnz .LBB113_173
; %bb.174:
	s_or_b64 exec, exec, s[4:5]
.LBB113_175:
	s_or_b64 exec, exec, s[12:13]
	v_mov_b32_e32 v119, 0
	ds_read_b32 v119, v119 offset:124
	s_waitcnt lgkmcnt(0)
	v_mul_f32_e32 v119, v120, v119
	buffer_store_dword v119, off, s[0:3], 0 offset:124
.LBB113_176:
	s_or_b64 exec, exec, s[10:11]
	buffer_load_dword v119, off, s[0:3], 0 offset:120
	v_cmp_lt_u32_e64 s[4:5], 30, v0
	s_waitcnt vmcnt(0)
	ds_write_b32 v102, v119
	s_waitcnt lgkmcnt(0)
	; wave barrier
	s_waitcnt lgkmcnt(0)
	s_and_saveexec_b64 s[10:11], s[4:5]
	s_cbranch_execz .LBB113_186
; %bb.177:
	s_andn2_b64 vcc, exec, s[8:9]
	s_cbranch_vccnz .LBB113_179
; %bb.178:
	buffer_load_dword v119, v103, s[0:3], 0 offen
	ds_read_b32 v120, v102
	s_waitcnt vmcnt(0) lgkmcnt(0)
	v_mul_f32_e32 v119, v119, v120
	s_cbranch_execz .LBB113_180
	s_branch .LBB113_181
.LBB113_179:
                                        ; implicit-def: $vgpr119
.LBB113_180:
	ds_read_b32 v119, v102
.LBB113_181:
	s_and_saveexec_b64 s[12:13], s[6:7]
	s_cbranch_execz .LBB113_185
; %bb.182:
	v_mov_b32_e32 v120, 0
	v_add_u32_e32 v120, 0x7c, v120
	v_subrev_u32_e32 v121, 31, v0
	s_movk_i32 s14, 0x14c
	s_mov_b64 s[6:7], 0
.LBB113_183:                            ; =>This Inner Loop Header: Depth=1
	buffer_load_dword v122, v120, s[0:3], 0 offen
	v_mov_b32_e32 v123, s14
	ds_read_b32 v123, v123
	v_add_u32_e32 v121, -1, v121
	s_add_i32 s14, s14, 4
	v_cmp_eq_u32_e32 vcc, 0, v121
	v_add_u32_e32 v120, 4, v120
	s_or_b64 s[6:7], vcc, s[6:7]
	s_waitcnt vmcnt(0) lgkmcnt(0)
	v_fmac_f32_e32 v119, v122, v123
	s_andn2_b64 exec, exec, s[6:7]
	s_cbranch_execnz .LBB113_183
; %bb.184:
	s_or_b64 exec, exec, s[6:7]
.LBB113_185:
	s_or_b64 exec, exec, s[12:13]
	v_mov_b32_e32 v120, 0
	ds_read_b32 v120, v120 offset:120
	s_waitcnt lgkmcnt(0)
	v_mul_f32_e32 v119, v119, v120
	buffer_store_dword v119, off, s[0:3], 0 offset:120
.LBB113_186:
	s_or_b64 exec, exec, s[10:11]
	buffer_load_dword v119, off, s[0:3], 0 offset:116
	v_cmp_lt_u32_e64 s[6:7], 29, v0
	s_waitcnt vmcnt(0)
	ds_write_b32 v102, v119
	s_waitcnt lgkmcnt(0)
	; wave barrier
	s_waitcnt lgkmcnt(0)
	s_and_saveexec_b64 s[10:11], s[6:7]
	s_cbranch_execz .LBB113_196
; %bb.187:
	s_andn2_b64 vcc, exec, s[8:9]
	s_cbranch_vccnz .LBB113_189
; %bb.188:
	buffer_load_dword v119, v103, s[0:3], 0 offen
	ds_read_b32 v120, v102
	s_waitcnt vmcnt(0) lgkmcnt(0)
	v_mul_f32_e32 v119, v119, v120
	s_cbranch_execz .LBB113_190
	s_branch .LBB113_191
.LBB113_189:
                                        ; implicit-def: $vgpr119
.LBB113_190:
	ds_read_b32 v119, v102
.LBB113_191:
	s_and_saveexec_b64 s[12:13], s[4:5]
	s_cbranch_execz .LBB113_195
; %bb.192:
	v_subrev_u32_e32 v120, 30, v0
	s_movk_i32 s14, 0x148
	s_mov_b64 s[4:5], 0
.LBB113_193:                            ; =>This Inner Loop Header: Depth=1
	buffer_load_dword v121, v118, s[0:3], 0 offen
	v_mov_b32_e32 v122, s14
	ds_read_b32 v122, v122
	v_add_u32_e32 v120, -1, v120
	s_add_i32 s14, s14, 4
	v_cmp_eq_u32_e32 vcc, 0, v120
	v_add_u32_e32 v118, 4, v118
	s_or_b64 s[4:5], vcc, s[4:5]
	s_waitcnt vmcnt(0) lgkmcnt(0)
	v_fmac_f32_e32 v119, v121, v122
	s_andn2_b64 exec, exec, s[4:5]
	s_cbranch_execnz .LBB113_193
; %bb.194:
	s_or_b64 exec, exec, s[4:5]
.LBB113_195:
	s_or_b64 exec, exec, s[12:13]
	v_mov_b32_e32 v118, 0
	ds_read_b32 v118, v118 offset:116
	s_waitcnt lgkmcnt(0)
	v_mul_f32_e32 v118, v119, v118
	buffer_store_dword v118, off, s[0:3], 0 offset:116
.LBB113_196:
	s_or_b64 exec, exec, s[10:11]
	buffer_load_dword v118, off, s[0:3], 0 offset:112
	v_cmp_lt_u32_e64 s[4:5], 28, v0
	s_waitcnt vmcnt(0)
	ds_write_b32 v102, v118
	s_waitcnt lgkmcnt(0)
	; wave barrier
	s_waitcnt lgkmcnt(0)
	s_and_saveexec_b64 s[10:11], s[4:5]
	s_cbranch_execz .LBB113_206
; %bb.197:
	s_andn2_b64 vcc, exec, s[8:9]
	s_cbranch_vccnz .LBB113_199
; %bb.198:
	buffer_load_dword v118, v103, s[0:3], 0 offen
	ds_read_b32 v119, v102
	s_waitcnt vmcnt(0) lgkmcnt(0)
	v_mul_f32_e32 v118, v118, v119
	s_cbranch_execz .LBB113_200
	s_branch .LBB113_201
.LBB113_199:
                                        ; implicit-def: $vgpr118
.LBB113_200:
	ds_read_b32 v118, v102
.LBB113_201:
	s_and_saveexec_b64 s[12:13], s[6:7]
	s_cbranch_execz .LBB113_205
; %bb.202:
	v_mov_b32_e32 v119, 0
	v_add_u32_e32 v119, 0x74, v119
	v_subrev_u32_e32 v120, 29, v0
	s_movk_i32 s14, 0x144
	s_mov_b64 s[6:7], 0
.LBB113_203:                            ; =>This Inner Loop Header: Depth=1
	buffer_load_dword v121, v119, s[0:3], 0 offen
	v_mov_b32_e32 v122, s14
	ds_read_b32 v122, v122
	v_add_u32_e32 v120, -1, v120
	s_add_i32 s14, s14, 4
	v_cmp_eq_u32_e32 vcc, 0, v120
	v_add_u32_e32 v119, 4, v119
	s_or_b64 s[6:7], vcc, s[6:7]
	s_waitcnt vmcnt(0) lgkmcnt(0)
	v_fmac_f32_e32 v118, v121, v122
	s_andn2_b64 exec, exec, s[6:7]
	s_cbranch_execnz .LBB113_203
; %bb.204:
	s_or_b64 exec, exec, s[6:7]
.LBB113_205:
	s_or_b64 exec, exec, s[12:13]
	v_mov_b32_e32 v119, 0
	ds_read_b32 v119, v119 offset:112
	s_waitcnt lgkmcnt(0)
	v_mul_f32_e32 v118, v118, v119
	buffer_store_dword v118, off, s[0:3], 0 offset:112
.LBB113_206:
	s_or_b64 exec, exec, s[10:11]
	buffer_load_dword v118, off, s[0:3], 0 offset:108
	v_cmp_lt_u32_e64 s[6:7], 27, v0
	s_waitcnt vmcnt(0)
	ds_write_b32 v102, v118
	s_waitcnt lgkmcnt(0)
	; wave barrier
	s_waitcnt lgkmcnt(0)
	s_and_saveexec_b64 s[10:11], s[6:7]
	s_cbranch_execz .LBB113_216
; %bb.207:
	s_andn2_b64 vcc, exec, s[8:9]
	s_cbranch_vccnz .LBB113_209
; %bb.208:
	buffer_load_dword v118, v103, s[0:3], 0 offen
	ds_read_b32 v119, v102
	s_waitcnt vmcnt(0) lgkmcnt(0)
	v_mul_f32_e32 v118, v118, v119
	s_cbranch_execz .LBB113_210
	s_branch .LBB113_211
.LBB113_209:
                                        ; implicit-def: $vgpr118
.LBB113_210:
	ds_read_b32 v118, v102
.LBB113_211:
	s_and_saveexec_b64 s[12:13], s[4:5]
	s_cbranch_execz .LBB113_215
; %bb.212:
	v_subrev_u32_e32 v119, 28, v0
	s_movk_i32 s14, 0x140
	s_mov_b64 s[4:5], 0
.LBB113_213:                            ; =>This Inner Loop Header: Depth=1
	buffer_load_dword v120, v117, s[0:3], 0 offen
	v_mov_b32_e32 v121, s14
	ds_read_b32 v121, v121
	v_add_u32_e32 v119, -1, v119
	s_add_i32 s14, s14, 4
	v_cmp_eq_u32_e32 vcc, 0, v119
	v_add_u32_e32 v117, 4, v117
	s_or_b64 s[4:5], vcc, s[4:5]
	s_waitcnt vmcnt(0) lgkmcnt(0)
	v_fmac_f32_e32 v118, v120, v121
	s_andn2_b64 exec, exec, s[4:5]
	s_cbranch_execnz .LBB113_213
; %bb.214:
	s_or_b64 exec, exec, s[4:5]
.LBB113_215:
	s_or_b64 exec, exec, s[12:13]
	v_mov_b32_e32 v117, 0
	ds_read_b32 v117, v117 offset:108
	s_waitcnt lgkmcnt(0)
	v_mul_f32_e32 v117, v118, v117
	buffer_store_dword v117, off, s[0:3], 0 offset:108
.LBB113_216:
	s_or_b64 exec, exec, s[10:11]
	buffer_load_dword v117, off, s[0:3], 0 offset:104
	v_cmp_lt_u32_e64 s[4:5], 26, v0
	s_waitcnt vmcnt(0)
	ds_write_b32 v102, v117
	s_waitcnt lgkmcnt(0)
	; wave barrier
	s_waitcnt lgkmcnt(0)
	s_and_saveexec_b64 s[10:11], s[4:5]
	s_cbranch_execz .LBB113_226
; %bb.217:
	s_andn2_b64 vcc, exec, s[8:9]
	s_cbranch_vccnz .LBB113_219
; %bb.218:
	buffer_load_dword v117, v103, s[0:3], 0 offen
	ds_read_b32 v118, v102
	s_waitcnt vmcnt(0) lgkmcnt(0)
	v_mul_f32_e32 v117, v117, v118
	s_cbranch_execz .LBB113_220
	s_branch .LBB113_221
.LBB113_219:
                                        ; implicit-def: $vgpr117
.LBB113_220:
	ds_read_b32 v117, v102
.LBB113_221:
	s_and_saveexec_b64 s[12:13], s[6:7]
	s_cbranch_execz .LBB113_225
; %bb.222:
	v_mov_b32_e32 v118, 0
	v_add_u32_e32 v118, 0x6c, v118
	v_subrev_u32_e32 v119, 27, v0
	s_movk_i32 s14, 0x13c
	s_mov_b64 s[6:7], 0
.LBB113_223:                            ; =>This Inner Loop Header: Depth=1
	buffer_load_dword v120, v118, s[0:3], 0 offen
	v_mov_b32_e32 v121, s14
	ds_read_b32 v121, v121
	v_add_u32_e32 v119, -1, v119
	s_add_i32 s14, s14, 4
	v_cmp_eq_u32_e32 vcc, 0, v119
	v_add_u32_e32 v118, 4, v118
	s_or_b64 s[6:7], vcc, s[6:7]
	s_waitcnt vmcnt(0) lgkmcnt(0)
	v_fmac_f32_e32 v117, v120, v121
	s_andn2_b64 exec, exec, s[6:7]
	s_cbranch_execnz .LBB113_223
; %bb.224:
	s_or_b64 exec, exec, s[6:7]
.LBB113_225:
	s_or_b64 exec, exec, s[12:13]
	v_mov_b32_e32 v118, 0
	ds_read_b32 v118, v118 offset:104
	s_waitcnt lgkmcnt(0)
	v_mul_f32_e32 v117, v117, v118
	buffer_store_dword v117, off, s[0:3], 0 offset:104
.LBB113_226:
	s_or_b64 exec, exec, s[10:11]
	buffer_load_dword v117, off, s[0:3], 0 offset:100
	v_cmp_lt_u32_e64 s[6:7], 25, v0
	s_waitcnt vmcnt(0)
	ds_write_b32 v102, v117
	s_waitcnt lgkmcnt(0)
	; wave barrier
	s_waitcnt lgkmcnt(0)
	s_and_saveexec_b64 s[10:11], s[6:7]
	s_cbranch_execz .LBB113_236
; %bb.227:
	s_andn2_b64 vcc, exec, s[8:9]
	s_cbranch_vccnz .LBB113_229
; %bb.228:
	buffer_load_dword v117, v103, s[0:3], 0 offen
	ds_read_b32 v118, v102
	s_waitcnt vmcnt(0) lgkmcnt(0)
	v_mul_f32_e32 v117, v117, v118
	s_cbranch_execz .LBB113_230
	s_branch .LBB113_231
.LBB113_229:
                                        ; implicit-def: $vgpr117
.LBB113_230:
	ds_read_b32 v117, v102
.LBB113_231:
	s_and_saveexec_b64 s[12:13], s[4:5]
	s_cbranch_execz .LBB113_235
; %bb.232:
	v_subrev_u32_e32 v118, 26, v0
	s_movk_i32 s14, 0x138
	s_mov_b64 s[4:5], 0
.LBB113_233:                            ; =>This Inner Loop Header: Depth=1
	buffer_load_dword v119, v116, s[0:3], 0 offen
	v_mov_b32_e32 v120, s14
	ds_read_b32 v120, v120
	v_add_u32_e32 v118, -1, v118
	s_add_i32 s14, s14, 4
	v_cmp_eq_u32_e32 vcc, 0, v118
	v_add_u32_e32 v116, 4, v116
	s_or_b64 s[4:5], vcc, s[4:5]
	s_waitcnt vmcnt(0) lgkmcnt(0)
	v_fmac_f32_e32 v117, v119, v120
	s_andn2_b64 exec, exec, s[4:5]
	s_cbranch_execnz .LBB113_233
; %bb.234:
	s_or_b64 exec, exec, s[4:5]
.LBB113_235:
	s_or_b64 exec, exec, s[12:13]
	v_mov_b32_e32 v116, 0
	ds_read_b32 v116, v116 offset:100
	s_waitcnt lgkmcnt(0)
	v_mul_f32_e32 v116, v117, v116
	buffer_store_dword v116, off, s[0:3], 0 offset:100
.LBB113_236:
	s_or_b64 exec, exec, s[10:11]
	buffer_load_dword v116, off, s[0:3], 0 offset:96
	v_cmp_lt_u32_e64 s[4:5], 24, v0
	s_waitcnt vmcnt(0)
	ds_write_b32 v102, v116
	s_waitcnt lgkmcnt(0)
	; wave barrier
	s_waitcnt lgkmcnt(0)
	s_and_saveexec_b64 s[10:11], s[4:5]
	s_cbranch_execz .LBB113_246
; %bb.237:
	s_andn2_b64 vcc, exec, s[8:9]
	s_cbranch_vccnz .LBB113_239
; %bb.238:
	buffer_load_dword v116, v103, s[0:3], 0 offen
	ds_read_b32 v117, v102
	s_waitcnt vmcnt(0) lgkmcnt(0)
	v_mul_f32_e32 v116, v116, v117
	s_cbranch_execz .LBB113_240
	s_branch .LBB113_241
.LBB113_239:
                                        ; implicit-def: $vgpr116
.LBB113_240:
	ds_read_b32 v116, v102
.LBB113_241:
	s_and_saveexec_b64 s[12:13], s[6:7]
	s_cbranch_execz .LBB113_245
; %bb.242:
	v_mov_b32_e32 v117, 0
	v_add_u32_e32 v117, 0x64, v117
	v_subrev_u32_e32 v118, 25, v0
	s_movk_i32 s14, 0x134
	s_mov_b64 s[6:7], 0
.LBB113_243:                            ; =>This Inner Loop Header: Depth=1
	buffer_load_dword v119, v117, s[0:3], 0 offen
	v_mov_b32_e32 v120, s14
	ds_read_b32 v120, v120
	v_add_u32_e32 v118, -1, v118
	s_add_i32 s14, s14, 4
	v_cmp_eq_u32_e32 vcc, 0, v118
	v_add_u32_e32 v117, 4, v117
	s_or_b64 s[6:7], vcc, s[6:7]
	s_waitcnt vmcnt(0) lgkmcnt(0)
	v_fmac_f32_e32 v116, v119, v120
	s_andn2_b64 exec, exec, s[6:7]
	s_cbranch_execnz .LBB113_243
; %bb.244:
	s_or_b64 exec, exec, s[6:7]
.LBB113_245:
	s_or_b64 exec, exec, s[12:13]
	v_mov_b32_e32 v117, 0
	ds_read_b32 v117, v117 offset:96
	s_waitcnt lgkmcnt(0)
	v_mul_f32_e32 v116, v116, v117
	buffer_store_dword v116, off, s[0:3], 0 offset:96
.LBB113_246:
	s_or_b64 exec, exec, s[10:11]
	buffer_load_dword v116, off, s[0:3], 0 offset:92
	v_cmp_lt_u32_e64 s[6:7], 23, v0
	s_waitcnt vmcnt(0)
	ds_write_b32 v102, v116
	s_waitcnt lgkmcnt(0)
	; wave barrier
	s_waitcnt lgkmcnt(0)
	s_and_saveexec_b64 s[10:11], s[6:7]
	s_cbranch_execz .LBB113_256
; %bb.247:
	s_andn2_b64 vcc, exec, s[8:9]
	s_cbranch_vccnz .LBB113_249
; %bb.248:
	buffer_load_dword v116, v103, s[0:3], 0 offen
	ds_read_b32 v117, v102
	s_waitcnt vmcnt(0) lgkmcnt(0)
	v_mul_f32_e32 v116, v116, v117
	s_cbranch_execz .LBB113_250
	s_branch .LBB113_251
.LBB113_249:
                                        ; implicit-def: $vgpr116
.LBB113_250:
	ds_read_b32 v116, v102
.LBB113_251:
	s_and_saveexec_b64 s[12:13], s[4:5]
	s_cbranch_execz .LBB113_255
; %bb.252:
	v_subrev_u32_e32 v117, 24, v0
	s_movk_i32 s14, 0x130
	s_mov_b64 s[4:5], 0
.LBB113_253:                            ; =>This Inner Loop Header: Depth=1
	buffer_load_dword v118, v115, s[0:3], 0 offen
	v_mov_b32_e32 v119, s14
	ds_read_b32 v119, v119
	v_add_u32_e32 v117, -1, v117
	s_add_i32 s14, s14, 4
	v_cmp_eq_u32_e32 vcc, 0, v117
	v_add_u32_e32 v115, 4, v115
	s_or_b64 s[4:5], vcc, s[4:5]
	s_waitcnt vmcnt(0) lgkmcnt(0)
	v_fmac_f32_e32 v116, v118, v119
	s_andn2_b64 exec, exec, s[4:5]
	s_cbranch_execnz .LBB113_253
; %bb.254:
	s_or_b64 exec, exec, s[4:5]
.LBB113_255:
	s_or_b64 exec, exec, s[12:13]
	v_mov_b32_e32 v115, 0
	ds_read_b32 v115, v115 offset:92
	s_waitcnt lgkmcnt(0)
	v_mul_f32_e32 v115, v116, v115
	buffer_store_dword v115, off, s[0:3], 0 offset:92
.LBB113_256:
	s_or_b64 exec, exec, s[10:11]
	buffer_load_dword v115, off, s[0:3], 0 offset:88
	v_cmp_lt_u32_e64 s[4:5], 22, v0
	s_waitcnt vmcnt(0)
	ds_write_b32 v102, v115
	s_waitcnt lgkmcnt(0)
	; wave barrier
	s_waitcnt lgkmcnt(0)
	s_and_saveexec_b64 s[10:11], s[4:5]
	s_cbranch_execz .LBB113_266
; %bb.257:
	s_andn2_b64 vcc, exec, s[8:9]
	s_cbranch_vccnz .LBB113_259
; %bb.258:
	buffer_load_dword v115, v103, s[0:3], 0 offen
	ds_read_b32 v116, v102
	s_waitcnt vmcnt(0) lgkmcnt(0)
	v_mul_f32_e32 v115, v115, v116
	s_cbranch_execz .LBB113_260
	s_branch .LBB113_261
.LBB113_259:
                                        ; implicit-def: $vgpr115
.LBB113_260:
	ds_read_b32 v115, v102
.LBB113_261:
	s_and_saveexec_b64 s[12:13], s[6:7]
	s_cbranch_execz .LBB113_265
; %bb.262:
	v_mov_b32_e32 v116, 0
	v_add_u32_e32 v116, 0x5c, v116
	v_subrev_u32_e32 v117, 23, v0
	s_movk_i32 s14, 0x12c
	s_mov_b64 s[6:7], 0
.LBB113_263:                            ; =>This Inner Loop Header: Depth=1
	buffer_load_dword v118, v116, s[0:3], 0 offen
	v_mov_b32_e32 v119, s14
	ds_read_b32 v119, v119
	v_add_u32_e32 v117, -1, v117
	s_add_i32 s14, s14, 4
	v_cmp_eq_u32_e32 vcc, 0, v117
	v_add_u32_e32 v116, 4, v116
	s_or_b64 s[6:7], vcc, s[6:7]
	s_waitcnt vmcnt(0) lgkmcnt(0)
	v_fmac_f32_e32 v115, v118, v119
	s_andn2_b64 exec, exec, s[6:7]
	s_cbranch_execnz .LBB113_263
; %bb.264:
	s_or_b64 exec, exec, s[6:7]
.LBB113_265:
	s_or_b64 exec, exec, s[12:13]
	v_mov_b32_e32 v116, 0
	ds_read_b32 v116, v116 offset:88
	s_waitcnt lgkmcnt(0)
	v_mul_f32_e32 v115, v115, v116
	buffer_store_dword v115, off, s[0:3], 0 offset:88
.LBB113_266:
	s_or_b64 exec, exec, s[10:11]
	buffer_load_dword v115, off, s[0:3], 0 offset:84
	v_cmp_lt_u32_e64 s[6:7], 21, v0
	s_waitcnt vmcnt(0)
	ds_write_b32 v102, v115
	s_waitcnt lgkmcnt(0)
	; wave barrier
	s_waitcnt lgkmcnt(0)
	s_and_saveexec_b64 s[10:11], s[6:7]
	s_cbranch_execz .LBB113_276
; %bb.267:
	s_andn2_b64 vcc, exec, s[8:9]
	s_cbranch_vccnz .LBB113_269
; %bb.268:
	buffer_load_dword v115, v103, s[0:3], 0 offen
	ds_read_b32 v116, v102
	s_waitcnt vmcnt(0) lgkmcnt(0)
	v_mul_f32_e32 v115, v115, v116
	s_cbranch_execz .LBB113_270
	s_branch .LBB113_271
.LBB113_269:
                                        ; implicit-def: $vgpr115
.LBB113_270:
	ds_read_b32 v115, v102
.LBB113_271:
	s_and_saveexec_b64 s[12:13], s[4:5]
	s_cbranch_execz .LBB113_275
; %bb.272:
	v_subrev_u32_e32 v116, 22, v0
	s_movk_i32 s14, 0x128
	s_mov_b64 s[4:5], 0
.LBB113_273:                            ; =>This Inner Loop Header: Depth=1
	buffer_load_dword v117, v114, s[0:3], 0 offen
	v_mov_b32_e32 v118, s14
	ds_read_b32 v118, v118
	v_add_u32_e32 v116, -1, v116
	s_add_i32 s14, s14, 4
	v_cmp_eq_u32_e32 vcc, 0, v116
	v_add_u32_e32 v114, 4, v114
	s_or_b64 s[4:5], vcc, s[4:5]
	s_waitcnt vmcnt(0) lgkmcnt(0)
	v_fmac_f32_e32 v115, v117, v118
	s_andn2_b64 exec, exec, s[4:5]
	s_cbranch_execnz .LBB113_273
; %bb.274:
	s_or_b64 exec, exec, s[4:5]
.LBB113_275:
	s_or_b64 exec, exec, s[12:13]
	v_mov_b32_e32 v114, 0
	ds_read_b32 v114, v114 offset:84
	s_waitcnt lgkmcnt(0)
	v_mul_f32_e32 v114, v115, v114
	buffer_store_dword v114, off, s[0:3], 0 offset:84
.LBB113_276:
	s_or_b64 exec, exec, s[10:11]
	buffer_load_dword v114, off, s[0:3], 0 offset:80
	v_cmp_lt_u32_e64 s[4:5], 20, v0
	s_waitcnt vmcnt(0)
	ds_write_b32 v102, v114
	s_waitcnt lgkmcnt(0)
	; wave barrier
	s_waitcnt lgkmcnt(0)
	s_and_saveexec_b64 s[10:11], s[4:5]
	s_cbranch_execz .LBB113_286
; %bb.277:
	s_andn2_b64 vcc, exec, s[8:9]
	s_cbranch_vccnz .LBB113_279
; %bb.278:
	buffer_load_dword v114, v103, s[0:3], 0 offen
	ds_read_b32 v115, v102
	s_waitcnt vmcnt(0) lgkmcnt(0)
	v_mul_f32_e32 v114, v114, v115
	s_cbranch_execz .LBB113_280
	s_branch .LBB113_281
.LBB113_279:
                                        ; implicit-def: $vgpr114
.LBB113_280:
	ds_read_b32 v114, v102
.LBB113_281:
	s_and_saveexec_b64 s[12:13], s[6:7]
	s_cbranch_execz .LBB113_285
; %bb.282:
	v_mov_b32_e32 v115, 0
	v_add_u32_e32 v115, 0x54, v115
	v_subrev_u32_e32 v116, 21, v0
	s_movk_i32 s14, 0x124
	s_mov_b64 s[6:7], 0
.LBB113_283:                            ; =>This Inner Loop Header: Depth=1
	buffer_load_dword v117, v115, s[0:3], 0 offen
	v_mov_b32_e32 v118, s14
	ds_read_b32 v118, v118
	v_add_u32_e32 v116, -1, v116
	s_add_i32 s14, s14, 4
	v_cmp_eq_u32_e32 vcc, 0, v116
	v_add_u32_e32 v115, 4, v115
	s_or_b64 s[6:7], vcc, s[6:7]
	s_waitcnt vmcnt(0) lgkmcnt(0)
	v_fmac_f32_e32 v114, v117, v118
	s_andn2_b64 exec, exec, s[6:7]
	s_cbranch_execnz .LBB113_283
; %bb.284:
	s_or_b64 exec, exec, s[6:7]
.LBB113_285:
	s_or_b64 exec, exec, s[12:13]
	v_mov_b32_e32 v115, 0
	ds_read_b32 v115, v115 offset:80
	s_waitcnt lgkmcnt(0)
	v_mul_f32_e32 v114, v114, v115
	buffer_store_dword v114, off, s[0:3], 0 offset:80
.LBB113_286:
	s_or_b64 exec, exec, s[10:11]
	buffer_load_dword v114, off, s[0:3], 0 offset:76
	v_cmp_lt_u32_e64 s[6:7], 19, v0
	s_waitcnt vmcnt(0)
	ds_write_b32 v102, v114
	s_waitcnt lgkmcnt(0)
	; wave barrier
	s_waitcnt lgkmcnt(0)
	s_and_saveexec_b64 s[10:11], s[6:7]
	s_cbranch_execz .LBB113_296
; %bb.287:
	s_andn2_b64 vcc, exec, s[8:9]
	s_cbranch_vccnz .LBB113_289
; %bb.288:
	buffer_load_dword v114, v103, s[0:3], 0 offen
	ds_read_b32 v115, v102
	s_waitcnt vmcnt(0) lgkmcnt(0)
	v_mul_f32_e32 v114, v114, v115
	s_cbranch_execz .LBB113_290
	s_branch .LBB113_291
.LBB113_289:
                                        ; implicit-def: $vgpr114
.LBB113_290:
	ds_read_b32 v114, v102
.LBB113_291:
	s_and_saveexec_b64 s[12:13], s[4:5]
	s_cbranch_execz .LBB113_295
; %bb.292:
	v_subrev_u32_e32 v115, 20, v0
	s_movk_i32 s14, 0x120
	s_mov_b64 s[4:5], 0
.LBB113_293:                            ; =>This Inner Loop Header: Depth=1
	buffer_load_dword v116, v113, s[0:3], 0 offen
	v_mov_b32_e32 v117, s14
	ds_read_b32 v117, v117
	v_add_u32_e32 v115, -1, v115
	s_add_i32 s14, s14, 4
	v_cmp_eq_u32_e32 vcc, 0, v115
	v_add_u32_e32 v113, 4, v113
	s_or_b64 s[4:5], vcc, s[4:5]
	s_waitcnt vmcnt(0) lgkmcnt(0)
	v_fmac_f32_e32 v114, v116, v117
	s_andn2_b64 exec, exec, s[4:5]
	s_cbranch_execnz .LBB113_293
; %bb.294:
	s_or_b64 exec, exec, s[4:5]
.LBB113_295:
	s_or_b64 exec, exec, s[12:13]
	v_mov_b32_e32 v113, 0
	ds_read_b32 v113, v113 offset:76
	s_waitcnt lgkmcnt(0)
	v_mul_f32_e32 v113, v114, v113
	buffer_store_dword v113, off, s[0:3], 0 offset:76
.LBB113_296:
	s_or_b64 exec, exec, s[10:11]
	buffer_load_dword v113, off, s[0:3], 0 offset:72
	v_cmp_lt_u32_e64 s[4:5], 18, v0
	s_waitcnt vmcnt(0)
	ds_write_b32 v102, v113
	s_waitcnt lgkmcnt(0)
	; wave barrier
	s_waitcnt lgkmcnt(0)
	s_and_saveexec_b64 s[10:11], s[4:5]
	s_cbranch_execz .LBB113_306
; %bb.297:
	s_andn2_b64 vcc, exec, s[8:9]
	s_cbranch_vccnz .LBB113_299
; %bb.298:
	buffer_load_dword v113, v103, s[0:3], 0 offen
	ds_read_b32 v114, v102
	s_waitcnt vmcnt(0) lgkmcnt(0)
	v_mul_f32_e32 v113, v113, v114
	s_cbranch_execz .LBB113_300
	s_branch .LBB113_301
.LBB113_299:
                                        ; implicit-def: $vgpr113
.LBB113_300:
	ds_read_b32 v113, v102
.LBB113_301:
	s_and_saveexec_b64 s[12:13], s[6:7]
	s_cbranch_execz .LBB113_305
; %bb.302:
	v_mov_b32_e32 v114, 0
	v_add_u32_e32 v114, 0x4c, v114
	v_subrev_u32_e32 v115, 19, v0
	s_movk_i32 s14, 0x11c
	s_mov_b64 s[6:7], 0
.LBB113_303:                            ; =>This Inner Loop Header: Depth=1
	buffer_load_dword v116, v114, s[0:3], 0 offen
	v_mov_b32_e32 v117, s14
	ds_read_b32 v117, v117
	v_add_u32_e32 v115, -1, v115
	s_add_i32 s14, s14, 4
	v_cmp_eq_u32_e32 vcc, 0, v115
	v_add_u32_e32 v114, 4, v114
	s_or_b64 s[6:7], vcc, s[6:7]
	s_waitcnt vmcnt(0) lgkmcnt(0)
	v_fmac_f32_e32 v113, v116, v117
	s_andn2_b64 exec, exec, s[6:7]
	s_cbranch_execnz .LBB113_303
; %bb.304:
	s_or_b64 exec, exec, s[6:7]
.LBB113_305:
	s_or_b64 exec, exec, s[12:13]
	v_mov_b32_e32 v114, 0
	ds_read_b32 v114, v114 offset:72
	s_waitcnt lgkmcnt(0)
	v_mul_f32_e32 v113, v113, v114
	buffer_store_dword v113, off, s[0:3], 0 offset:72
.LBB113_306:
	s_or_b64 exec, exec, s[10:11]
	buffer_load_dword v113, off, s[0:3], 0 offset:68
	v_cmp_lt_u32_e64 s[6:7], 17, v0
	s_waitcnt vmcnt(0)
	ds_write_b32 v102, v113
	s_waitcnt lgkmcnt(0)
	; wave barrier
	s_waitcnt lgkmcnt(0)
	s_and_saveexec_b64 s[10:11], s[6:7]
	s_cbranch_execz .LBB113_316
; %bb.307:
	s_andn2_b64 vcc, exec, s[8:9]
	s_cbranch_vccnz .LBB113_309
; %bb.308:
	buffer_load_dword v113, v103, s[0:3], 0 offen
	ds_read_b32 v114, v102
	s_waitcnt vmcnt(0) lgkmcnt(0)
	v_mul_f32_e32 v113, v113, v114
	s_cbranch_execz .LBB113_310
	s_branch .LBB113_311
.LBB113_309:
                                        ; implicit-def: $vgpr113
.LBB113_310:
	ds_read_b32 v113, v102
.LBB113_311:
	s_and_saveexec_b64 s[12:13], s[4:5]
	s_cbranch_execz .LBB113_315
; %bb.312:
	v_subrev_u32_e32 v114, 18, v0
	s_movk_i32 s14, 0x118
	s_mov_b64 s[4:5], 0
.LBB113_313:                            ; =>This Inner Loop Header: Depth=1
	buffer_load_dword v115, v112, s[0:3], 0 offen
	v_mov_b32_e32 v116, s14
	ds_read_b32 v116, v116
	v_add_u32_e32 v114, -1, v114
	s_add_i32 s14, s14, 4
	v_cmp_eq_u32_e32 vcc, 0, v114
	v_add_u32_e32 v112, 4, v112
	s_or_b64 s[4:5], vcc, s[4:5]
	s_waitcnt vmcnt(0) lgkmcnt(0)
	v_fmac_f32_e32 v113, v115, v116
	s_andn2_b64 exec, exec, s[4:5]
	s_cbranch_execnz .LBB113_313
; %bb.314:
	s_or_b64 exec, exec, s[4:5]
.LBB113_315:
	s_or_b64 exec, exec, s[12:13]
	v_mov_b32_e32 v112, 0
	ds_read_b32 v112, v112 offset:68
	s_waitcnt lgkmcnt(0)
	v_mul_f32_e32 v112, v113, v112
	buffer_store_dword v112, off, s[0:3], 0 offset:68
.LBB113_316:
	s_or_b64 exec, exec, s[10:11]
	buffer_load_dword v112, off, s[0:3], 0 offset:64
	v_cmp_lt_u32_e64 s[4:5], 16, v0
	s_waitcnt vmcnt(0)
	ds_write_b32 v102, v112
	s_waitcnt lgkmcnt(0)
	; wave barrier
	s_waitcnt lgkmcnt(0)
	s_and_saveexec_b64 s[10:11], s[4:5]
	s_cbranch_execz .LBB113_326
; %bb.317:
	s_andn2_b64 vcc, exec, s[8:9]
	s_cbranch_vccnz .LBB113_319
; %bb.318:
	buffer_load_dword v112, v103, s[0:3], 0 offen
	ds_read_b32 v113, v102
	s_waitcnt vmcnt(0) lgkmcnt(0)
	v_mul_f32_e32 v112, v112, v113
	s_cbranch_execz .LBB113_320
	s_branch .LBB113_321
.LBB113_319:
                                        ; implicit-def: $vgpr112
.LBB113_320:
	ds_read_b32 v112, v102
.LBB113_321:
	s_and_saveexec_b64 s[12:13], s[6:7]
	s_cbranch_execz .LBB113_325
; %bb.322:
	v_mov_b32_e32 v113, 0
	v_add_u32_e32 v113, 0x44, v113
	v_subrev_u32_e32 v114, 17, v0
	s_movk_i32 s14, 0x114
	s_mov_b64 s[6:7], 0
.LBB113_323:                            ; =>This Inner Loop Header: Depth=1
	buffer_load_dword v115, v113, s[0:3], 0 offen
	v_mov_b32_e32 v116, s14
	ds_read_b32 v116, v116
	v_add_u32_e32 v114, -1, v114
	s_add_i32 s14, s14, 4
	v_cmp_eq_u32_e32 vcc, 0, v114
	v_add_u32_e32 v113, 4, v113
	s_or_b64 s[6:7], vcc, s[6:7]
	s_waitcnt vmcnt(0) lgkmcnt(0)
	v_fmac_f32_e32 v112, v115, v116
	s_andn2_b64 exec, exec, s[6:7]
	s_cbranch_execnz .LBB113_323
; %bb.324:
	s_or_b64 exec, exec, s[6:7]
.LBB113_325:
	s_or_b64 exec, exec, s[12:13]
	v_mov_b32_e32 v113, 0
	ds_read_b32 v113, v113 offset:64
	s_waitcnt lgkmcnt(0)
	v_mul_f32_e32 v112, v112, v113
	buffer_store_dword v112, off, s[0:3], 0 offset:64
.LBB113_326:
	s_or_b64 exec, exec, s[10:11]
	buffer_load_dword v112, off, s[0:3], 0 offset:60
	v_cmp_lt_u32_e64 s[6:7], 15, v0
	s_waitcnt vmcnt(0)
	ds_write_b32 v102, v112
	s_waitcnt lgkmcnt(0)
	; wave barrier
	s_waitcnt lgkmcnt(0)
	s_and_saveexec_b64 s[10:11], s[6:7]
	s_cbranch_execz .LBB113_336
; %bb.327:
	s_andn2_b64 vcc, exec, s[8:9]
	s_cbranch_vccnz .LBB113_329
; %bb.328:
	buffer_load_dword v112, v103, s[0:3], 0 offen
	ds_read_b32 v113, v102
	s_waitcnt vmcnt(0) lgkmcnt(0)
	v_mul_f32_e32 v112, v112, v113
	s_cbranch_execz .LBB113_330
	s_branch .LBB113_331
.LBB113_329:
                                        ; implicit-def: $vgpr112
.LBB113_330:
	ds_read_b32 v112, v102
.LBB113_331:
	s_and_saveexec_b64 s[12:13], s[4:5]
	s_cbranch_execz .LBB113_335
; %bb.332:
	v_add_u32_e32 v113, -16, v0
	s_movk_i32 s14, 0x110
	s_mov_b64 s[4:5], 0
.LBB113_333:                            ; =>This Inner Loop Header: Depth=1
	buffer_load_dword v114, v111, s[0:3], 0 offen
	v_mov_b32_e32 v115, s14
	ds_read_b32 v115, v115
	v_add_u32_e32 v113, -1, v113
	s_add_i32 s14, s14, 4
	v_cmp_eq_u32_e32 vcc, 0, v113
	v_add_u32_e32 v111, 4, v111
	s_or_b64 s[4:5], vcc, s[4:5]
	s_waitcnt vmcnt(0) lgkmcnt(0)
	v_fmac_f32_e32 v112, v114, v115
	s_andn2_b64 exec, exec, s[4:5]
	s_cbranch_execnz .LBB113_333
; %bb.334:
	s_or_b64 exec, exec, s[4:5]
.LBB113_335:
	s_or_b64 exec, exec, s[12:13]
	v_mov_b32_e32 v111, 0
	ds_read_b32 v111, v111 offset:60
	s_waitcnt lgkmcnt(0)
	v_mul_f32_e32 v111, v112, v111
	buffer_store_dword v111, off, s[0:3], 0 offset:60
.LBB113_336:
	s_or_b64 exec, exec, s[10:11]
	buffer_load_dword v111, off, s[0:3], 0 offset:56
	v_cmp_lt_u32_e64 s[4:5], 14, v0
	s_waitcnt vmcnt(0)
	ds_write_b32 v102, v111
	s_waitcnt lgkmcnt(0)
	; wave barrier
	s_waitcnt lgkmcnt(0)
	s_and_saveexec_b64 s[10:11], s[4:5]
	s_cbranch_execz .LBB113_346
; %bb.337:
	s_andn2_b64 vcc, exec, s[8:9]
	s_cbranch_vccnz .LBB113_339
; %bb.338:
	buffer_load_dword v111, v103, s[0:3], 0 offen
	ds_read_b32 v112, v102
	s_waitcnt vmcnt(0) lgkmcnt(0)
	v_mul_f32_e32 v111, v111, v112
	s_cbranch_execz .LBB113_340
	s_branch .LBB113_341
.LBB113_339:
                                        ; implicit-def: $vgpr111
.LBB113_340:
	ds_read_b32 v111, v102
.LBB113_341:
	s_and_saveexec_b64 s[12:13], s[6:7]
	s_cbranch_execz .LBB113_345
; %bb.342:
	v_mov_b32_e32 v112, 0
	v_add_u32_e32 v112, 60, v112
	v_add_u32_e32 v113, -15, v0
	s_movk_i32 s14, 0x10c
	s_mov_b64 s[6:7], 0
.LBB113_343:                            ; =>This Inner Loop Header: Depth=1
	buffer_load_dword v114, v112, s[0:3], 0 offen
	v_mov_b32_e32 v115, s14
	ds_read_b32 v115, v115
	v_add_u32_e32 v113, -1, v113
	s_add_i32 s14, s14, 4
	v_cmp_eq_u32_e32 vcc, 0, v113
	v_add_u32_e32 v112, 4, v112
	s_or_b64 s[6:7], vcc, s[6:7]
	s_waitcnt vmcnt(0) lgkmcnt(0)
	v_fmac_f32_e32 v111, v114, v115
	s_andn2_b64 exec, exec, s[6:7]
	s_cbranch_execnz .LBB113_343
; %bb.344:
	s_or_b64 exec, exec, s[6:7]
.LBB113_345:
	s_or_b64 exec, exec, s[12:13]
	v_mov_b32_e32 v112, 0
	ds_read_b32 v112, v112 offset:56
	s_waitcnt lgkmcnt(0)
	v_mul_f32_e32 v111, v111, v112
	buffer_store_dword v111, off, s[0:3], 0 offset:56
.LBB113_346:
	s_or_b64 exec, exec, s[10:11]
	buffer_load_dword v111, off, s[0:3], 0 offset:52
	v_cmp_lt_u32_e64 s[6:7], 13, v0
	s_waitcnt vmcnt(0)
	ds_write_b32 v102, v111
	s_waitcnt lgkmcnt(0)
	; wave barrier
	s_waitcnt lgkmcnt(0)
	s_and_saveexec_b64 s[10:11], s[6:7]
	s_cbranch_execz .LBB113_356
; %bb.347:
	s_andn2_b64 vcc, exec, s[8:9]
	s_cbranch_vccnz .LBB113_349
; %bb.348:
	buffer_load_dword v111, v103, s[0:3], 0 offen
	ds_read_b32 v112, v102
	s_waitcnt vmcnt(0) lgkmcnt(0)
	v_mul_f32_e32 v111, v111, v112
	s_cbranch_execz .LBB113_350
	s_branch .LBB113_351
.LBB113_349:
                                        ; implicit-def: $vgpr111
.LBB113_350:
	ds_read_b32 v111, v102
.LBB113_351:
	s_and_saveexec_b64 s[12:13], s[4:5]
	s_cbranch_execz .LBB113_355
; %bb.352:
	v_add_u32_e32 v112, -14, v0
	s_movk_i32 s14, 0x108
	s_mov_b64 s[4:5], 0
.LBB113_353:                            ; =>This Inner Loop Header: Depth=1
	buffer_load_dword v113, v110, s[0:3], 0 offen
	v_mov_b32_e32 v114, s14
	ds_read_b32 v114, v114
	v_add_u32_e32 v112, -1, v112
	s_add_i32 s14, s14, 4
	v_cmp_eq_u32_e32 vcc, 0, v112
	v_add_u32_e32 v110, 4, v110
	s_or_b64 s[4:5], vcc, s[4:5]
	s_waitcnt vmcnt(0) lgkmcnt(0)
	v_fmac_f32_e32 v111, v113, v114
	s_andn2_b64 exec, exec, s[4:5]
	s_cbranch_execnz .LBB113_353
; %bb.354:
	s_or_b64 exec, exec, s[4:5]
.LBB113_355:
	s_or_b64 exec, exec, s[12:13]
	v_mov_b32_e32 v110, 0
	ds_read_b32 v110, v110 offset:52
	s_waitcnt lgkmcnt(0)
	v_mul_f32_e32 v110, v111, v110
	buffer_store_dword v110, off, s[0:3], 0 offset:52
.LBB113_356:
	s_or_b64 exec, exec, s[10:11]
	buffer_load_dword v110, off, s[0:3], 0 offset:48
	v_cmp_lt_u32_e64 s[4:5], 12, v0
	s_waitcnt vmcnt(0)
	ds_write_b32 v102, v110
	s_waitcnt lgkmcnt(0)
	; wave barrier
	s_waitcnt lgkmcnt(0)
	s_and_saveexec_b64 s[10:11], s[4:5]
	s_cbranch_execz .LBB113_366
; %bb.357:
	s_andn2_b64 vcc, exec, s[8:9]
	s_cbranch_vccnz .LBB113_359
; %bb.358:
	buffer_load_dword v110, v103, s[0:3], 0 offen
	ds_read_b32 v111, v102
	s_waitcnt vmcnt(0) lgkmcnt(0)
	v_mul_f32_e32 v110, v110, v111
	s_cbranch_execz .LBB113_360
	s_branch .LBB113_361
.LBB113_359:
                                        ; implicit-def: $vgpr110
.LBB113_360:
	ds_read_b32 v110, v102
.LBB113_361:
	s_and_saveexec_b64 s[12:13], s[6:7]
	s_cbranch_execz .LBB113_365
; %bb.362:
	v_mov_b32_e32 v111, 0
	v_add_u32_e32 v111, 52, v111
	v_add_u32_e32 v112, -13, v0
	s_movk_i32 s14, 0x104
	s_mov_b64 s[6:7], 0
.LBB113_363:                            ; =>This Inner Loop Header: Depth=1
	buffer_load_dword v113, v111, s[0:3], 0 offen
	v_mov_b32_e32 v114, s14
	ds_read_b32 v114, v114
	v_add_u32_e32 v112, -1, v112
	s_add_i32 s14, s14, 4
	v_cmp_eq_u32_e32 vcc, 0, v112
	v_add_u32_e32 v111, 4, v111
	s_or_b64 s[6:7], vcc, s[6:7]
	s_waitcnt vmcnt(0) lgkmcnt(0)
	v_fmac_f32_e32 v110, v113, v114
	s_andn2_b64 exec, exec, s[6:7]
	s_cbranch_execnz .LBB113_363
; %bb.364:
	s_or_b64 exec, exec, s[6:7]
.LBB113_365:
	s_or_b64 exec, exec, s[12:13]
	v_mov_b32_e32 v111, 0
	ds_read_b32 v111, v111 offset:48
	s_waitcnt lgkmcnt(0)
	v_mul_f32_e32 v110, v110, v111
	buffer_store_dword v110, off, s[0:3], 0 offset:48
.LBB113_366:
	s_or_b64 exec, exec, s[10:11]
	buffer_load_dword v110, off, s[0:3], 0 offset:44
	v_cmp_lt_u32_e64 s[6:7], 11, v0
	s_waitcnt vmcnt(0)
	ds_write_b32 v102, v110
	s_waitcnt lgkmcnt(0)
	; wave barrier
	s_waitcnt lgkmcnt(0)
	s_and_saveexec_b64 s[10:11], s[6:7]
	s_cbranch_execz .LBB113_376
; %bb.367:
	s_andn2_b64 vcc, exec, s[8:9]
	s_cbranch_vccnz .LBB113_369
; %bb.368:
	buffer_load_dword v110, v103, s[0:3], 0 offen
	ds_read_b32 v111, v102
	s_waitcnt vmcnt(0) lgkmcnt(0)
	v_mul_f32_e32 v110, v110, v111
	s_cbranch_execz .LBB113_370
	s_branch .LBB113_371
.LBB113_369:
                                        ; implicit-def: $vgpr110
.LBB113_370:
	ds_read_b32 v110, v102
.LBB113_371:
	s_and_saveexec_b64 s[12:13], s[4:5]
	s_cbranch_execz .LBB113_375
; %bb.372:
	v_add_u32_e32 v111, -12, v0
	s_movk_i32 s14, 0x100
	s_mov_b64 s[4:5], 0
.LBB113_373:                            ; =>This Inner Loop Header: Depth=1
	buffer_load_dword v112, v109, s[0:3], 0 offen
	v_mov_b32_e32 v113, s14
	ds_read_b32 v113, v113
	v_add_u32_e32 v111, -1, v111
	s_add_i32 s14, s14, 4
	v_cmp_eq_u32_e32 vcc, 0, v111
	v_add_u32_e32 v109, 4, v109
	s_or_b64 s[4:5], vcc, s[4:5]
	s_waitcnt vmcnt(0) lgkmcnt(0)
	v_fmac_f32_e32 v110, v112, v113
	s_andn2_b64 exec, exec, s[4:5]
	s_cbranch_execnz .LBB113_373
; %bb.374:
	s_or_b64 exec, exec, s[4:5]
.LBB113_375:
	s_or_b64 exec, exec, s[12:13]
	v_mov_b32_e32 v109, 0
	ds_read_b32 v109, v109 offset:44
	s_waitcnt lgkmcnt(0)
	v_mul_f32_e32 v109, v110, v109
	buffer_store_dword v109, off, s[0:3], 0 offset:44
.LBB113_376:
	s_or_b64 exec, exec, s[10:11]
	buffer_load_dword v109, off, s[0:3], 0 offset:40
	v_cmp_lt_u32_e64 s[4:5], 10, v0
	s_waitcnt vmcnt(0)
	ds_write_b32 v102, v109
	s_waitcnt lgkmcnt(0)
	; wave barrier
	s_waitcnt lgkmcnt(0)
	s_and_saveexec_b64 s[10:11], s[4:5]
	s_cbranch_execz .LBB113_386
; %bb.377:
	s_andn2_b64 vcc, exec, s[8:9]
	s_cbranch_vccnz .LBB113_379
; %bb.378:
	buffer_load_dword v109, v103, s[0:3], 0 offen
	ds_read_b32 v110, v102
	s_waitcnt vmcnt(0) lgkmcnt(0)
	v_mul_f32_e32 v109, v109, v110
	s_cbranch_execz .LBB113_380
	s_branch .LBB113_381
.LBB113_379:
                                        ; implicit-def: $vgpr109
.LBB113_380:
	ds_read_b32 v109, v102
.LBB113_381:
	s_and_saveexec_b64 s[12:13], s[6:7]
	s_cbranch_execz .LBB113_385
; %bb.382:
	v_mov_b32_e32 v110, 0
	v_add_u32_e32 v110, 44, v110
	v_add_u32_e32 v111, -11, v0
	s_movk_i32 s14, 0xfc
	s_mov_b64 s[6:7], 0
.LBB113_383:                            ; =>This Inner Loop Header: Depth=1
	buffer_load_dword v112, v110, s[0:3], 0 offen
	v_mov_b32_e32 v113, s14
	ds_read_b32 v113, v113
	v_add_u32_e32 v111, -1, v111
	s_add_i32 s14, s14, 4
	v_cmp_eq_u32_e32 vcc, 0, v111
	v_add_u32_e32 v110, 4, v110
	s_or_b64 s[6:7], vcc, s[6:7]
	s_waitcnt vmcnt(0) lgkmcnt(0)
	v_fmac_f32_e32 v109, v112, v113
	s_andn2_b64 exec, exec, s[6:7]
	s_cbranch_execnz .LBB113_383
; %bb.384:
	s_or_b64 exec, exec, s[6:7]
.LBB113_385:
	s_or_b64 exec, exec, s[12:13]
	v_mov_b32_e32 v110, 0
	ds_read_b32 v110, v110 offset:40
	s_waitcnt lgkmcnt(0)
	v_mul_f32_e32 v109, v109, v110
	buffer_store_dword v109, off, s[0:3], 0 offset:40
.LBB113_386:
	s_or_b64 exec, exec, s[10:11]
	buffer_load_dword v109, off, s[0:3], 0 offset:36
	v_cmp_lt_u32_e64 s[6:7], 9, v0
	s_waitcnt vmcnt(0)
	ds_write_b32 v102, v109
	s_waitcnt lgkmcnt(0)
	; wave barrier
	s_waitcnt lgkmcnt(0)
	s_and_saveexec_b64 s[10:11], s[6:7]
	s_cbranch_execz .LBB113_396
; %bb.387:
	s_andn2_b64 vcc, exec, s[8:9]
	s_cbranch_vccnz .LBB113_389
; %bb.388:
	buffer_load_dword v109, v103, s[0:3], 0 offen
	ds_read_b32 v110, v102
	s_waitcnt vmcnt(0) lgkmcnt(0)
	v_mul_f32_e32 v109, v109, v110
	s_cbranch_execz .LBB113_390
	s_branch .LBB113_391
.LBB113_389:
                                        ; implicit-def: $vgpr109
.LBB113_390:
	ds_read_b32 v109, v102
.LBB113_391:
	s_and_saveexec_b64 s[12:13], s[4:5]
	s_cbranch_execz .LBB113_395
; %bb.392:
	v_add_u32_e32 v110, -10, v0
	s_movk_i32 s14, 0xf8
	s_mov_b64 s[4:5], 0
.LBB113_393:                            ; =>This Inner Loop Header: Depth=1
	buffer_load_dword v111, v108, s[0:3], 0 offen
	v_mov_b32_e32 v112, s14
	ds_read_b32 v112, v112
	v_add_u32_e32 v110, -1, v110
	s_add_i32 s14, s14, 4
	v_cmp_eq_u32_e32 vcc, 0, v110
	v_add_u32_e32 v108, 4, v108
	s_or_b64 s[4:5], vcc, s[4:5]
	s_waitcnt vmcnt(0) lgkmcnt(0)
	v_fmac_f32_e32 v109, v111, v112
	s_andn2_b64 exec, exec, s[4:5]
	s_cbranch_execnz .LBB113_393
; %bb.394:
	s_or_b64 exec, exec, s[4:5]
.LBB113_395:
	s_or_b64 exec, exec, s[12:13]
	v_mov_b32_e32 v108, 0
	ds_read_b32 v108, v108 offset:36
	s_waitcnt lgkmcnt(0)
	v_mul_f32_e32 v108, v109, v108
	buffer_store_dword v108, off, s[0:3], 0 offset:36
.LBB113_396:
	s_or_b64 exec, exec, s[10:11]
	buffer_load_dword v108, off, s[0:3], 0 offset:32
	v_cmp_lt_u32_e64 s[4:5], 8, v0
	s_waitcnt vmcnt(0)
	ds_write_b32 v102, v108
	s_waitcnt lgkmcnt(0)
	; wave barrier
	s_waitcnt lgkmcnt(0)
	s_and_saveexec_b64 s[10:11], s[4:5]
	s_cbranch_execz .LBB113_406
; %bb.397:
	s_andn2_b64 vcc, exec, s[8:9]
	s_cbranch_vccnz .LBB113_399
; %bb.398:
	buffer_load_dword v108, v103, s[0:3], 0 offen
	ds_read_b32 v109, v102
	s_waitcnt vmcnt(0) lgkmcnt(0)
	v_mul_f32_e32 v108, v108, v109
	s_cbranch_execz .LBB113_400
	s_branch .LBB113_401
.LBB113_399:
                                        ; implicit-def: $vgpr108
.LBB113_400:
	ds_read_b32 v108, v102
.LBB113_401:
	s_and_saveexec_b64 s[12:13], s[6:7]
	s_cbranch_execz .LBB113_405
; %bb.402:
	v_mov_b32_e32 v109, 0
	v_add_u32_e32 v109, 36, v109
	v_add_u32_e32 v110, -9, v0
	s_movk_i32 s14, 0xf4
	s_mov_b64 s[6:7], 0
.LBB113_403:                            ; =>This Inner Loop Header: Depth=1
	buffer_load_dword v111, v109, s[0:3], 0 offen
	v_mov_b32_e32 v112, s14
	ds_read_b32 v112, v112
	v_add_u32_e32 v110, -1, v110
	s_add_i32 s14, s14, 4
	v_cmp_eq_u32_e32 vcc, 0, v110
	v_add_u32_e32 v109, 4, v109
	s_or_b64 s[6:7], vcc, s[6:7]
	s_waitcnt vmcnt(0) lgkmcnt(0)
	v_fmac_f32_e32 v108, v111, v112
	s_andn2_b64 exec, exec, s[6:7]
	s_cbranch_execnz .LBB113_403
; %bb.404:
	s_or_b64 exec, exec, s[6:7]
.LBB113_405:
	s_or_b64 exec, exec, s[12:13]
	v_mov_b32_e32 v109, 0
	ds_read_b32 v109, v109 offset:32
	s_waitcnt lgkmcnt(0)
	v_mul_f32_e32 v108, v108, v109
	buffer_store_dword v108, off, s[0:3], 0 offset:32
.LBB113_406:
	s_or_b64 exec, exec, s[10:11]
	buffer_load_dword v108, off, s[0:3], 0 offset:28
	v_cmp_lt_u32_e64 s[6:7], 7, v0
	s_waitcnt vmcnt(0)
	ds_write_b32 v102, v108
	s_waitcnt lgkmcnt(0)
	; wave barrier
	s_waitcnt lgkmcnt(0)
	s_and_saveexec_b64 s[10:11], s[6:7]
	s_cbranch_execz .LBB113_416
; %bb.407:
	s_andn2_b64 vcc, exec, s[8:9]
	s_cbranch_vccnz .LBB113_409
; %bb.408:
	buffer_load_dword v108, v103, s[0:3], 0 offen
	ds_read_b32 v109, v102
	s_waitcnt vmcnt(0) lgkmcnt(0)
	v_mul_f32_e32 v108, v108, v109
	s_cbranch_execz .LBB113_410
	s_branch .LBB113_411
.LBB113_409:
                                        ; implicit-def: $vgpr108
.LBB113_410:
	ds_read_b32 v108, v102
.LBB113_411:
	s_and_saveexec_b64 s[12:13], s[4:5]
	s_cbranch_execz .LBB113_415
; %bb.412:
	v_add_u32_e32 v109, -8, v0
	s_movk_i32 s14, 0xf0
	s_mov_b64 s[4:5], 0
.LBB113_413:                            ; =>This Inner Loop Header: Depth=1
	buffer_load_dword v110, v107, s[0:3], 0 offen
	v_mov_b32_e32 v111, s14
	ds_read_b32 v111, v111
	v_add_u32_e32 v109, -1, v109
	s_add_i32 s14, s14, 4
	v_cmp_eq_u32_e32 vcc, 0, v109
	v_add_u32_e32 v107, 4, v107
	s_or_b64 s[4:5], vcc, s[4:5]
	s_waitcnt vmcnt(0) lgkmcnt(0)
	v_fmac_f32_e32 v108, v110, v111
	s_andn2_b64 exec, exec, s[4:5]
	s_cbranch_execnz .LBB113_413
; %bb.414:
	s_or_b64 exec, exec, s[4:5]
.LBB113_415:
	s_or_b64 exec, exec, s[12:13]
	v_mov_b32_e32 v107, 0
	ds_read_b32 v107, v107 offset:28
	s_waitcnt lgkmcnt(0)
	v_mul_f32_e32 v107, v108, v107
	buffer_store_dword v107, off, s[0:3], 0 offset:28
.LBB113_416:
	s_or_b64 exec, exec, s[10:11]
	buffer_load_dword v107, off, s[0:3], 0 offset:24
	v_cmp_lt_u32_e64 s[4:5], 6, v0
	s_waitcnt vmcnt(0)
	ds_write_b32 v102, v107
	s_waitcnt lgkmcnt(0)
	; wave barrier
	s_waitcnt lgkmcnt(0)
	s_and_saveexec_b64 s[10:11], s[4:5]
	s_cbranch_execz .LBB113_426
; %bb.417:
	s_andn2_b64 vcc, exec, s[8:9]
	s_cbranch_vccnz .LBB113_419
; %bb.418:
	buffer_load_dword v107, v103, s[0:3], 0 offen
	ds_read_b32 v108, v102
	s_waitcnt vmcnt(0) lgkmcnt(0)
	v_mul_f32_e32 v107, v107, v108
	s_cbranch_execz .LBB113_420
	s_branch .LBB113_421
.LBB113_419:
                                        ; implicit-def: $vgpr107
.LBB113_420:
	ds_read_b32 v107, v102
.LBB113_421:
	s_and_saveexec_b64 s[12:13], s[6:7]
	s_cbranch_execz .LBB113_425
; %bb.422:
	v_mov_b32_e32 v108, 0
	v_add_u32_e32 v108, 28, v108
	v_add_u32_e32 v109, -7, v0
	s_movk_i32 s14, 0xec
	s_mov_b64 s[6:7], 0
.LBB113_423:                            ; =>This Inner Loop Header: Depth=1
	buffer_load_dword v110, v108, s[0:3], 0 offen
	v_mov_b32_e32 v111, s14
	ds_read_b32 v111, v111
	v_add_u32_e32 v109, -1, v109
	s_add_i32 s14, s14, 4
	v_cmp_eq_u32_e32 vcc, 0, v109
	v_add_u32_e32 v108, 4, v108
	s_or_b64 s[6:7], vcc, s[6:7]
	s_waitcnt vmcnt(0) lgkmcnt(0)
	v_fmac_f32_e32 v107, v110, v111
	s_andn2_b64 exec, exec, s[6:7]
	s_cbranch_execnz .LBB113_423
; %bb.424:
	s_or_b64 exec, exec, s[6:7]
.LBB113_425:
	s_or_b64 exec, exec, s[12:13]
	v_mov_b32_e32 v108, 0
	ds_read_b32 v108, v108 offset:24
	s_waitcnt lgkmcnt(0)
	v_mul_f32_e32 v107, v107, v108
	buffer_store_dword v107, off, s[0:3], 0 offset:24
.LBB113_426:
	s_or_b64 exec, exec, s[10:11]
	buffer_load_dword v107, off, s[0:3], 0 offset:20
	v_cmp_lt_u32_e64 s[6:7], 5, v0
	s_waitcnt vmcnt(0)
	ds_write_b32 v102, v107
	s_waitcnt lgkmcnt(0)
	; wave barrier
	s_waitcnt lgkmcnt(0)
	s_and_saveexec_b64 s[10:11], s[6:7]
	s_cbranch_execz .LBB113_436
; %bb.427:
	s_andn2_b64 vcc, exec, s[8:9]
	s_cbranch_vccnz .LBB113_429
; %bb.428:
	buffer_load_dword v107, v103, s[0:3], 0 offen
	ds_read_b32 v108, v102
	s_waitcnt vmcnt(0) lgkmcnt(0)
	v_mul_f32_e32 v107, v107, v108
	s_cbranch_execz .LBB113_430
	s_branch .LBB113_431
.LBB113_429:
                                        ; implicit-def: $vgpr107
.LBB113_430:
	ds_read_b32 v107, v102
.LBB113_431:
	s_and_saveexec_b64 s[12:13], s[4:5]
	s_cbranch_execz .LBB113_435
; %bb.432:
	v_add_u32_e32 v108, -6, v0
	s_movk_i32 s14, 0xe8
	s_mov_b64 s[4:5], 0
.LBB113_433:                            ; =>This Inner Loop Header: Depth=1
	buffer_load_dword v109, v106, s[0:3], 0 offen
	v_mov_b32_e32 v110, s14
	ds_read_b32 v110, v110
	v_add_u32_e32 v108, -1, v108
	s_add_i32 s14, s14, 4
	v_cmp_eq_u32_e32 vcc, 0, v108
	v_add_u32_e32 v106, 4, v106
	s_or_b64 s[4:5], vcc, s[4:5]
	s_waitcnt vmcnt(0) lgkmcnt(0)
	v_fmac_f32_e32 v107, v109, v110
	s_andn2_b64 exec, exec, s[4:5]
	s_cbranch_execnz .LBB113_433
; %bb.434:
	s_or_b64 exec, exec, s[4:5]
.LBB113_435:
	s_or_b64 exec, exec, s[12:13]
	v_mov_b32_e32 v106, 0
	ds_read_b32 v106, v106 offset:20
	s_waitcnt lgkmcnt(0)
	v_mul_f32_e32 v106, v107, v106
	buffer_store_dword v106, off, s[0:3], 0 offset:20
.LBB113_436:
	s_or_b64 exec, exec, s[10:11]
	buffer_load_dword v106, off, s[0:3], 0 offset:16
	v_cmp_lt_u32_e64 s[4:5], 4, v0
	s_waitcnt vmcnt(0)
	ds_write_b32 v102, v106
	s_waitcnt lgkmcnt(0)
	; wave barrier
	s_waitcnt lgkmcnt(0)
	s_and_saveexec_b64 s[10:11], s[4:5]
	s_cbranch_execz .LBB113_446
; %bb.437:
	s_andn2_b64 vcc, exec, s[8:9]
	s_cbranch_vccnz .LBB113_439
; %bb.438:
	buffer_load_dword v106, v103, s[0:3], 0 offen
	ds_read_b32 v107, v102
	s_waitcnt vmcnt(0) lgkmcnt(0)
	v_mul_f32_e32 v106, v106, v107
	s_cbranch_execz .LBB113_440
	s_branch .LBB113_441
.LBB113_439:
                                        ; implicit-def: $vgpr106
.LBB113_440:
	ds_read_b32 v106, v102
.LBB113_441:
	s_and_saveexec_b64 s[12:13], s[6:7]
	s_cbranch_execz .LBB113_445
; %bb.442:
	v_mov_b32_e32 v107, 0
	v_add_u32_e32 v107, 20, v107
	v_add_u32_e32 v108, -5, v0
	s_movk_i32 s14, 0xe4
	s_mov_b64 s[6:7], 0
.LBB113_443:                            ; =>This Inner Loop Header: Depth=1
	buffer_load_dword v109, v107, s[0:3], 0 offen
	v_mov_b32_e32 v110, s14
	ds_read_b32 v110, v110
	v_add_u32_e32 v108, -1, v108
	s_add_i32 s14, s14, 4
	v_cmp_eq_u32_e32 vcc, 0, v108
	v_add_u32_e32 v107, 4, v107
	s_or_b64 s[6:7], vcc, s[6:7]
	s_waitcnt vmcnt(0) lgkmcnt(0)
	v_fmac_f32_e32 v106, v109, v110
	s_andn2_b64 exec, exec, s[6:7]
	s_cbranch_execnz .LBB113_443
; %bb.444:
	s_or_b64 exec, exec, s[6:7]
.LBB113_445:
	s_or_b64 exec, exec, s[12:13]
	v_mov_b32_e32 v107, 0
	ds_read_b32 v107, v107 offset:16
	s_waitcnt lgkmcnt(0)
	v_mul_f32_e32 v106, v106, v107
	buffer_store_dword v106, off, s[0:3], 0 offset:16
.LBB113_446:
	s_or_b64 exec, exec, s[10:11]
	buffer_load_dword v106, off, s[0:3], 0 offset:12
	v_cmp_lt_u32_e64 s[6:7], 3, v0
	s_waitcnt vmcnt(0)
	ds_write_b32 v102, v106
	s_waitcnt lgkmcnt(0)
	; wave barrier
	s_waitcnt lgkmcnt(0)
	s_and_saveexec_b64 s[10:11], s[6:7]
	s_cbranch_execz .LBB113_456
; %bb.447:
	s_andn2_b64 vcc, exec, s[8:9]
	s_cbranch_vccnz .LBB113_449
; %bb.448:
	buffer_load_dword v106, v103, s[0:3], 0 offen
	ds_read_b32 v107, v102
	s_waitcnt vmcnt(0) lgkmcnt(0)
	v_mul_f32_e32 v106, v106, v107
	s_cbranch_execz .LBB113_450
	s_branch .LBB113_451
.LBB113_449:
                                        ; implicit-def: $vgpr106
.LBB113_450:
	ds_read_b32 v106, v102
.LBB113_451:
	s_and_saveexec_b64 s[12:13], s[4:5]
	s_cbranch_execz .LBB113_455
; %bb.452:
	v_add_u32_e32 v107, -4, v0
	s_movk_i32 s14, 0xe0
	s_mov_b64 s[4:5], 0
.LBB113_453:                            ; =>This Inner Loop Header: Depth=1
	buffer_load_dword v108, v105, s[0:3], 0 offen
	v_mov_b32_e32 v109, s14
	ds_read_b32 v109, v109
	v_add_u32_e32 v107, -1, v107
	s_add_i32 s14, s14, 4
	v_cmp_eq_u32_e32 vcc, 0, v107
	v_add_u32_e32 v105, 4, v105
	s_or_b64 s[4:5], vcc, s[4:5]
	s_waitcnt vmcnt(0) lgkmcnt(0)
	v_fmac_f32_e32 v106, v108, v109
	s_andn2_b64 exec, exec, s[4:5]
	s_cbranch_execnz .LBB113_453
; %bb.454:
	s_or_b64 exec, exec, s[4:5]
.LBB113_455:
	s_or_b64 exec, exec, s[12:13]
	v_mov_b32_e32 v105, 0
	ds_read_b32 v105, v105 offset:12
	s_waitcnt lgkmcnt(0)
	v_mul_f32_e32 v105, v106, v105
	buffer_store_dword v105, off, s[0:3], 0 offset:12
.LBB113_456:
	s_or_b64 exec, exec, s[10:11]
	buffer_load_dword v105, off, s[0:3], 0 offset:8
	v_cmp_lt_u32_e64 s[4:5], 2, v0
	s_waitcnt vmcnt(0)
	ds_write_b32 v102, v105
	s_waitcnt lgkmcnt(0)
	; wave barrier
	s_waitcnt lgkmcnt(0)
	s_and_saveexec_b64 s[10:11], s[4:5]
	s_cbranch_execz .LBB113_466
; %bb.457:
	s_andn2_b64 vcc, exec, s[8:9]
	s_cbranch_vccnz .LBB113_459
; %bb.458:
	buffer_load_dword v105, v103, s[0:3], 0 offen
	ds_read_b32 v106, v102
	s_waitcnt vmcnt(0) lgkmcnt(0)
	v_mul_f32_e32 v105, v105, v106
	s_cbranch_execz .LBB113_460
	s_branch .LBB113_461
.LBB113_459:
                                        ; implicit-def: $vgpr105
.LBB113_460:
	ds_read_b32 v105, v102
.LBB113_461:
	s_and_saveexec_b64 s[12:13], s[6:7]
	s_cbranch_execz .LBB113_465
; %bb.462:
	v_mov_b32_e32 v106, 0
	v_or_b32_e32 v106, 12, v106
	v_add_u32_e32 v107, -3, v0
	s_movk_i32 s14, 0xdc
	s_mov_b64 s[6:7], 0
.LBB113_463:                            ; =>This Inner Loop Header: Depth=1
	buffer_load_dword v108, v106, s[0:3], 0 offen
	v_mov_b32_e32 v109, s14
	ds_read_b32 v109, v109
	v_add_u32_e32 v107, -1, v107
	s_add_i32 s14, s14, 4
	v_cmp_eq_u32_e32 vcc, 0, v107
	v_add_u32_e32 v106, 4, v106
	s_or_b64 s[6:7], vcc, s[6:7]
	s_waitcnt vmcnt(0) lgkmcnt(0)
	v_fmac_f32_e32 v105, v108, v109
	s_andn2_b64 exec, exec, s[6:7]
	s_cbranch_execnz .LBB113_463
; %bb.464:
	s_or_b64 exec, exec, s[6:7]
.LBB113_465:
	s_or_b64 exec, exec, s[12:13]
	v_mov_b32_e32 v106, 0
	ds_read_b32 v106, v106 offset:8
	s_waitcnt lgkmcnt(0)
	v_mul_f32_e32 v105, v105, v106
	buffer_store_dword v105, off, s[0:3], 0 offset:8
.LBB113_466:
	s_or_b64 exec, exec, s[10:11]
	buffer_load_dword v105, off, s[0:3], 0 offset:4
	v_cmp_lt_u32_e64 s[6:7], 1, v0
	s_waitcnt vmcnt(0)
	ds_write_b32 v102, v105
	s_waitcnt lgkmcnt(0)
	; wave barrier
	s_waitcnt lgkmcnt(0)
	s_and_saveexec_b64 s[10:11], s[6:7]
	s_cbranch_execz .LBB113_476
; %bb.467:
	s_andn2_b64 vcc, exec, s[8:9]
	s_cbranch_vccnz .LBB113_469
; %bb.468:
	buffer_load_dword v105, v103, s[0:3], 0 offen
	ds_read_b32 v106, v102
	s_waitcnt vmcnt(0) lgkmcnt(0)
	v_mul_f32_e32 v105, v105, v106
	s_cbranch_execz .LBB113_470
	s_branch .LBB113_471
.LBB113_469:
                                        ; implicit-def: $vgpr105
.LBB113_470:
	ds_read_b32 v105, v102
.LBB113_471:
	s_and_saveexec_b64 s[12:13], s[4:5]
	s_cbranch_execz .LBB113_475
; %bb.472:
	v_add_u32_e32 v106, -2, v0
	s_movk_i32 s14, 0xd8
	s_mov_b64 s[4:5], 0
.LBB113_473:                            ; =>This Inner Loop Header: Depth=1
	buffer_load_dword v107, v104, s[0:3], 0 offen
	v_mov_b32_e32 v108, s14
	ds_read_b32 v108, v108
	v_add_u32_e32 v106, -1, v106
	s_add_i32 s14, s14, 4
	v_cmp_eq_u32_e32 vcc, 0, v106
	v_add_u32_e32 v104, 4, v104
	s_or_b64 s[4:5], vcc, s[4:5]
	s_waitcnt vmcnt(0) lgkmcnt(0)
	v_fmac_f32_e32 v105, v107, v108
	s_andn2_b64 exec, exec, s[4:5]
	s_cbranch_execnz .LBB113_473
; %bb.474:
	s_or_b64 exec, exec, s[4:5]
.LBB113_475:
	s_or_b64 exec, exec, s[12:13]
	v_mov_b32_e32 v104, 0
	ds_read_b32 v104, v104 offset:4
	s_waitcnt lgkmcnt(0)
	v_mul_f32_e32 v104, v105, v104
	buffer_store_dword v104, off, s[0:3], 0 offset:4
.LBB113_476:
	s_or_b64 exec, exec, s[10:11]
	buffer_load_dword v104, off, s[0:3], 0
	v_cmp_ne_u32_e32 vcc, 0, v0
	s_waitcnt vmcnt(0)
	ds_write_b32 v102, v104
	s_waitcnt lgkmcnt(0)
	; wave barrier
	s_waitcnt lgkmcnt(0)
	s_and_saveexec_b64 s[4:5], vcc
	s_cbranch_execz .LBB113_486
; %bb.477:
	s_andn2_b64 vcc, exec, s[8:9]
	s_cbranch_vccnz .LBB113_479
; %bb.478:
	buffer_load_dword v104, v103, s[0:3], 0 offen
	ds_read_b32 v105, v102
	s_waitcnt vmcnt(0) lgkmcnt(0)
	v_mul_f32_e32 v104, v104, v105
	s_cbranch_execz .LBB113_480
	s_branch .LBB113_481
.LBB113_479:
                                        ; implicit-def: $vgpr104
.LBB113_480:
	ds_read_b32 v104, v102
.LBB113_481:
	s_and_saveexec_b64 s[10:11], s[6:7]
	s_cbranch_execz .LBB113_485
; %bb.482:
	v_mov_b32_e32 v105, 0
	v_or_b32_e32 v105, 4, v105
	v_add_u32_e32 v106, -1, v0
	s_movk_i32 s12, 0xd4
	s_mov_b64 s[6:7], 0
.LBB113_483:                            ; =>This Inner Loop Header: Depth=1
	buffer_load_dword v107, v105, s[0:3], 0 offen
	v_mov_b32_e32 v108, s12
	ds_read_b32 v108, v108
	v_add_u32_e32 v106, -1, v106
	s_add_i32 s12, s12, 4
	v_cmp_eq_u32_e32 vcc, 0, v106
	v_add_u32_e32 v105, 4, v105
	s_or_b64 s[6:7], vcc, s[6:7]
	s_waitcnt vmcnt(0) lgkmcnt(0)
	v_fmac_f32_e32 v104, v107, v108
	s_andn2_b64 exec, exec, s[6:7]
	s_cbranch_execnz .LBB113_483
; %bb.484:
	s_or_b64 exec, exec, s[6:7]
.LBB113_485:
	s_or_b64 exec, exec, s[10:11]
	v_mov_b32_e32 v105, 0
	ds_read_b32 v105, v105
	s_waitcnt lgkmcnt(0)
	v_mul_f32_e32 v104, v104, v105
	buffer_store_dword v104, off, s[0:3], 0
.LBB113_486:
	s_or_b64 exec, exec, s[4:5]
	s_mov_b64 s[4:5], 0
.LBB113_487:
	s_and_b64 vcc, exec, s[4:5]
	s_cbranch_vccz .LBB113_971
; %bb.488:
	buffer_load_dword v104, off, s[0:3], 0 offset:4
	v_cmp_eq_u32_e64 s[6:7], 0, v0
	s_waitcnt vmcnt(0)
	ds_write_b32 v102, v104
	s_waitcnt lgkmcnt(0)
	; wave barrier
	s_waitcnt lgkmcnt(0)
	s_and_saveexec_b64 s[4:5], s[6:7]
	s_cbranch_execz .LBB113_494
; %bb.489:
	s_and_b64 vcc, exec, s[8:9]
	s_cbranch_vccz .LBB113_491
; %bb.490:
	buffer_load_dword v104, v103, s[0:3], 0 offen
	ds_read_b32 v105, v102
	s_waitcnt vmcnt(0) lgkmcnt(0)
	v_mul_f32_e32 v104, v104, v105
	s_cbranch_execz .LBB113_492
	s_branch .LBB113_493
.LBB113_491:
                                        ; implicit-def: $vgpr104
.LBB113_492:
	ds_read_b32 v104, v102
.LBB113_493:
	v_mov_b32_e32 v105, 0
	ds_read_b32 v105, v105 offset:4
	s_waitcnt lgkmcnt(0)
	v_mul_f32_e32 v104, v104, v105
	buffer_store_dword v104, off, s[0:3], 0 offset:4
.LBB113_494:
	s_or_b64 exec, exec, s[4:5]
	buffer_load_dword v104, off, s[0:3], 0 offset:8
	v_cndmask_b32_e64 v105, 0, 1, s[8:9]
	v_cmp_gt_u32_e32 vcc, 2, v0
	v_cmp_ne_u32_e64 s[4:5], 1, v105
	s_waitcnt vmcnt(0)
	ds_write_b32 v102, v104
	s_waitcnt lgkmcnt(0)
	; wave barrier
	s_waitcnt lgkmcnt(0)
	s_and_saveexec_b64 s[8:9], vcc
	s_cbranch_execz .LBB113_502
; %bb.495:
	s_and_b64 vcc, exec, s[4:5]
	s_cbranch_vccnz .LBB113_497
; %bb.496:
	buffer_load_dword v104, v103, s[0:3], 0 offen
	ds_read_b32 v105, v102
	s_waitcnt vmcnt(0) lgkmcnt(0)
	v_mul_f32_e32 v104, v104, v105
	s_cbranch_execz .LBB113_498
	s_branch .LBB113_499
.LBB113_497:
                                        ; implicit-def: $vgpr104
.LBB113_498:
	ds_read_b32 v104, v102
.LBB113_499:
	s_and_saveexec_b64 s[10:11], s[6:7]
	s_cbranch_execz .LBB113_501
; %bb.500:
	buffer_load_dword v105, v103, s[0:3], 0 offen offset:4
	ds_read_b32 v106, v102 offset:4
	s_waitcnt vmcnt(0) lgkmcnt(0)
	v_fmac_f32_e32 v104, v105, v106
.LBB113_501:
	s_or_b64 exec, exec, s[10:11]
	v_mov_b32_e32 v105, 0
	ds_read_b32 v105, v105 offset:8
	s_waitcnt lgkmcnt(0)
	v_mul_f32_e32 v104, v104, v105
	buffer_store_dword v104, off, s[0:3], 0 offset:8
.LBB113_502:
	s_or_b64 exec, exec, s[8:9]
	buffer_load_dword v104, off, s[0:3], 0 offset:12
	v_cmp_gt_u32_e32 vcc, 3, v0
	s_waitcnt vmcnt(0)
	ds_write_b32 v102, v104
	s_waitcnt lgkmcnt(0)
	; wave barrier
	s_waitcnt lgkmcnt(0)
	s_and_saveexec_b64 s[8:9], vcc
	s_cbranch_execz .LBB113_510
; %bb.503:
	s_and_b64 vcc, exec, s[4:5]
	s_cbranch_vccnz .LBB113_505
; %bb.504:
	buffer_load_dword v104, v103, s[0:3], 0 offen
	ds_read_b32 v105, v102
	s_waitcnt vmcnt(0) lgkmcnt(0)
	v_mul_f32_e32 v104, v104, v105
	s_cbranch_execz .LBB113_506
	s_branch .LBB113_507
.LBB113_505:
                                        ; implicit-def: $vgpr104
.LBB113_506:
	ds_read_b32 v104, v102
.LBB113_507:
	v_cmp_ne_u32_e32 vcc, 2, v0
	s_and_saveexec_b64 s[10:11], vcc
	s_cbranch_execz .LBB113_509
; %bb.508:
	buffer_load_dword v105, v103, s[0:3], 0 offen offset:4
	buffer_load_dword v106, off, s[0:3], 0 offset:8
	v_mov_b32_e32 v107, 0
	ds_read_b32 v108, v102 offset:4
	ds_read_b32 v107, v107 offset:216
	s_waitcnt vmcnt(1) lgkmcnt(1)
	v_fmac_f32_e32 v104, v105, v108
	s_waitcnt vmcnt(0) lgkmcnt(0)
	v_fma_f32 v105, v106, v107, v104
	v_cndmask_b32_e64 v104, v104, v105, s[6:7]
.LBB113_509:
	s_or_b64 exec, exec, s[10:11]
	v_mov_b32_e32 v105, 0
	ds_read_b32 v105, v105 offset:12
	s_waitcnt lgkmcnt(0)
	v_mul_f32_e32 v104, v104, v105
	buffer_store_dword v104, off, s[0:3], 0 offset:12
.LBB113_510:
	s_or_b64 exec, exec, s[8:9]
	buffer_load_dword v104, off, s[0:3], 0 offset:16
	v_cmp_gt_u32_e32 vcc, 4, v0
	s_waitcnt vmcnt(0)
	ds_write_b32 v102, v104
	s_waitcnt lgkmcnt(0)
	; wave barrier
	s_waitcnt lgkmcnt(0)
	s_and_saveexec_b64 s[6:7], vcc
	s_cbranch_execz .LBB113_520
; %bb.511:
	s_and_b64 vcc, exec, s[4:5]
	s_cbranch_vccnz .LBB113_513
; %bb.512:
	buffer_load_dword v104, v103, s[0:3], 0 offen
	ds_read_b32 v105, v102
	s_waitcnt vmcnt(0) lgkmcnt(0)
	v_mul_f32_e32 v104, v104, v105
	s_cbranch_execz .LBB113_514
	s_branch .LBB113_515
.LBB113_513:
                                        ; implicit-def: $vgpr104
.LBB113_514:
	ds_read_b32 v104, v102
.LBB113_515:
	v_cmp_ne_u32_e32 vcc, 3, v0
	s_and_saveexec_b64 s[8:9], vcc
	s_cbranch_execz .LBB113_519
; %bb.516:
	v_mov_b32_e32 v106, 0
	v_add_u32_e32 v105, 0xd4, v1
	v_add3_u32 v106, v1, v106, 4
	s_mov_b64 s[10:11], 0
	v_mov_b32_e32 v107, v0
.LBB113_517:                            ; =>This Inner Loop Header: Depth=1
	buffer_load_dword v108, v106, s[0:3], 0 offen
	ds_read_b32 v109, v105
	v_add_u32_e32 v107, 1, v107
	v_cmp_lt_u32_e32 vcc, 2, v107
	v_add_u32_e32 v105, 4, v105
	v_add_u32_e32 v106, 4, v106
	s_or_b64 s[10:11], vcc, s[10:11]
	s_waitcnt vmcnt(0) lgkmcnt(0)
	v_fmac_f32_e32 v104, v108, v109
	s_andn2_b64 exec, exec, s[10:11]
	s_cbranch_execnz .LBB113_517
; %bb.518:
	s_or_b64 exec, exec, s[10:11]
.LBB113_519:
	s_or_b64 exec, exec, s[8:9]
	v_mov_b32_e32 v105, 0
	ds_read_b32 v105, v105 offset:16
	s_waitcnt lgkmcnt(0)
	v_mul_f32_e32 v104, v104, v105
	buffer_store_dword v104, off, s[0:3], 0 offset:16
.LBB113_520:
	s_or_b64 exec, exec, s[6:7]
	buffer_load_dword v104, off, s[0:3], 0 offset:20
	v_cmp_gt_u32_e32 vcc, 5, v0
	s_waitcnt vmcnt(0)
	ds_write_b32 v102, v104
	s_waitcnt lgkmcnt(0)
	; wave barrier
	s_waitcnt lgkmcnt(0)
	s_and_saveexec_b64 s[6:7], vcc
	s_cbranch_execz .LBB113_530
; %bb.521:
	s_and_b64 vcc, exec, s[4:5]
	s_cbranch_vccnz .LBB113_523
; %bb.522:
	buffer_load_dword v104, v103, s[0:3], 0 offen
	ds_read_b32 v105, v102
	s_waitcnt vmcnt(0) lgkmcnt(0)
	v_mul_f32_e32 v104, v104, v105
	s_cbranch_execz .LBB113_524
	s_branch .LBB113_525
.LBB113_523:
                                        ; implicit-def: $vgpr104
.LBB113_524:
	ds_read_b32 v104, v102
.LBB113_525:
	v_cmp_ne_u32_e32 vcc, 4, v0
	s_and_saveexec_b64 s[8:9], vcc
	s_cbranch_execz .LBB113_529
; %bb.526:
	v_mov_b32_e32 v106, 0
	v_add_u32_e32 v105, 0xd4, v1
	v_add3_u32 v106, v1, v106, 4
	s_mov_b64 s[10:11], 0
	v_mov_b32_e32 v107, v0
.LBB113_527:                            ; =>This Inner Loop Header: Depth=1
	buffer_load_dword v108, v106, s[0:3], 0 offen
	ds_read_b32 v109, v105
	v_add_u32_e32 v107, 1, v107
	v_cmp_lt_u32_e32 vcc, 3, v107
	v_add_u32_e32 v105, 4, v105
	v_add_u32_e32 v106, 4, v106
	s_or_b64 s[10:11], vcc, s[10:11]
	s_waitcnt vmcnt(0) lgkmcnt(0)
	v_fmac_f32_e32 v104, v108, v109
	s_andn2_b64 exec, exec, s[10:11]
	s_cbranch_execnz .LBB113_527
; %bb.528:
	s_or_b64 exec, exec, s[10:11]
.LBB113_529:
	s_or_b64 exec, exec, s[8:9]
	v_mov_b32_e32 v105, 0
	ds_read_b32 v105, v105 offset:20
	s_waitcnt lgkmcnt(0)
	v_mul_f32_e32 v104, v104, v105
	buffer_store_dword v104, off, s[0:3], 0 offset:20
.LBB113_530:
	;; [unrolled: 56-line block ×44, first 2 shown]
	s_or_b64 exec, exec, s[6:7]
	buffer_load_dword v104, off, s[0:3], 0 offset:192
	v_cmp_gt_u32_e64 s[6:7], 48, v0
	s_waitcnt vmcnt(0)
	ds_write_b32 v102, v104
	s_waitcnt lgkmcnt(0)
	; wave barrier
	s_waitcnt lgkmcnt(0)
	s_and_saveexec_b64 s[8:9], s[6:7]
	s_cbranch_execz .LBB113_960
; %bb.951:
	s_and_b64 vcc, exec, s[4:5]
	s_cbranch_vccnz .LBB113_953
; %bb.952:
	buffer_load_dword v104, v103, s[0:3], 0 offen
	ds_read_b32 v105, v102
	s_waitcnt vmcnt(0) lgkmcnt(0)
	v_mul_f32_e32 v104, v104, v105
	s_cbranch_execz .LBB113_954
	s_branch .LBB113_955
.LBB113_953:
                                        ; implicit-def: $vgpr104
.LBB113_954:
	ds_read_b32 v104, v102
.LBB113_955:
	v_cmp_ne_u32_e32 vcc, 47, v0
	s_and_saveexec_b64 s[10:11], vcc
	s_cbranch_execz .LBB113_959
; %bb.956:
	v_mov_b32_e32 v106, 0
	v_add_u32_e32 v105, 0xd4, v1
	v_add3_u32 v106, v1, v106, 4
	s_mov_b64 s[12:13], 0
	v_mov_b32_e32 v107, v0
.LBB113_957:                            ; =>This Inner Loop Header: Depth=1
	buffer_load_dword v108, v106, s[0:3], 0 offen
	ds_read_b32 v109, v105
	v_add_u32_e32 v107, 1, v107
	v_cmp_lt_u32_e32 vcc, 46, v107
	v_add_u32_e32 v105, 4, v105
	v_add_u32_e32 v106, 4, v106
	s_or_b64 s[12:13], vcc, s[12:13]
	s_waitcnt vmcnt(0) lgkmcnt(0)
	v_fmac_f32_e32 v104, v108, v109
	s_andn2_b64 exec, exec, s[12:13]
	s_cbranch_execnz .LBB113_957
; %bb.958:
	s_or_b64 exec, exec, s[12:13]
.LBB113_959:
	s_or_b64 exec, exec, s[10:11]
	v_mov_b32_e32 v105, 0
	ds_read_b32 v105, v105 offset:192
	s_waitcnt lgkmcnt(0)
	v_mul_f32_e32 v104, v104, v105
	buffer_store_dword v104, off, s[0:3], 0 offset:192
.LBB113_960:
	s_or_b64 exec, exec, s[8:9]
	buffer_load_dword v104, off, s[0:3], 0 offset:196
	v_cmp_ne_u32_e32 vcc, 49, v0
	s_waitcnt vmcnt(0)
	ds_write_b32 v102, v104
	s_waitcnt lgkmcnt(0)
	; wave barrier
	s_waitcnt lgkmcnt(0)
	s_and_saveexec_b64 s[8:9], vcc
	s_cbranch_execz .LBB113_970
; %bb.961:
	s_and_b64 vcc, exec, s[4:5]
	s_cbranch_vccnz .LBB113_963
; %bb.962:
	buffer_load_dword v103, v103, s[0:3], 0 offen
	ds_read_b32 v104, v102
	s_waitcnt vmcnt(0) lgkmcnt(0)
	v_mul_f32_e32 v103, v103, v104
	s_cbranch_execz .LBB113_964
	s_branch .LBB113_965
.LBB113_963:
                                        ; implicit-def: $vgpr103
.LBB113_964:
	ds_read_b32 v103, v102
.LBB113_965:
	s_and_saveexec_b64 s[4:5], s[6:7]
	s_cbranch_execz .LBB113_969
; %bb.966:
	v_mov_b32_e32 v104, 0
	v_add_u32_e32 v102, 0xd4, v1
	v_add3_u32 v1, v1, v104, 4
	s_mov_b64 s[6:7], 0
.LBB113_967:                            ; =>This Inner Loop Header: Depth=1
	buffer_load_dword v104, v1, s[0:3], 0 offen
	ds_read_b32 v105, v102
	v_add_u32_e32 v0, 1, v0
	v_cmp_lt_u32_e32 vcc, 47, v0
	v_add_u32_e32 v102, 4, v102
	v_add_u32_e32 v1, 4, v1
	s_or_b64 s[6:7], vcc, s[6:7]
	s_waitcnt vmcnt(0) lgkmcnt(0)
	v_fmac_f32_e32 v103, v104, v105
	s_andn2_b64 exec, exec, s[6:7]
	s_cbranch_execnz .LBB113_967
; %bb.968:
	s_or_b64 exec, exec, s[6:7]
.LBB113_969:
	s_or_b64 exec, exec, s[4:5]
	v_mov_b32_e32 v0, 0
	ds_read_b32 v0, v0 offset:196
	s_waitcnt lgkmcnt(0)
	v_mul_f32_e32 v0, v103, v0
	buffer_store_dword v0, off, s[0:3], 0 offset:196
.LBB113_970:
	s_or_b64 exec, exec, s[8:9]
.LBB113_971:
	buffer_load_dword v0, off, s[0:3], 0
	buffer_load_dword v1, off, s[0:3], 0 offset:4
	buffer_load_dword v102, off, s[0:3], 0 offset:8
	;; [unrolled: 1-line block ×49, first 2 shown]
	s_waitcnt vmcnt(49)
	global_store_dword v[96:97], v0, off
	s_waitcnt vmcnt(49)
	global_store_dword v[98:99], v1, off
	s_waitcnt vmcnt(49)
	global_store_dword v[2:3], v102, off
	s_waitcnt vmcnt(49)
	global_store_dword v[4:5], v103, off
	s_waitcnt vmcnt(49)
	global_store_dword v[6:7], v104, off
	s_waitcnt vmcnt(49)
	global_store_dword v[8:9], v105, off
	s_waitcnt vmcnt(49)
	global_store_dword v[10:11], v106, off
	s_waitcnt vmcnt(49)
	global_store_dword v[12:13], v107, off
	s_waitcnt vmcnt(49)
	global_store_dword v[14:15], v108, off
	s_waitcnt vmcnt(49)
	global_store_dword v[16:17], v109, off
	s_waitcnt vmcnt(49)
	global_store_dword v[18:19], v110, off
	s_waitcnt vmcnt(49)
	global_store_dword v[20:21], v111, off
	s_waitcnt vmcnt(49)
	global_store_dword v[22:23], v112, off
	s_waitcnt vmcnt(49)
	global_store_dword v[24:25], v113, off
	s_waitcnt vmcnt(49)
	global_store_dword v[26:27], v114, off
	s_waitcnt vmcnt(49)
	global_store_dword v[28:29], v115, off
	s_waitcnt vmcnt(49)
	global_store_dword v[30:31], v116, off
	s_waitcnt vmcnt(49)
	global_store_dword v[32:33], v117, off
	s_waitcnt vmcnt(49)
	global_store_dword v[34:35], v118, off
	s_waitcnt vmcnt(49)
	global_store_dword v[36:37], v119, off
	s_waitcnt vmcnt(49)
	global_store_dword v[38:39], v120, off
	s_waitcnt vmcnt(49)
	global_store_dword v[40:41], v121, off
	s_waitcnt vmcnt(49)
	global_store_dword v[42:43], v122, off
	s_waitcnt vmcnt(49)
	global_store_dword v[44:45], v123, off
	s_waitcnt vmcnt(49)
	global_store_dword v[46:47], v124, off
	s_waitcnt vmcnt(49)
	global_store_dword v[48:49], v125, off
	s_waitcnt vmcnt(49)
	global_store_dword v[50:51], v126, off
	s_waitcnt vmcnt(49)
	global_store_dword v[52:53], v127, off
	s_waitcnt vmcnt(49)
	global_store_dword v[54:55], v128, off
	s_waitcnt vmcnt(49)
	global_store_dword v[56:57], v129, off
	s_waitcnt vmcnt(49)
	global_store_dword v[58:59], v130, off
	s_waitcnt vmcnt(49)
	global_store_dword v[60:61], v131, off
	s_waitcnt vmcnt(49)
	global_store_dword v[62:63], v132, off
	s_waitcnt vmcnt(49)
	global_store_dword v[64:65], v133, off
	s_waitcnt vmcnt(49)
	global_store_dword v[66:67], v134, off
	s_waitcnt vmcnt(49)
	global_store_dword v[68:69], v135, off
	s_waitcnt vmcnt(49)
	global_store_dword v[70:71], v136, off
	s_waitcnt vmcnt(49)
	global_store_dword v[72:73], v137, off
	s_waitcnt vmcnt(49)
	global_store_dword v[74:75], v138, off
	s_waitcnt vmcnt(49)
	global_store_dword v[76:77], v139, off
	s_waitcnt vmcnt(49)
	global_store_dword v[78:79], v140, off
	s_waitcnt vmcnt(49)
	global_store_dword v[80:81], v141, off
	s_waitcnt vmcnt(49)
	global_store_dword v[82:83], v142, off
	s_waitcnt vmcnt(49)
	global_store_dword v[84:85], v143, off
	s_waitcnt vmcnt(49)
	global_store_dword v[86:87], v144, off
	s_waitcnt vmcnt(49)
	global_store_dword v[88:89], v145, off
	s_waitcnt vmcnt(49)
	global_store_dword v[90:91], v146, off
	s_waitcnt vmcnt(49)
	global_store_dword v[92:93], v147, off
	s_waitcnt vmcnt(49)
	global_store_dword v[94:95], v148, off
	s_waitcnt vmcnt(49)
	global_store_dword v[100:101], v149, off
.LBB113_972:
	s_endpgm
	.section	.rodata,"a",@progbits
	.p2align	6, 0x0
	.amdhsa_kernel _ZN9rocsolver6v33100L18trti2_kernel_smallILi50EfPKPfEEv13rocblas_fill_17rocblas_diagonal_T1_iil
		.amdhsa_group_segment_fixed_size 408
		.amdhsa_private_segment_fixed_size 208
		.amdhsa_kernarg_size 32
		.amdhsa_user_sgpr_count 8
		.amdhsa_user_sgpr_private_segment_buffer 1
		.amdhsa_user_sgpr_dispatch_ptr 0
		.amdhsa_user_sgpr_queue_ptr 0
		.amdhsa_user_sgpr_kernarg_segment_ptr 1
		.amdhsa_user_sgpr_dispatch_id 0
		.amdhsa_user_sgpr_flat_scratch_init 1
		.amdhsa_user_sgpr_kernarg_preload_length 0
		.amdhsa_user_sgpr_kernarg_preload_offset 0
		.amdhsa_user_sgpr_private_segment_size 0
		.amdhsa_uses_dynamic_stack 0
		.amdhsa_system_sgpr_private_segment_wavefront_offset 1
		.amdhsa_system_sgpr_workgroup_id_x 1
		.amdhsa_system_sgpr_workgroup_id_y 0
		.amdhsa_system_sgpr_workgroup_id_z 0
		.amdhsa_system_sgpr_workgroup_info 0
		.amdhsa_system_vgpr_workitem_id 0
		.amdhsa_next_free_vgpr 152
		.amdhsa_next_free_sgpr 16
		.amdhsa_accum_offset 152
		.amdhsa_reserve_vcc 1
		.amdhsa_reserve_flat_scratch 0
		.amdhsa_float_round_mode_32 0
		.amdhsa_float_round_mode_16_64 0
		.amdhsa_float_denorm_mode_32 3
		.amdhsa_float_denorm_mode_16_64 3
		.amdhsa_dx10_clamp 1
		.amdhsa_ieee_mode 1
		.amdhsa_fp16_overflow 0
		.amdhsa_tg_split 0
		.amdhsa_exception_fp_ieee_invalid_op 0
		.amdhsa_exception_fp_denorm_src 0
		.amdhsa_exception_fp_ieee_div_zero 0
		.amdhsa_exception_fp_ieee_overflow 0
		.amdhsa_exception_fp_ieee_underflow 0
		.amdhsa_exception_fp_ieee_inexact 0
		.amdhsa_exception_int_div_zero 0
	.end_amdhsa_kernel
	.section	.text._ZN9rocsolver6v33100L18trti2_kernel_smallILi50EfPKPfEEv13rocblas_fill_17rocblas_diagonal_T1_iil,"axG",@progbits,_ZN9rocsolver6v33100L18trti2_kernel_smallILi50EfPKPfEEv13rocblas_fill_17rocblas_diagonal_T1_iil,comdat
.Lfunc_end113:
	.size	_ZN9rocsolver6v33100L18trti2_kernel_smallILi50EfPKPfEEv13rocblas_fill_17rocblas_diagonal_T1_iil, .Lfunc_end113-_ZN9rocsolver6v33100L18trti2_kernel_smallILi50EfPKPfEEv13rocblas_fill_17rocblas_diagonal_T1_iil
                                        ; -- End function
	.section	.AMDGPU.csdata,"",@progbits
; Kernel info:
; codeLenInByte = 24444
; NumSgprs: 20
; NumVgprs: 152
; NumAgprs: 0
; TotalNumVgprs: 152
; ScratchSize: 208
; MemoryBound: 0
; FloatMode: 240
; IeeeMode: 1
; LDSByteSize: 408 bytes/workgroup (compile time only)
; SGPRBlocks: 2
; VGPRBlocks: 18
; NumSGPRsForWavesPerEU: 20
; NumVGPRsForWavesPerEU: 152
; AccumOffset: 152
; Occupancy: 3
; WaveLimiterHint : 1
; COMPUTE_PGM_RSRC2:SCRATCH_EN: 1
; COMPUTE_PGM_RSRC2:USER_SGPR: 8
; COMPUTE_PGM_RSRC2:TRAP_HANDLER: 0
; COMPUTE_PGM_RSRC2:TGID_X_EN: 1
; COMPUTE_PGM_RSRC2:TGID_Y_EN: 0
; COMPUTE_PGM_RSRC2:TGID_Z_EN: 0
; COMPUTE_PGM_RSRC2:TIDIG_COMP_CNT: 0
; COMPUTE_PGM_RSRC3_GFX90A:ACCUM_OFFSET: 37
; COMPUTE_PGM_RSRC3_GFX90A:TG_SPLIT: 0
	.section	.text._ZN9rocsolver6v33100L18trti2_kernel_smallILi51EfPKPfEEv13rocblas_fill_17rocblas_diagonal_T1_iil,"axG",@progbits,_ZN9rocsolver6v33100L18trti2_kernel_smallILi51EfPKPfEEv13rocblas_fill_17rocblas_diagonal_T1_iil,comdat
	.globl	_ZN9rocsolver6v33100L18trti2_kernel_smallILi51EfPKPfEEv13rocblas_fill_17rocblas_diagonal_T1_iil ; -- Begin function _ZN9rocsolver6v33100L18trti2_kernel_smallILi51EfPKPfEEv13rocblas_fill_17rocblas_diagonal_T1_iil
	.p2align	8
	.type	_ZN9rocsolver6v33100L18trti2_kernel_smallILi51EfPKPfEEv13rocblas_fill_17rocblas_diagonal_T1_iil,@function
_ZN9rocsolver6v33100L18trti2_kernel_smallILi51EfPKPfEEv13rocblas_fill_17rocblas_diagonal_T1_iil: ; @_ZN9rocsolver6v33100L18trti2_kernel_smallILi51EfPKPfEEv13rocblas_fill_17rocblas_diagonal_T1_iil
; %bb.0:
	s_add_u32 s0, s0, s9
	s_addc_u32 s1, s1, 0
	v_cmp_gt_u32_e32 vcc, 51, v0
	s_and_saveexec_b64 s[6:7], vcc
	s_cbranch_execz .LBB114_992
; %bb.1:
	s_load_dwordx2 s[6:7], s[4:5], 0x10
	s_load_dwordx4 s[12:15], s[4:5], 0x0
	s_ashr_i32 s9, s8, 31
	s_lshl_b64 s[4:5], s[8:9], 3
	s_waitcnt lgkmcnt(0)
	s_ashr_i32 s9, s6, 31
	s_add_u32 s4, s14, s4
	s_addc_u32 s5, s15, s5
	s_load_dwordx2 s[4:5], s[4:5], 0x0
	s_mov_b32 s8, s6
	s_lshl_b64 s[8:9], s[8:9], 2
	s_waitcnt lgkmcnt(0)
	s_add_u32 s4, s4, s8
	s_addc_u32 s5, s5, s9
	s_add_i32 s6, s7, s7
	v_add_u32_e32 v4, s6, v0
	v_ashrrev_i32_e32 v5, 31, v4
	v_lshlrev_b64 v[2:3], 2, v[4:5]
	v_add_u32_e32 v6, s7, v4
	v_mov_b32_e32 v1, s5
	v_add_co_u32_e32 v2, vcc, s4, v2
	v_ashrrev_i32_e32 v7, 31, v6
	v_addc_co_u32_e32 v3, vcc, v1, v3, vcc
	v_lshlrev_b64 v[4:5], 2, v[6:7]
	v_add_u32_e32 v8, s7, v6
	v_add_co_u32_e32 v4, vcc, s4, v4
	v_ashrrev_i32_e32 v9, 31, v8
	v_addc_co_u32_e32 v5, vcc, v1, v5, vcc
	v_lshlrev_b64 v[6:7], 2, v[8:9]
	v_add_u32_e32 v10, s7, v8
	;; [unrolled: 5-line block ×46, first 2 shown]
	v_add_co_u32_e32 v94, vcc, s4, v94
	v_ashrrev_i32_e32 v99, 31, v98
	v_addc_co_u32_e32 v95, vcc, v1, v95, vcc
	v_lshlrev_b64 v[96:97], 2, v[98:99]
	v_add_co_u32_e32 v96, vcc, s4, v96
	v_add_u32_e32 v98, s7, v98
	v_addc_co_u32_e32 v97, vcc, v1, v97, vcc
	v_ashrrev_i32_e32 v99, 31, v98
	v_lshlrev_b32_e32 v1, 2, v0
	v_lshlrev_b64 v[102:103], 2, v[98:99]
	v_mov_b32_e32 v99, s5
	v_add_co_u32_e32 v98, vcc, s4, v1
	s_ashr_i32 s9, s7, 31
	s_mov_b32 s8, s7
	v_addc_co_u32_e32 v99, vcc, 0, v99, vcc
	s_lshl_b64 s[6:7], s[8:9], 2
	v_mov_b32_e32 v101, s7
	v_add_co_u32_e32 v100, vcc, s6, v98
	v_addc_co_u32_e32 v101, vcc, v99, v101, vcc
	global_load_dword v104, v1, s[4:5]
	global_load_dword v105, v[100:101], off
	global_load_dword v106, v[2:3], off
	;; [unrolled: 1-line block ×48, first 2 shown]
	v_mov_b32_e32 v153, s5
	global_load_dword v154, v[96:97], off
	v_add_co_u32_e32 v102, vcc, s4, v102
	v_addc_co_u32_e32 v103, vcc, v153, v103, vcc
	global_load_dword v153, v[102:103], off
	s_cmpk_lg_i32 s13, 0x84
	s_waitcnt vmcnt(50)
	buffer_store_dword v104, off, s[0:3], 0
	s_waitcnt vmcnt(50)
	buffer_store_dword v105, off, s[0:3], 0 offset:4
	s_waitcnt vmcnt(50)
	buffer_store_dword v106, off, s[0:3], 0 offset:8
	;; [unrolled: 2-line block ×11, first 2 shown]
	buffer_store_dword v114, off, s[0:3], 0 offset:48
	buffer_store_dword v115, off, s[0:3], 0 offset:52
	;; [unrolled: 1-line block ×5, first 2 shown]
	s_waitcnt vmcnt(50)
	buffer_store_dword v121, off, s[0:3], 0 offset:68
	s_waitcnt vmcnt(50)
	buffer_store_dword v122, off, s[0:3], 0 offset:72
	s_waitcnt vmcnt(50)
	buffer_store_dword v123, off, s[0:3], 0 offset:76
	s_waitcnt vmcnt(47)
	buffer_store_dword v127, off, s[0:3], 0 offset:84
	s_waitcnt vmcnt(47)
	buffer_store_dword v128, off, s[0:3], 0 offset:80
	buffer_store_dword v125, off, s[0:3], 0 offset:92
	buffer_store_dword v126, off, s[0:3], 0 offset:88
	s_waitcnt vmcnt(49)
	buffer_store_dword v129, off, s[0:3], 0 offset:100
	buffer_store_dword v124, off, s[0:3], 0 offset:96
	s_waitcnt vmcnt(45)
	buffer_store_dword v135, off, s[0:3], 0 offset:108
	s_waitcnt vmcnt(45)
	buffer_store_dword v136, off, s[0:3], 0 offset:104
	buffer_store_dword v133, off, s[0:3], 0 offset:116
	buffer_store_dword v134, off, s[0:3], 0 offset:112
	buffer_store_dword v131, off, s[0:3], 0 offset:124
	buffer_store_dword v132, off, s[0:3], 0 offset:120
	s_waitcnt vmcnt(49)
	buffer_store_dword v137, off, s[0:3], 0 offset:132
	buffer_store_dword v130, off, s[0:3], 0 offset:128
	s_waitcnt vmcnt(45)
	buffer_store_dword v143, off, s[0:3], 0 offset:140
	s_waitcnt vmcnt(45)
	buffer_store_dword v144, off, s[0:3], 0 offset:136
	buffer_store_dword v141, off, s[0:3], 0 offset:148
	buffer_store_dword v142, off, s[0:3], 0 offset:144
	;; [unrolled: 11-line block ×3, first 2 shown]
	buffer_store_dword v147, off, s[0:3], 0 offset:188
	buffer_store_dword v148, off, s[0:3], 0 offset:184
	s_waitcnt vmcnt(49)
	buffer_store_dword v154, off, s[0:3], 0 offset:196
	buffer_store_dword v146, off, s[0:3], 0 offset:192
	s_waitcnt vmcnt(50)
	buffer_store_dword v153, off, s[0:3], 0 offset:200
	s_cselect_b64 s[10:11], -1, 0
	s_cmpk_eq_i32 s13, 0x84
	v_mov_b32_e32 v129, 0
	v_mov_b32_e32 v104, -1.0
	s_cbranch_scc1 .LBB114_3
; %bb.2:
	v_lshl_add_u32 v104, v0, 2, v129
	buffer_load_dword v105, v104, s[0:3], 0 offen
	s_waitcnt vmcnt(0)
	v_div_scale_f32 v106, s[4:5], v105, v105, 1.0
	v_rcp_f32_e32 v107, v106
	v_div_scale_f32 v108, vcc, 1.0, v105, 1.0
	v_fma_f32 v109, -v106, v107, 1.0
	v_fmac_f32_e32 v107, v109, v107
	v_mul_f32_e32 v109, v108, v107
	v_fma_f32 v110, -v106, v109, v108
	v_fmac_f32_e32 v109, v110, v107
	v_fma_f32 v106, -v106, v109, v108
	v_div_fmas_f32 v106, v106, v107, v109
	v_div_fixup_f32 v105, v106, v105, 1.0
	buffer_store_dword v105, v104, s[0:3], 0 offen
	v_xor_b32_e32 v104, 0x80000000, v105
.LBB114_3:
	ds_write_b32 v1, v104
	s_cmpk_eq_i32 s12, 0x79
	v_add_u32_e32 v104, 0xd0, v1
	v_add_u32_e32 v105, 0, v1
	s_mov_b64 s[4:5], -1
	s_cbranch_scc1 .LBB114_497
; %bb.4:
	buffer_load_dword v106, off, s[0:3], 0 offset:196
	v_cmp_eq_u32_e64 s[4:5], 50, v0
	s_waitcnt vmcnt(0)
	ds_write_b32 v104, v106
	s_waitcnt lgkmcnt(0)
	; wave barrier
	s_waitcnt lgkmcnt(0)
	s_and_saveexec_b64 s[6:7], s[4:5]
	s_cbranch_execz .LBB114_10
; %bb.5:
	s_and_b64 vcc, exec, s[10:11]
	s_cbranch_vccz .LBB114_7
; %bb.6:
	buffer_load_dword v106, v105, s[0:3], 0 offen
	ds_read_b32 v107, v104
	s_waitcnt vmcnt(0) lgkmcnt(0)
	v_mul_f32_e32 v106, v106, v107
	s_cbranch_execz .LBB114_8
	s_branch .LBB114_9
.LBB114_7:
                                        ; implicit-def: $vgpr106
.LBB114_8:
	ds_read_b32 v106, v104
.LBB114_9:
	v_mov_b32_e32 v107, 0
	ds_read_b32 v107, v107 offset:196
	s_waitcnt lgkmcnt(0)
	v_mul_f32_e32 v106, v106, v107
	buffer_store_dword v106, off, s[0:3], 0 offset:196
.LBB114_10:
	s_or_b64 exec, exec, s[6:7]
	buffer_load_dword v130, off, s[0:3], 0 offset:192
	v_or_b32_e32 v106, 8, v129
	v_add_u32_e32 v107, 16, v129
	v_add_u32_e32 v108, 24, v129
	v_add_u32_e32 v109, 32, v129
	v_add_u32_e32 v110, 40, v129
	v_add_u32_e32 v111, 48, v129
	v_add_u32_e32 v112, 56, v129
	v_add_u32_e32 v113, 64, v129
	v_add_u32_e32 v114, 0x48, v129
	v_add_u32_e32 v115, 0x50, v129
	v_add_u32_e32 v116, 0x58, v129
	v_add_u32_e32 v117, 0x60, v129
	v_add_u32_e32 v118, 0x68, v129
	v_add_u32_e32 v119, 0x70, v129
	v_add_u32_e32 v120, 0x78, v129
	v_add_u32_e32 v121, 0x80, v129
	v_add_u32_e32 v122, 0x88, v129
	v_add_u32_e32 v123, 0x90, v129
	v_add_u32_e32 v124, 0x98, v129
	v_add_u32_e32 v125, 0xa0, v129
	v_add_u32_e32 v126, 0xa8, v129
	v_add_u32_e32 v127, 0xb0, v129
	v_add_u32_e32 v128, 0xb8, v129
	v_add_u32_e32 v129, 0xc0, v129
	v_cmp_lt_u32_e64 s[8:9], 48, v0
	s_waitcnt vmcnt(0)
	ds_write_b32 v104, v130
	s_waitcnt lgkmcnt(0)
	; wave barrier
	s_waitcnt lgkmcnt(0)
	s_and_saveexec_b64 s[6:7], s[8:9]
	s_cbranch_execz .LBB114_16
; %bb.11:
	s_andn2_b64 vcc, exec, s[10:11]
	s_cbranch_vccnz .LBB114_13
; %bb.12:
	buffer_load_dword v130, v105, s[0:3], 0 offen
	ds_read_b32 v131, v104
	s_waitcnt vmcnt(0) lgkmcnt(0)
	v_mul_f32_e32 v130, v130, v131
	s_cbranch_execz .LBB114_14
	s_branch .LBB114_15
.LBB114_13:
                                        ; implicit-def: $vgpr130
.LBB114_14:
	ds_read_b32 v130, v104
.LBB114_15:
	buffer_load_dword v131, off, s[0:3], 0 offset:196
	v_mov_b32_e32 v132, 0
	ds_read2_b32 v[132:133], v132 offset0:48 offset1:101
	s_waitcnt vmcnt(0) lgkmcnt(0)
	v_fma_f32 v131, v131, v133, v130
	v_cndmask_b32_e64 v130, v130, v131, s[4:5]
	v_mul_f32_e32 v130, v130, v132
	buffer_store_dword v130, off, s[0:3], 0 offset:192
.LBB114_16:
	s_or_b64 exec, exec, s[6:7]
	buffer_load_dword v130, off, s[0:3], 0 offset:188
	v_cmp_lt_u32_e64 s[6:7], 47, v0
	s_waitcnt vmcnt(0)
	ds_write_b32 v104, v130
	s_waitcnt lgkmcnt(0)
	; wave barrier
	s_waitcnt lgkmcnt(0)
	s_and_saveexec_b64 s[4:5], s[6:7]
	s_cbranch_execz .LBB114_26
; %bb.17:
	s_andn2_b64 vcc, exec, s[10:11]
	s_cbranch_vccnz .LBB114_19
; %bb.18:
	buffer_load_dword v130, v105, s[0:3], 0 offen
	ds_read_b32 v131, v104
	s_waitcnt vmcnt(0) lgkmcnt(0)
	v_mul_f32_e32 v130, v130, v131
	s_cbranch_execz .LBB114_20
	s_branch .LBB114_21
.LBB114_19:
                                        ; implicit-def: $vgpr130
.LBB114_20:
	ds_read_b32 v130, v104
.LBB114_21:
	s_and_saveexec_b64 s[12:13], s[8:9]
	s_cbranch_execz .LBB114_25
; %bb.22:
	v_subrev_u32_e32 v131, 48, v0
	s_movk_i32 s14, 0x190
	s_mov_b64 s[8:9], 0
.LBB114_23:                             ; =>This Inner Loop Header: Depth=1
	buffer_load_dword v132, v129, s[0:3], 0 offen
	v_mov_b32_e32 v133, s14
	ds_read_b32 v133, v133
	v_add_u32_e32 v131, -1, v131
	s_add_i32 s14, s14, 4
	v_cmp_eq_u32_e32 vcc, 0, v131
	v_add_u32_e32 v129, 4, v129
	s_or_b64 s[8:9], vcc, s[8:9]
	s_waitcnt vmcnt(0) lgkmcnt(0)
	v_fmac_f32_e32 v130, v132, v133
	s_andn2_b64 exec, exec, s[8:9]
	s_cbranch_execnz .LBB114_23
; %bb.24:
	s_or_b64 exec, exec, s[8:9]
.LBB114_25:
	s_or_b64 exec, exec, s[12:13]
	v_mov_b32_e32 v129, 0
	ds_read_b32 v129, v129 offset:188
	s_waitcnt lgkmcnt(0)
	v_mul_f32_e32 v129, v130, v129
	buffer_store_dword v129, off, s[0:3], 0 offset:188
.LBB114_26:
	s_or_b64 exec, exec, s[4:5]
	buffer_load_dword v129, off, s[0:3], 0 offset:184
	v_cmp_lt_u32_e64 s[4:5], 46, v0
	s_waitcnt vmcnt(0)
	ds_write_b32 v104, v129
	s_waitcnt lgkmcnt(0)
	; wave barrier
	s_waitcnt lgkmcnt(0)
	s_and_saveexec_b64 s[8:9], s[4:5]
	s_cbranch_execz .LBB114_36
; %bb.27:
	s_andn2_b64 vcc, exec, s[10:11]
	s_cbranch_vccnz .LBB114_29
; %bb.28:
	buffer_load_dword v129, v105, s[0:3], 0 offen
	ds_read_b32 v130, v104
	s_waitcnt vmcnt(0) lgkmcnt(0)
	v_mul_f32_e32 v129, v129, v130
	s_cbranch_execz .LBB114_30
	s_branch .LBB114_31
.LBB114_29:
                                        ; implicit-def: $vgpr129
.LBB114_30:
	ds_read_b32 v129, v104
.LBB114_31:
	s_and_saveexec_b64 s[12:13], s[6:7]
	s_cbranch_execz .LBB114_35
; %bb.32:
	v_mov_b32_e32 v130, 0
	v_add_u32_e32 v130, 0xbc, v130
	v_subrev_u32_e32 v131, 47, v0
	s_movk_i32 s14, 0x18c
	s_mov_b64 s[6:7], 0
.LBB114_33:                             ; =>This Inner Loop Header: Depth=1
	buffer_load_dword v132, v130, s[0:3], 0 offen
	v_mov_b32_e32 v133, s14
	ds_read_b32 v133, v133
	v_add_u32_e32 v131, -1, v131
	s_add_i32 s14, s14, 4
	v_cmp_eq_u32_e32 vcc, 0, v131
	v_add_u32_e32 v130, 4, v130
	s_or_b64 s[6:7], vcc, s[6:7]
	s_waitcnt vmcnt(0) lgkmcnt(0)
	v_fmac_f32_e32 v129, v132, v133
	s_andn2_b64 exec, exec, s[6:7]
	s_cbranch_execnz .LBB114_33
; %bb.34:
	s_or_b64 exec, exec, s[6:7]
.LBB114_35:
	s_or_b64 exec, exec, s[12:13]
	v_mov_b32_e32 v130, 0
	ds_read_b32 v130, v130 offset:184
	s_waitcnt lgkmcnt(0)
	v_mul_f32_e32 v129, v129, v130
	buffer_store_dword v129, off, s[0:3], 0 offset:184
.LBB114_36:
	s_or_b64 exec, exec, s[8:9]
	buffer_load_dword v129, off, s[0:3], 0 offset:180
	v_cmp_lt_u32_e64 s[6:7], 45, v0
	s_waitcnt vmcnt(0)
	ds_write_b32 v104, v129
	s_waitcnt lgkmcnt(0)
	; wave barrier
	s_waitcnt lgkmcnt(0)
	s_and_saveexec_b64 s[8:9], s[6:7]
	s_cbranch_execz .LBB114_46
; %bb.37:
	s_andn2_b64 vcc, exec, s[10:11]
	s_cbranch_vccnz .LBB114_39
; %bb.38:
	buffer_load_dword v129, v105, s[0:3], 0 offen
	ds_read_b32 v130, v104
	s_waitcnt vmcnt(0) lgkmcnt(0)
	v_mul_f32_e32 v129, v129, v130
	s_cbranch_execz .LBB114_40
	s_branch .LBB114_41
.LBB114_39:
                                        ; implicit-def: $vgpr129
.LBB114_40:
	ds_read_b32 v129, v104
.LBB114_41:
	s_and_saveexec_b64 s[12:13], s[4:5]
	s_cbranch_execz .LBB114_45
; %bb.42:
	v_subrev_u32_e32 v130, 46, v0
	s_movk_i32 s14, 0x188
	s_mov_b64 s[4:5], 0
.LBB114_43:                             ; =>This Inner Loop Header: Depth=1
	buffer_load_dword v131, v128, s[0:3], 0 offen
	v_mov_b32_e32 v132, s14
	ds_read_b32 v132, v132
	v_add_u32_e32 v130, -1, v130
	s_add_i32 s14, s14, 4
	v_cmp_eq_u32_e32 vcc, 0, v130
	v_add_u32_e32 v128, 4, v128
	s_or_b64 s[4:5], vcc, s[4:5]
	s_waitcnt vmcnt(0) lgkmcnt(0)
	v_fmac_f32_e32 v129, v131, v132
	s_andn2_b64 exec, exec, s[4:5]
	s_cbranch_execnz .LBB114_43
; %bb.44:
	s_or_b64 exec, exec, s[4:5]
.LBB114_45:
	s_or_b64 exec, exec, s[12:13]
	v_mov_b32_e32 v128, 0
	ds_read_b32 v128, v128 offset:180
	s_waitcnt lgkmcnt(0)
	v_mul_f32_e32 v128, v129, v128
	buffer_store_dword v128, off, s[0:3], 0 offset:180
.LBB114_46:
	s_or_b64 exec, exec, s[8:9]
	buffer_load_dword v128, off, s[0:3], 0 offset:176
	v_cmp_lt_u32_e64 s[4:5], 44, v0
	s_waitcnt vmcnt(0)
	ds_write_b32 v104, v128
	s_waitcnt lgkmcnt(0)
	; wave barrier
	s_waitcnt lgkmcnt(0)
	s_and_saveexec_b64 s[8:9], s[4:5]
	s_cbranch_execz .LBB114_56
; %bb.47:
	s_andn2_b64 vcc, exec, s[10:11]
	s_cbranch_vccnz .LBB114_49
; %bb.48:
	buffer_load_dword v128, v105, s[0:3], 0 offen
	ds_read_b32 v129, v104
	s_waitcnt vmcnt(0) lgkmcnt(0)
	v_mul_f32_e32 v128, v128, v129
	s_cbranch_execz .LBB114_50
	s_branch .LBB114_51
.LBB114_49:
                                        ; implicit-def: $vgpr128
.LBB114_50:
	ds_read_b32 v128, v104
.LBB114_51:
	s_and_saveexec_b64 s[12:13], s[6:7]
	s_cbranch_execz .LBB114_55
; %bb.52:
	v_mov_b32_e32 v129, 0
	v_add_u32_e32 v129, 0xb4, v129
	v_subrev_u32_e32 v130, 45, v0
	s_movk_i32 s14, 0x184
	s_mov_b64 s[6:7], 0
.LBB114_53:                             ; =>This Inner Loop Header: Depth=1
	buffer_load_dword v131, v129, s[0:3], 0 offen
	v_mov_b32_e32 v132, s14
	ds_read_b32 v132, v132
	v_add_u32_e32 v130, -1, v130
	s_add_i32 s14, s14, 4
	v_cmp_eq_u32_e32 vcc, 0, v130
	v_add_u32_e32 v129, 4, v129
	s_or_b64 s[6:7], vcc, s[6:7]
	s_waitcnt vmcnt(0) lgkmcnt(0)
	v_fmac_f32_e32 v128, v131, v132
	s_andn2_b64 exec, exec, s[6:7]
	s_cbranch_execnz .LBB114_53
; %bb.54:
	s_or_b64 exec, exec, s[6:7]
.LBB114_55:
	s_or_b64 exec, exec, s[12:13]
	v_mov_b32_e32 v129, 0
	ds_read_b32 v129, v129 offset:176
	s_waitcnt lgkmcnt(0)
	v_mul_f32_e32 v128, v128, v129
	buffer_store_dword v128, off, s[0:3], 0 offset:176
.LBB114_56:
	s_or_b64 exec, exec, s[8:9]
	buffer_load_dword v128, off, s[0:3], 0 offset:172
	v_cmp_lt_u32_e64 s[6:7], 43, v0
	s_waitcnt vmcnt(0)
	ds_write_b32 v104, v128
	s_waitcnt lgkmcnt(0)
	; wave barrier
	s_waitcnt lgkmcnt(0)
	s_and_saveexec_b64 s[8:9], s[6:7]
	s_cbranch_execz .LBB114_66
; %bb.57:
	s_andn2_b64 vcc, exec, s[10:11]
	s_cbranch_vccnz .LBB114_59
; %bb.58:
	buffer_load_dword v128, v105, s[0:3], 0 offen
	ds_read_b32 v129, v104
	s_waitcnt vmcnt(0) lgkmcnt(0)
	v_mul_f32_e32 v128, v128, v129
	s_cbranch_execz .LBB114_60
	s_branch .LBB114_61
.LBB114_59:
                                        ; implicit-def: $vgpr128
.LBB114_60:
	ds_read_b32 v128, v104
.LBB114_61:
	s_and_saveexec_b64 s[12:13], s[4:5]
	s_cbranch_execz .LBB114_65
; %bb.62:
	v_subrev_u32_e32 v129, 44, v0
	s_movk_i32 s14, 0x180
	s_mov_b64 s[4:5], 0
.LBB114_63:                             ; =>This Inner Loop Header: Depth=1
	buffer_load_dword v130, v127, s[0:3], 0 offen
	v_mov_b32_e32 v131, s14
	ds_read_b32 v131, v131
	v_add_u32_e32 v129, -1, v129
	s_add_i32 s14, s14, 4
	v_cmp_eq_u32_e32 vcc, 0, v129
	v_add_u32_e32 v127, 4, v127
	s_or_b64 s[4:5], vcc, s[4:5]
	s_waitcnt vmcnt(0) lgkmcnt(0)
	v_fmac_f32_e32 v128, v130, v131
	s_andn2_b64 exec, exec, s[4:5]
	s_cbranch_execnz .LBB114_63
; %bb.64:
	s_or_b64 exec, exec, s[4:5]
.LBB114_65:
	s_or_b64 exec, exec, s[12:13]
	v_mov_b32_e32 v127, 0
	ds_read_b32 v127, v127 offset:172
	s_waitcnt lgkmcnt(0)
	v_mul_f32_e32 v127, v128, v127
	buffer_store_dword v127, off, s[0:3], 0 offset:172
.LBB114_66:
	s_or_b64 exec, exec, s[8:9]
	buffer_load_dword v127, off, s[0:3], 0 offset:168
	v_cmp_lt_u32_e64 s[4:5], 42, v0
	s_waitcnt vmcnt(0)
	ds_write_b32 v104, v127
	s_waitcnt lgkmcnt(0)
	; wave barrier
	s_waitcnt lgkmcnt(0)
	s_and_saveexec_b64 s[8:9], s[4:5]
	s_cbranch_execz .LBB114_76
; %bb.67:
	s_andn2_b64 vcc, exec, s[10:11]
	s_cbranch_vccnz .LBB114_69
; %bb.68:
	buffer_load_dword v127, v105, s[0:3], 0 offen
	ds_read_b32 v128, v104
	s_waitcnt vmcnt(0) lgkmcnt(0)
	v_mul_f32_e32 v127, v127, v128
	s_cbranch_execz .LBB114_70
	s_branch .LBB114_71
.LBB114_69:
                                        ; implicit-def: $vgpr127
.LBB114_70:
	ds_read_b32 v127, v104
.LBB114_71:
	s_and_saveexec_b64 s[12:13], s[6:7]
	s_cbranch_execz .LBB114_75
; %bb.72:
	v_mov_b32_e32 v128, 0
	v_add_u32_e32 v128, 0xac, v128
	v_subrev_u32_e32 v129, 43, v0
	s_movk_i32 s14, 0x17c
	s_mov_b64 s[6:7], 0
.LBB114_73:                             ; =>This Inner Loop Header: Depth=1
	buffer_load_dword v130, v128, s[0:3], 0 offen
	v_mov_b32_e32 v131, s14
	ds_read_b32 v131, v131
	v_add_u32_e32 v129, -1, v129
	s_add_i32 s14, s14, 4
	v_cmp_eq_u32_e32 vcc, 0, v129
	v_add_u32_e32 v128, 4, v128
	s_or_b64 s[6:7], vcc, s[6:7]
	s_waitcnt vmcnt(0) lgkmcnt(0)
	v_fmac_f32_e32 v127, v130, v131
	s_andn2_b64 exec, exec, s[6:7]
	s_cbranch_execnz .LBB114_73
; %bb.74:
	s_or_b64 exec, exec, s[6:7]
.LBB114_75:
	s_or_b64 exec, exec, s[12:13]
	v_mov_b32_e32 v128, 0
	ds_read_b32 v128, v128 offset:168
	s_waitcnt lgkmcnt(0)
	v_mul_f32_e32 v127, v127, v128
	buffer_store_dword v127, off, s[0:3], 0 offset:168
.LBB114_76:
	s_or_b64 exec, exec, s[8:9]
	buffer_load_dword v127, off, s[0:3], 0 offset:164
	v_cmp_lt_u32_e64 s[6:7], 41, v0
	s_waitcnt vmcnt(0)
	ds_write_b32 v104, v127
	s_waitcnt lgkmcnt(0)
	; wave barrier
	s_waitcnt lgkmcnt(0)
	s_and_saveexec_b64 s[8:9], s[6:7]
	s_cbranch_execz .LBB114_86
; %bb.77:
	s_andn2_b64 vcc, exec, s[10:11]
	s_cbranch_vccnz .LBB114_79
; %bb.78:
	buffer_load_dword v127, v105, s[0:3], 0 offen
	ds_read_b32 v128, v104
	s_waitcnt vmcnt(0) lgkmcnt(0)
	v_mul_f32_e32 v127, v127, v128
	s_cbranch_execz .LBB114_80
	s_branch .LBB114_81
.LBB114_79:
                                        ; implicit-def: $vgpr127
.LBB114_80:
	ds_read_b32 v127, v104
.LBB114_81:
	s_and_saveexec_b64 s[12:13], s[4:5]
	s_cbranch_execz .LBB114_85
; %bb.82:
	v_subrev_u32_e32 v128, 42, v0
	s_movk_i32 s14, 0x178
	s_mov_b64 s[4:5], 0
.LBB114_83:                             ; =>This Inner Loop Header: Depth=1
	buffer_load_dword v129, v126, s[0:3], 0 offen
	v_mov_b32_e32 v130, s14
	ds_read_b32 v130, v130
	v_add_u32_e32 v128, -1, v128
	s_add_i32 s14, s14, 4
	v_cmp_eq_u32_e32 vcc, 0, v128
	v_add_u32_e32 v126, 4, v126
	s_or_b64 s[4:5], vcc, s[4:5]
	s_waitcnt vmcnt(0) lgkmcnt(0)
	v_fmac_f32_e32 v127, v129, v130
	s_andn2_b64 exec, exec, s[4:5]
	s_cbranch_execnz .LBB114_83
; %bb.84:
	s_or_b64 exec, exec, s[4:5]
.LBB114_85:
	s_or_b64 exec, exec, s[12:13]
	v_mov_b32_e32 v126, 0
	ds_read_b32 v126, v126 offset:164
	s_waitcnt lgkmcnt(0)
	v_mul_f32_e32 v126, v127, v126
	buffer_store_dword v126, off, s[0:3], 0 offset:164
.LBB114_86:
	s_or_b64 exec, exec, s[8:9]
	buffer_load_dword v126, off, s[0:3], 0 offset:160
	v_cmp_lt_u32_e64 s[4:5], 40, v0
	s_waitcnt vmcnt(0)
	ds_write_b32 v104, v126
	s_waitcnt lgkmcnt(0)
	; wave barrier
	s_waitcnt lgkmcnt(0)
	s_and_saveexec_b64 s[8:9], s[4:5]
	s_cbranch_execz .LBB114_96
; %bb.87:
	s_andn2_b64 vcc, exec, s[10:11]
	s_cbranch_vccnz .LBB114_89
; %bb.88:
	buffer_load_dword v126, v105, s[0:3], 0 offen
	ds_read_b32 v127, v104
	s_waitcnt vmcnt(0) lgkmcnt(0)
	v_mul_f32_e32 v126, v126, v127
	s_cbranch_execz .LBB114_90
	s_branch .LBB114_91
.LBB114_89:
                                        ; implicit-def: $vgpr126
.LBB114_90:
	ds_read_b32 v126, v104
.LBB114_91:
	s_and_saveexec_b64 s[12:13], s[6:7]
	s_cbranch_execz .LBB114_95
; %bb.92:
	v_mov_b32_e32 v127, 0
	v_add_u32_e32 v127, 0xa4, v127
	v_subrev_u32_e32 v128, 41, v0
	s_movk_i32 s14, 0x174
	s_mov_b64 s[6:7], 0
.LBB114_93:                             ; =>This Inner Loop Header: Depth=1
	buffer_load_dword v129, v127, s[0:3], 0 offen
	v_mov_b32_e32 v130, s14
	ds_read_b32 v130, v130
	v_add_u32_e32 v128, -1, v128
	s_add_i32 s14, s14, 4
	v_cmp_eq_u32_e32 vcc, 0, v128
	v_add_u32_e32 v127, 4, v127
	s_or_b64 s[6:7], vcc, s[6:7]
	s_waitcnt vmcnt(0) lgkmcnt(0)
	v_fmac_f32_e32 v126, v129, v130
	s_andn2_b64 exec, exec, s[6:7]
	s_cbranch_execnz .LBB114_93
; %bb.94:
	s_or_b64 exec, exec, s[6:7]
.LBB114_95:
	s_or_b64 exec, exec, s[12:13]
	v_mov_b32_e32 v127, 0
	ds_read_b32 v127, v127 offset:160
	s_waitcnt lgkmcnt(0)
	v_mul_f32_e32 v126, v126, v127
	buffer_store_dword v126, off, s[0:3], 0 offset:160
.LBB114_96:
	s_or_b64 exec, exec, s[8:9]
	buffer_load_dword v126, off, s[0:3], 0 offset:156
	v_cmp_lt_u32_e64 s[6:7], 39, v0
	s_waitcnt vmcnt(0)
	ds_write_b32 v104, v126
	s_waitcnt lgkmcnt(0)
	; wave barrier
	s_waitcnt lgkmcnt(0)
	s_and_saveexec_b64 s[8:9], s[6:7]
	s_cbranch_execz .LBB114_106
; %bb.97:
	s_andn2_b64 vcc, exec, s[10:11]
	s_cbranch_vccnz .LBB114_99
; %bb.98:
	buffer_load_dword v126, v105, s[0:3], 0 offen
	ds_read_b32 v127, v104
	s_waitcnt vmcnt(0) lgkmcnt(0)
	v_mul_f32_e32 v126, v126, v127
	s_cbranch_execz .LBB114_100
	s_branch .LBB114_101
.LBB114_99:
                                        ; implicit-def: $vgpr126
.LBB114_100:
	ds_read_b32 v126, v104
.LBB114_101:
	s_and_saveexec_b64 s[12:13], s[4:5]
	s_cbranch_execz .LBB114_105
; %bb.102:
	v_subrev_u32_e32 v127, 40, v0
	s_movk_i32 s14, 0x170
	s_mov_b64 s[4:5], 0
.LBB114_103:                            ; =>This Inner Loop Header: Depth=1
	buffer_load_dword v128, v125, s[0:3], 0 offen
	v_mov_b32_e32 v129, s14
	ds_read_b32 v129, v129
	v_add_u32_e32 v127, -1, v127
	s_add_i32 s14, s14, 4
	v_cmp_eq_u32_e32 vcc, 0, v127
	v_add_u32_e32 v125, 4, v125
	s_or_b64 s[4:5], vcc, s[4:5]
	s_waitcnt vmcnt(0) lgkmcnt(0)
	v_fmac_f32_e32 v126, v128, v129
	s_andn2_b64 exec, exec, s[4:5]
	s_cbranch_execnz .LBB114_103
; %bb.104:
	s_or_b64 exec, exec, s[4:5]
.LBB114_105:
	s_or_b64 exec, exec, s[12:13]
	v_mov_b32_e32 v125, 0
	ds_read_b32 v125, v125 offset:156
	s_waitcnt lgkmcnt(0)
	v_mul_f32_e32 v125, v126, v125
	buffer_store_dword v125, off, s[0:3], 0 offset:156
.LBB114_106:
	s_or_b64 exec, exec, s[8:9]
	buffer_load_dword v125, off, s[0:3], 0 offset:152
	v_cmp_lt_u32_e64 s[4:5], 38, v0
	s_waitcnt vmcnt(0)
	ds_write_b32 v104, v125
	s_waitcnt lgkmcnt(0)
	; wave barrier
	s_waitcnt lgkmcnt(0)
	s_and_saveexec_b64 s[8:9], s[4:5]
	s_cbranch_execz .LBB114_116
; %bb.107:
	s_andn2_b64 vcc, exec, s[10:11]
	s_cbranch_vccnz .LBB114_109
; %bb.108:
	buffer_load_dword v125, v105, s[0:3], 0 offen
	ds_read_b32 v126, v104
	s_waitcnt vmcnt(0) lgkmcnt(0)
	v_mul_f32_e32 v125, v125, v126
	s_cbranch_execz .LBB114_110
	s_branch .LBB114_111
.LBB114_109:
                                        ; implicit-def: $vgpr125
.LBB114_110:
	ds_read_b32 v125, v104
.LBB114_111:
	s_and_saveexec_b64 s[12:13], s[6:7]
	s_cbranch_execz .LBB114_115
; %bb.112:
	v_mov_b32_e32 v126, 0
	v_add_u32_e32 v126, 0x9c, v126
	v_subrev_u32_e32 v127, 39, v0
	s_movk_i32 s14, 0x16c
	s_mov_b64 s[6:7], 0
.LBB114_113:                            ; =>This Inner Loop Header: Depth=1
	buffer_load_dword v128, v126, s[0:3], 0 offen
	v_mov_b32_e32 v129, s14
	ds_read_b32 v129, v129
	v_add_u32_e32 v127, -1, v127
	s_add_i32 s14, s14, 4
	v_cmp_eq_u32_e32 vcc, 0, v127
	v_add_u32_e32 v126, 4, v126
	s_or_b64 s[6:7], vcc, s[6:7]
	s_waitcnt vmcnt(0) lgkmcnt(0)
	v_fmac_f32_e32 v125, v128, v129
	s_andn2_b64 exec, exec, s[6:7]
	s_cbranch_execnz .LBB114_113
; %bb.114:
	s_or_b64 exec, exec, s[6:7]
.LBB114_115:
	s_or_b64 exec, exec, s[12:13]
	v_mov_b32_e32 v126, 0
	ds_read_b32 v126, v126 offset:152
	s_waitcnt lgkmcnt(0)
	v_mul_f32_e32 v125, v125, v126
	buffer_store_dword v125, off, s[0:3], 0 offset:152
.LBB114_116:
	s_or_b64 exec, exec, s[8:9]
	buffer_load_dword v125, off, s[0:3], 0 offset:148
	v_cmp_lt_u32_e64 s[6:7], 37, v0
	s_waitcnt vmcnt(0)
	ds_write_b32 v104, v125
	s_waitcnt lgkmcnt(0)
	; wave barrier
	s_waitcnt lgkmcnt(0)
	s_and_saveexec_b64 s[8:9], s[6:7]
	s_cbranch_execz .LBB114_126
; %bb.117:
	s_andn2_b64 vcc, exec, s[10:11]
	s_cbranch_vccnz .LBB114_119
; %bb.118:
	buffer_load_dword v125, v105, s[0:3], 0 offen
	ds_read_b32 v126, v104
	s_waitcnt vmcnt(0) lgkmcnt(0)
	v_mul_f32_e32 v125, v125, v126
	s_cbranch_execz .LBB114_120
	s_branch .LBB114_121
.LBB114_119:
                                        ; implicit-def: $vgpr125
.LBB114_120:
	ds_read_b32 v125, v104
.LBB114_121:
	s_and_saveexec_b64 s[12:13], s[4:5]
	s_cbranch_execz .LBB114_125
; %bb.122:
	v_subrev_u32_e32 v126, 38, v0
	s_movk_i32 s14, 0x168
	s_mov_b64 s[4:5], 0
.LBB114_123:                            ; =>This Inner Loop Header: Depth=1
	buffer_load_dword v127, v124, s[0:3], 0 offen
	v_mov_b32_e32 v128, s14
	ds_read_b32 v128, v128
	v_add_u32_e32 v126, -1, v126
	s_add_i32 s14, s14, 4
	v_cmp_eq_u32_e32 vcc, 0, v126
	v_add_u32_e32 v124, 4, v124
	s_or_b64 s[4:5], vcc, s[4:5]
	s_waitcnt vmcnt(0) lgkmcnt(0)
	v_fmac_f32_e32 v125, v127, v128
	s_andn2_b64 exec, exec, s[4:5]
	s_cbranch_execnz .LBB114_123
; %bb.124:
	s_or_b64 exec, exec, s[4:5]
.LBB114_125:
	s_or_b64 exec, exec, s[12:13]
	v_mov_b32_e32 v124, 0
	ds_read_b32 v124, v124 offset:148
	s_waitcnt lgkmcnt(0)
	v_mul_f32_e32 v124, v125, v124
	buffer_store_dword v124, off, s[0:3], 0 offset:148
.LBB114_126:
	s_or_b64 exec, exec, s[8:9]
	buffer_load_dword v124, off, s[0:3], 0 offset:144
	v_cmp_lt_u32_e64 s[4:5], 36, v0
	s_waitcnt vmcnt(0)
	ds_write_b32 v104, v124
	s_waitcnt lgkmcnt(0)
	; wave barrier
	s_waitcnt lgkmcnt(0)
	s_and_saveexec_b64 s[8:9], s[4:5]
	s_cbranch_execz .LBB114_136
; %bb.127:
	s_andn2_b64 vcc, exec, s[10:11]
	s_cbranch_vccnz .LBB114_129
; %bb.128:
	buffer_load_dword v124, v105, s[0:3], 0 offen
	ds_read_b32 v125, v104
	s_waitcnt vmcnt(0) lgkmcnt(0)
	v_mul_f32_e32 v124, v124, v125
	s_cbranch_execz .LBB114_130
	s_branch .LBB114_131
.LBB114_129:
                                        ; implicit-def: $vgpr124
.LBB114_130:
	ds_read_b32 v124, v104
.LBB114_131:
	s_and_saveexec_b64 s[12:13], s[6:7]
	s_cbranch_execz .LBB114_135
; %bb.132:
	v_mov_b32_e32 v125, 0
	v_add_u32_e32 v125, 0x94, v125
	v_subrev_u32_e32 v126, 37, v0
	s_movk_i32 s14, 0x164
	s_mov_b64 s[6:7], 0
.LBB114_133:                            ; =>This Inner Loop Header: Depth=1
	buffer_load_dword v127, v125, s[0:3], 0 offen
	v_mov_b32_e32 v128, s14
	ds_read_b32 v128, v128
	v_add_u32_e32 v126, -1, v126
	s_add_i32 s14, s14, 4
	v_cmp_eq_u32_e32 vcc, 0, v126
	v_add_u32_e32 v125, 4, v125
	s_or_b64 s[6:7], vcc, s[6:7]
	s_waitcnt vmcnt(0) lgkmcnt(0)
	v_fmac_f32_e32 v124, v127, v128
	s_andn2_b64 exec, exec, s[6:7]
	s_cbranch_execnz .LBB114_133
; %bb.134:
	s_or_b64 exec, exec, s[6:7]
.LBB114_135:
	s_or_b64 exec, exec, s[12:13]
	v_mov_b32_e32 v125, 0
	ds_read_b32 v125, v125 offset:144
	s_waitcnt lgkmcnt(0)
	v_mul_f32_e32 v124, v124, v125
	buffer_store_dword v124, off, s[0:3], 0 offset:144
.LBB114_136:
	s_or_b64 exec, exec, s[8:9]
	buffer_load_dword v124, off, s[0:3], 0 offset:140
	v_cmp_lt_u32_e64 s[6:7], 35, v0
	s_waitcnt vmcnt(0)
	ds_write_b32 v104, v124
	s_waitcnt lgkmcnt(0)
	; wave barrier
	s_waitcnt lgkmcnt(0)
	s_and_saveexec_b64 s[8:9], s[6:7]
	s_cbranch_execz .LBB114_146
; %bb.137:
	s_andn2_b64 vcc, exec, s[10:11]
	s_cbranch_vccnz .LBB114_139
; %bb.138:
	buffer_load_dword v124, v105, s[0:3], 0 offen
	ds_read_b32 v125, v104
	s_waitcnt vmcnt(0) lgkmcnt(0)
	v_mul_f32_e32 v124, v124, v125
	s_cbranch_execz .LBB114_140
	s_branch .LBB114_141
.LBB114_139:
                                        ; implicit-def: $vgpr124
.LBB114_140:
	ds_read_b32 v124, v104
.LBB114_141:
	s_and_saveexec_b64 s[12:13], s[4:5]
	s_cbranch_execz .LBB114_145
; %bb.142:
	v_subrev_u32_e32 v125, 36, v0
	s_movk_i32 s14, 0x160
	s_mov_b64 s[4:5], 0
.LBB114_143:                            ; =>This Inner Loop Header: Depth=1
	buffer_load_dword v126, v123, s[0:3], 0 offen
	v_mov_b32_e32 v127, s14
	ds_read_b32 v127, v127
	v_add_u32_e32 v125, -1, v125
	s_add_i32 s14, s14, 4
	v_cmp_eq_u32_e32 vcc, 0, v125
	v_add_u32_e32 v123, 4, v123
	s_or_b64 s[4:5], vcc, s[4:5]
	s_waitcnt vmcnt(0) lgkmcnt(0)
	v_fmac_f32_e32 v124, v126, v127
	s_andn2_b64 exec, exec, s[4:5]
	s_cbranch_execnz .LBB114_143
; %bb.144:
	s_or_b64 exec, exec, s[4:5]
.LBB114_145:
	s_or_b64 exec, exec, s[12:13]
	v_mov_b32_e32 v123, 0
	ds_read_b32 v123, v123 offset:140
	s_waitcnt lgkmcnt(0)
	v_mul_f32_e32 v123, v124, v123
	buffer_store_dword v123, off, s[0:3], 0 offset:140
.LBB114_146:
	s_or_b64 exec, exec, s[8:9]
	buffer_load_dword v123, off, s[0:3], 0 offset:136
	v_cmp_lt_u32_e64 s[4:5], 34, v0
	s_waitcnt vmcnt(0)
	ds_write_b32 v104, v123
	s_waitcnt lgkmcnt(0)
	; wave barrier
	s_waitcnt lgkmcnt(0)
	s_and_saveexec_b64 s[8:9], s[4:5]
	s_cbranch_execz .LBB114_156
; %bb.147:
	s_andn2_b64 vcc, exec, s[10:11]
	s_cbranch_vccnz .LBB114_149
; %bb.148:
	buffer_load_dword v123, v105, s[0:3], 0 offen
	ds_read_b32 v124, v104
	s_waitcnt vmcnt(0) lgkmcnt(0)
	v_mul_f32_e32 v123, v123, v124
	s_cbranch_execz .LBB114_150
	s_branch .LBB114_151
.LBB114_149:
                                        ; implicit-def: $vgpr123
.LBB114_150:
	ds_read_b32 v123, v104
.LBB114_151:
	s_and_saveexec_b64 s[12:13], s[6:7]
	s_cbranch_execz .LBB114_155
; %bb.152:
	v_mov_b32_e32 v124, 0
	v_add_u32_e32 v124, 0x8c, v124
	v_subrev_u32_e32 v125, 35, v0
	s_movk_i32 s14, 0x15c
	s_mov_b64 s[6:7], 0
.LBB114_153:                            ; =>This Inner Loop Header: Depth=1
	buffer_load_dword v126, v124, s[0:3], 0 offen
	v_mov_b32_e32 v127, s14
	ds_read_b32 v127, v127
	v_add_u32_e32 v125, -1, v125
	s_add_i32 s14, s14, 4
	v_cmp_eq_u32_e32 vcc, 0, v125
	v_add_u32_e32 v124, 4, v124
	s_or_b64 s[6:7], vcc, s[6:7]
	s_waitcnt vmcnt(0) lgkmcnt(0)
	v_fmac_f32_e32 v123, v126, v127
	s_andn2_b64 exec, exec, s[6:7]
	s_cbranch_execnz .LBB114_153
; %bb.154:
	s_or_b64 exec, exec, s[6:7]
.LBB114_155:
	s_or_b64 exec, exec, s[12:13]
	v_mov_b32_e32 v124, 0
	ds_read_b32 v124, v124 offset:136
	s_waitcnt lgkmcnt(0)
	v_mul_f32_e32 v123, v123, v124
	buffer_store_dword v123, off, s[0:3], 0 offset:136
.LBB114_156:
	s_or_b64 exec, exec, s[8:9]
	buffer_load_dword v123, off, s[0:3], 0 offset:132
	v_cmp_lt_u32_e64 s[6:7], 33, v0
	s_waitcnt vmcnt(0)
	ds_write_b32 v104, v123
	s_waitcnt lgkmcnt(0)
	; wave barrier
	s_waitcnt lgkmcnt(0)
	s_and_saveexec_b64 s[8:9], s[6:7]
	s_cbranch_execz .LBB114_166
; %bb.157:
	s_andn2_b64 vcc, exec, s[10:11]
	s_cbranch_vccnz .LBB114_159
; %bb.158:
	buffer_load_dword v123, v105, s[0:3], 0 offen
	ds_read_b32 v124, v104
	s_waitcnt vmcnt(0) lgkmcnt(0)
	v_mul_f32_e32 v123, v123, v124
	s_cbranch_execz .LBB114_160
	s_branch .LBB114_161
.LBB114_159:
                                        ; implicit-def: $vgpr123
.LBB114_160:
	ds_read_b32 v123, v104
.LBB114_161:
	s_and_saveexec_b64 s[12:13], s[4:5]
	s_cbranch_execz .LBB114_165
; %bb.162:
	v_subrev_u32_e32 v124, 34, v0
	s_movk_i32 s14, 0x158
	s_mov_b64 s[4:5], 0
.LBB114_163:                            ; =>This Inner Loop Header: Depth=1
	buffer_load_dword v125, v122, s[0:3], 0 offen
	v_mov_b32_e32 v126, s14
	ds_read_b32 v126, v126
	v_add_u32_e32 v124, -1, v124
	s_add_i32 s14, s14, 4
	v_cmp_eq_u32_e32 vcc, 0, v124
	v_add_u32_e32 v122, 4, v122
	s_or_b64 s[4:5], vcc, s[4:5]
	s_waitcnt vmcnt(0) lgkmcnt(0)
	v_fmac_f32_e32 v123, v125, v126
	s_andn2_b64 exec, exec, s[4:5]
	s_cbranch_execnz .LBB114_163
; %bb.164:
	s_or_b64 exec, exec, s[4:5]
.LBB114_165:
	s_or_b64 exec, exec, s[12:13]
	v_mov_b32_e32 v122, 0
	ds_read_b32 v122, v122 offset:132
	s_waitcnt lgkmcnt(0)
	v_mul_f32_e32 v122, v123, v122
	buffer_store_dword v122, off, s[0:3], 0 offset:132
.LBB114_166:
	s_or_b64 exec, exec, s[8:9]
	buffer_load_dword v122, off, s[0:3], 0 offset:128
	v_cmp_lt_u32_e64 s[4:5], 32, v0
	s_waitcnt vmcnt(0)
	ds_write_b32 v104, v122
	s_waitcnt lgkmcnt(0)
	; wave barrier
	s_waitcnt lgkmcnt(0)
	s_and_saveexec_b64 s[8:9], s[4:5]
	s_cbranch_execz .LBB114_176
; %bb.167:
	s_andn2_b64 vcc, exec, s[10:11]
	s_cbranch_vccnz .LBB114_169
; %bb.168:
	buffer_load_dword v122, v105, s[0:3], 0 offen
	ds_read_b32 v123, v104
	s_waitcnt vmcnt(0) lgkmcnt(0)
	v_mul_f32_e32 v122, v122, v123
	s_cbranch_execz .LBB114_170
	s_branch .LBB114_171
.LBB114_169:
                                        ; implicit-def: $vgpr122
.LBB114_170:
	ds_read_b32 v122, v104
.LBB114_171:
	s_and_saveexec_b64 s[12:13], s[6:7]
	s_cbranch_execz .LBB114_175
; %bb.172:
	v_mov_b32_e32 v123, 0
	v_add_u32_e32 v123, 0x84, v123
	v_subrev_u32_e32 v124, 33, v0
	s_movk_i32 s14, 0x154
	s_mov_b64 s[6:7], 0
.LBB114_173:                            ; =>This Inner Loop Header: Depth=1
	buffer_load_dword v125, v123, s[0:3], 0 offen
	v_mov_b32_e32 v126, s14
	ds_read_b32 v126, v126
	v_add_u32_e32 v124, -1, v124
	s_add_i32 s14, s14, 4
	v_cmp_eq_u32_e32 vcc, 0, v124
	v_add_u32_e32 v123, 4, v123
	s_or_b64 s[6:7], vcc, s[6:7]
	s_waitcnt vmcnt(0) lgkmcnt(0)
	v_fmac_f32_e32 v122, v125, v126
	s_andn2_b64 exec, exec, s[6:7]
	s_cbranch_execnz .LBB114_173
; %bb.174:
	s_or_b64 exec, exec, s[6:7]
.LBB114_175:
	s_or_b64 exec, exec, s[12:13]
	v_mov_b32_e32 v123, 0
	ds_read_b32 v123, v123 offset:128
	s_waitcnt lgkmcnt(0)
	v_mul_f32_e32 v122, v122, v123
	buffer_store_dword v122, off, s[0:3], 0 offset:128
.LBB114_176:
	s_or_b64 exec, exec, s[8:9]
	buffer_load_dword v122, off, s[0:3], 0 offset:124
	v_cmp_lt_u32_e64 s[6:7], 31, v0
	s_waitcnt vmcnt(0)
	ds_write_b32 v104, v122
	s_waitcnt lgkmcnt(0)
	; wave barrier
	s_waitcnt lgkmcnt(0)
	s_and_saveexec_b64 s[8:9], s[6:7]
	s_cbranch_execz .LBB114_186
; %bb.177:
	s_andn2_b64 vcc, exec, s[10:11]
	s_cbranch_vccnz .LBB114_179
; %bb.178:
	buffer_load_dword v122, v105, s[0:3], 0 offen
	ds_read_b32 v123, v104
	s_waitcnt vmcnt(0) lgkmcnt(0)
	v_mul_f32_e32 v122, v122, v123
	s_cbranch_execz .LBB114_180
	s_branch .LBB114_181
.LBB114_179:
                                        ; implicit-def: $vgpr122
.LBB114_180:
	ds_read_b32 v122, v104
.LBB114_181:
	s_and_saveexec_b64 s[12:13], s[4:5]
	s_cbranch_execz .LBB114_185
; %bb.182:
	v_subrev_u32_e32 v123, 32, v0
	s_movk_i32 s14, 0x150
	s_mov_b64 s[4:5], 0
.LBB114_183:                            ; =>This Inner Loop Header: Depth=1
	buffer_load_dword v124, v121, s[0:3], 0 offen
	v_mov_b32_e32 v125, s14
	ds_read_b32 v125, v125
	v_add_u32_e32 v123, -1, v123
	s_add_i32 s14, s14, 4
	v_cmp_eq_u32_e32 vcc, 0, v123
	v_add_u32_e32 v121, 4, v121
	s_or_b64 s[4:5], vcc, s[4:5]
	s_waitcnt vmcnt(0) lgkmcnt(0)
	v_fmac_f32_e32 v122, v124, v125
	s_andn2_b64 exec, exec, s[4:5]
	s_cbranch_execnz .LBB114_183
; %bb.184:
	s_or_b64 exec, exec, s[4:5]
.LBB114_185:
	s_or_b64 exec, exec, s[12:13]
	v_mov_b32_e32 v121, 0
	ds_read_b32 v121, v121 offset:124
	s_waitcnt lgkmcnt(0)
	v_mul_f32_e32 v121, v122, v121
	buffer_store_dword v121, off, s[0:3], 0 offset:124
.LBB114_186:
	s_or_b64 exec, exec, s[8:9]
	buffer_load_dword v121, off, s[0:3], 0 offset:120
	v_cmp_lt_u32_e64 s[4:5], 30, v0
	s_waitcnt vmcnt(0)
	ds_write_b32 v104, v121
	s_waitcnt lgkmcnt(0)
	; wave barrier
	s_waitcnt lgkmcnt(0)
	s_and_saveexec_b64 s[8:9], s[4:5]
	s_cbranch_execz .LBB114_196
; %bb.187:
	s_andn2_b64 vcc, exec, s[10:11]
	s_cbranch_vccnz .LBB114_189
; %bb.188:
	buffer_load_dword v121, v105, s[0:3], 0 offen
	ds_read_b32 v122, v104
	s_waitcnt vmcnt(0) lgkmcnt(0)
	v_mul_f32_e32 v121, v121, v122
	s_cbranch_execz .LBB114_190
	s_branch .LBB114_191
.LBB114_189:
                                        ; implicit-def: $vgpr121
.LBB114_190:
	ds_read_b32 v121, v104
.LBB114_191:
	s_and_saveexec_b64 s[12:13], s[6:7]
	s_cbranch_execz .LBB114_195
; %bb.192:
	v_mov_b32_e32 v122, 0
	v_add_u32_e32 v122, 0x7c, v122
	v_subrev_u32_e32 v123, 31, v0
	s_movk_i32 s14, 0x14c
	s_mov_b64 s[6:7], 0
.LBB114_193:                            ; =>This Inner Loop Header: Depth=1
	buffer_load_dword v124, v122, s[0:3], 0 offen
	v_mov_b32_e32 v125, s14
	ds_read_b32 v125, v125
	v_add_u32_e32 v123, -1, v123
	s_add_i32 s14, s14, 4
	v_cmp_eq_u32_e32 vcc, 0, v123
	v_add_u32_e32 v122, 4, v122
	s_or_b64 s[6:7], vcc, s[6:7]
	s_waitcnt vmcnt(0) lgkmcnt(0)
	v_fmac_f32_e32 v121, v124, v125
	s_andn2_b64 exec, exec, s[6:7]
	s_cbranch_execnz .LBB114_193
; %bb.194:
	s_or_b64 exec, exec, s[6:7]
.LBB114_195:
	s_or_b64 exec, exec, s[12:13]
	v_mov_b32_e32 v122, 0
	ds_read_b32 v122, v122 offset:120
	s_waitcnt lgkmcnt(0)
	v_mul_f32_e32 v121, v121, v122
	buffer_store_dword v121, off, s[0:3], 0 offset:120
.LBB114_196:
	s_or_b64 exec, exec, s[8:9]
	buffer_load_dword v121, off, s[0:3], 0 offset:116
	v_cmp_lt_u32_e64 s[6:7], 29, v0
	s_waitcnt vmcnt(0)
	ds_write_b32 v104, v121
	s_waitcnt lgkmcnt(0)
	; wave barrier
	s_waitcnt lgkmcnt(0)
	s_and_saveexec_b64 s[8:9], s[6:7]
	s_cbranch_execz .LBB114_206
; %bb.197:
	s_andn2_b64 vcc, exec, s[10:11]
	s_cbranch_vccnz .LBB114_199
; %bb.198:
	buffer_load_dword v121, v105, s[0:3], 0 offen
	ds_read_b32 v122, v104
	s_waitcnt vmcnt(0) lgkmcnt(0)
	v_mul_f32_e32 v121, v121, v122
	s_cbranch_execz .LBB114_200
	s_branch .LBB114_201
.LBB114_199:
                                        ; implicit-def: $vgpr121
.LBB114_200:
	ds_read_b32 v121, v104
.LBB114_201:
	s_and_saveexec_b64 s[12:13], s[4:5]
	s_cbranch_execz .LBB114_205
; %bb.202:
	v_subrev_u32_e32 v122, 30, v0
	s_movk_i32 s14, 0x148
	s_mov_b64 s[4:5], 0
.LBB114_203:                            ; =>This Inner Loop Header: Depth=1
	buffer_load_dword v123, v120, s[0:3], 0 offen
	v_mov_b32_e32 v124, s14
	ds_read_b32 v124, v124
	v_add_u32_e32 v122, -1, v122
	s_add_i32 s14, s14, 4
	v_cmp_eq_u32_e32 vcc, 0, v122
	v_add_u32_e32 v120, 4, v120
	s_or_b64 s[4:5], vcc, s[4:5]
	s_waitcnt vmcnt(0) lgkmcnt(0)
	v_fmac_f32_e32 v121, v123, v124
	s_andn2_b64 exec, exec, s[4:5]
	s_cbranch_execnz .LBB114_203
; %bb.204:
	s_or_b64 exec, exec, s[4:5]
.LBB114_205:
	s_or_b64 exec, exec, s[12:13]
	v_mov_b32_e32 v120, 0
	ds_read_b32 v120, v120 offset:116
	s_waitcnt lgkmcnt(0)
	v_mul_f32_e32 v120, v121, v120
	buffer_store_dword v120, off, s[0:3], 0 offset:116
.LBB114_206:
	s_or_b64 exec, exec, s[8:9]
	buffer_load_dword v120, off, s[0:3], 0 offset:112
	v_cmp_lt_u32_e64 s[4:5], 28, v0
	s_waitcnt vmcnt(0)
	ds_write_b32 v104, v120
	s_waitcnt lgkmcnt(0)
	; wave barrier
	s_waitcnt lgkmcnt(0)
	s_and_saveexec_b64 s[8:9], s[4:5]
	s_cbranch_execz .LBB114_216
; %bb.207:
	s_andn2_b64 vcc, exec, s[10:11]
	s_cbranch_vccnz .LBB114_209
; %bb.208:
	buffer_load_dword v120, v105, s[0:3], 0 offen
	ds_read_b32 v121, v104
	s_waitcnt vmcnt(0) lgkmcnt(0)
	v_mul_f32_e32 v120, v120, v121
	s_cbranch_execz .LBB114_210
	s_branch .LBB114_211
.LBB114_209:
                                        ; implicit-def: $vgpr120
.LBB114_210:
	ds_read_b32 v120, v104
.LBB114_211:
	s_and_saveexec_b64 s[12:13], s[6:7]
	s_cbranch_execz .LBB114_215
; %bb.212:
	v_mov_b32_e32 v121, 0
	v_add_u32_e32 v121, 0x74, v121
	v_subrev_u32_e32 v122, 29, v0
	s_movk_i32 s14, 0x144
	s_mov_b64 s[6:7], 0
.LBB114_213:                            ; =>This Inner Loop Header: Depth=1
	buffer_load_dword v123, v121, s[0:3], 0 offen
	v_mov_b32_e32 v124, s14
	ds_read_b32 v124, v124
	v_add_u32_e32 v122, -1, v122
	s_add_i32 s14, s14, 4
	v_cmp_eq_u32_e32 vcc, 0, v122
	v_add_u32_e32 v121, 4, v121
	s_or_b64 s[6:7], vcc, s[6:7]
	s_waitcnt vmcnt(0) lgkmcnt(0)
	v_fmac_f32_e32 v120, v123, v124
	s_andn2_b64 exec, exec, s[6:7]
	s_cbranch_execnz .LBB114_213
; %bb.214:
	s_or_b64 exec, exec, s[6:7]
.LBB114_215:
	s_or_b64 exec, exec, s[12:13]
	v_mov_b32_e32 v121, 0
	ds_read_b32 v121, v121 offset:112
	s_waitcnt lgkmcnt(0)
	v_mul_f32_e32 v120, v120, v121
	buffer_store_dword v120, off, s[0:3], 0 offset:112
.LBB114_216:
	s_or_b64 exec, exec, s[8:9]
	buffer_load_dword v120, off, s[0:3], 0 offset:108
	v_cmp_lt_u32_e64 s[6:7], 27, v0
	s_waitcnt vmcnt(0)
	ds_write_b32 v104, v120
	s_waitcnt lgkmcnt(0)
	; wave barrier
	s_waitcnt lgkmcnt(0)
	s_and_saveexec_b64 s[8:9], s[6:7]
	s_cbranch_execz .LBB114_226
; %bb.217:
	s_andn2_b64 vcc, exec, s[10:11]
	s_cbranch_vccnz .LBB114_219
; %bb.218:
	buffer_load_dword v120, v105, s[0:3], 0 offen
	ds_read_b32 v121, v104
	s_waitcnt vmcnt(0) lgkmcnt(0)
	v_mul_f32_e32 v120, v120, v121
	s_cbranch_execz .LBB114_220
	s_branch .LBB114_221
.LBB114_219:
                                        ; implicit-def: $vgpr120
.LBB114_220:
	ds_read_b32 v120, v104
.LBB114_221:
	s_and_saveexec_b64 s[12:13], s[4:5]
	s_cbranch_execz .LBB114_225
; %bb.222:
	v_subrev_u32_e32 v121, 28, v0
	s_movk_i32 s14, 0x140
	s_mov_b64 s[4:5], 0
.LBB114_223:                            ; =>This Inner Loop Header: Depth=1
	buffer_load_dword v122, v119, s[0:3], 0 offen
	v_mov_b32_e32 v123, s14
	ds_read_b32 v123, v123
	v_add_u32_e32 v121, -1, v121
	s_add_i32 s14, s14, 4
	v_cmp_eq_u32_e32 vcc, 0, v121
	v_add_u32_e32 v119, 4, v119
	s_or_b64 s[4:5], vcc, s[4:5]
	s_waitcnt vmcnt(0) lgkmcnt(0)
	v_fmac_f32_e32 v120, v122, v123
	s_andn2_b64 exec, exec, s[4:5]
	s_cbranch_execnz .LBB114_223
; %bb.224:
	s_or_b64 exec, exec, s[4:5]
.LBB114_225:
	s_or_b64 exec, exec, s[12:13]
	v_mov_b32_e32 v119, 0
	ds_read_b32 v119, v119 offset:108
	s_waitcnt lgkmcnt(0)
	v_mul_f32_e32 v119, v120, v119
	buffer_store_dword v119, off, s[0:3], 0 offset:108
.LBB114_226:
	s_or_b64 exec, exec, s[8:9]
	buffer_load_dword v119, off, s[0:3], 0 offset:104
	v_cmp_lt_u32_e64 s[4:5], 26, v0
	s_waitcnt vmcnt(0)
	ds_write_b32 v104, v119
	s_waitcnt lgkmcnt(0)
	; wave barrier
	s_waitcnt lgkmcnt(0)
	s_and_saveexec_b64 s[8:9], s[4:5]
	s_cbranch_execz .LBB114_236
; %bb.227:
	s_andn2_b64 vcc, exec, s[10:11]
	s_cbranch_vccnz .LBB114_229
; %bb.228:
	buffer_load_dword v119, v105, s[0:3], 0 offen
	ds_read_b32 v120, v104
	s_waitcnt vmcnt(0) lgkmcnt(0)
	v_mul_f32_e32 v119, v119, v120
	s_cbranch_execz .LBB114_230
	s_branch .LBB114_231
.LBB114_229:
                                        ; implicit-def: $vgpr119
.LBB114_230:
	ds_read_b32 v119, v104
.LBB114_231:
	s_and_saveexec_b64 s[12:13], s[6:7]
	s_cbranch_execz .LBB114_235
; %bb.232:
	v_mov_b32_e32 v120, 0
	v_add_u32_e32 v120, 0x6c, v120
	v_subrev_u32_e32 v121, 27, v0
	s_movk_i32 s14, 0x13c
	s_mov_b64 s[6:7], 0
.LBB114_233:                            ; =>This Inner Loop Header: Depth=1
	buffer_load_dword v122, v120, s[0:3], 0 offen
	v_mov_b32_e32 v123, s14
	ds_read_b32 v123, v123
	v_add_u32_e32 v121, -1, v121
	s_add_i32 s14, s14, 4
	v_cmp_eq_u32_e32 vcc, 0, v121
	v_add_u32_e32 v120, 4, v120
	s_or_b64 s[6:7], vcc, s[6:7]
	s_waitcnt vmcnt(0) lgkmcnt(0)
	v_fmac_f32_e32 v119, v122, v123
	s_andn2_b64 exec, exec, s[6:7]
	s_cbranch_execnz .LBB114_233
; %bb.234:
	s_or_b64 exec, exec, s[6:7]
.LBB114_235:
	s_or_b64 exec, exec, s[12:13]
	v_mov_b32_e32 v120, 0
	ds_read_b32 v120, v120 offset:104
	s_waitcnt lgkmcnt(0)
	v_mul_f32_e32 v119, v119, v120
	buffer_store_dword v119, off, s[0:3], 0 offset:104
.LBB114_236:
	s_or_b64 exec, exec, s[8:9]
	buffer_load_dword v119, off, s[0:3], 0 offset:100
	v_cmp_lt_u32_e64 s[6:7], 25, v0
	s_waitcnt vmcnt(0)
	ds_write_b32 v104, v119
	s_waitcnt lgkmcnt(0)
	; wave barrier
	s_waitcnt lgkmcnt(0)
	s_and_saveexec_b64 s[8:9], s[6:7]
	s_cbranch_execz .LBB114_246
; %bb.237:
	s_andn2_b64 vcc, exec, s[10:11]
	s_cbranch_vccnz .LBB114_239
; %bb.238:
	buffer_load_dword v119, v105, s[0:3], 0 offen
	ds_read_b32 v120, v104
	s_waitcnt vmcnt(0) lgkmcnt(0)
	v_mul_f32_e32 v119, v119, v120
	s_cbranch_execz .LBB114_240
	s_branch .LBB114_241
.LBB114_239:
                                        ; implicit-def: $vgpr119
.LBB114_240:
	ds_read_b32 v119, v104
.LBB114_241:
	s_and_saveexec_b64 s[12:13], s[4:5]
	s_cbranch_execz .LBB114_245
; %bb.242:
	v_subrev_u32_e32 v120, 26, v0
	s_movk_i32 s14, 0x138
	s_mov_b64 s[4:5], 0
.LBB114_243:                            ; =>This Inner Loop Header: Depth=1
	buffer_load_dword v121, v118, s[0:3], 0 offen
	v_mov_b32_e32 v122, s14
	ds_read_b32 v122, v122
	v_add_u32_e32 v120, -1, v120
	s_add_i32 s14, s14, 4
	v_cmp_eq_u32_e32 vcc, 0, v120
	v_add_u32_e32 v118, 4, v118
	s_or_b64 s[4:5], vcc, s[4:5]
	s_waitcnt vmcnt(0) lgkmcnt(0)
	v_fmac_f32_e32 v119, v121, v122
	s_andn2_b64 exec, exec, s[4:5]
	s_cbranch_execnz .LBB114_243
; %bb.244:
	s_or_b64 exec, exec, s[4:5]
.LBB114_245:
	s_or_b64 exec, exec, s[12:13]
	v_mov_b32_e32 v118, 0
	ds_read_b32 v118, v118 offset:100
	s_waitcnt lgkmcnt(0)
	v_mul_f32_e32 v118, v119, v118
	buffer_store_dword v118, off, s[0:3], 0 offset:100
.LBB114_246:
	s_or_b64 exec, exec, s[8:9]
	buffer_load_dword v118, off, s[0:3], 0 offset:96
	v_cmp_lt_u32_e64 s[4:5], 24, v0
	s_waitcnt vmcnt(0)
	ds_write_b32 v104, v118
	s_waitcnt lgkmcnt(0)
	; wave barrier
	s_waitcnt lgkmcnt(0)
	s_and_saveexec_b64 s[8:9], s[4:5]
	s_cbranch_execz .LBB114_256
; %bb.247:
	s_andn2_b64 vcc, exec, s[10:11]
	s_cbranch_vccnz .LBB114_249
; %bb.248:
	buffer_load_dword v118, v105, s[0:3], 0 offen
	ds_read_b32 v119, v104
	s_waitcnt vmcnt(0) lgkmcnt(0)
	v_mul_f32_e32 v118, v118, v119
	s_cbranch_execz .LBB114_250
	s_branch .LBB114_251
.LBB114_249:
                                        ; implicit-def: $vgpr118
.LBB114_250:
	ds_read_b32 v118, v104
.LBB114_251:
	s_and_saveexec_b64 s[12:13], s[6:7]
	s_cbranch_execz .LBB114_255
; %bb.252:
	v_mov_b32_e32 v119, 0
	v_add_u32_e32 v119, 0x64, v119
	v_subrev_u32_e32 v120, 25, v0
	s_movk_i32 s14, 0x134
	s_mov_b64 s[6:7], 0
.LBB114_253:                            ; =>This Inner Loop Header: Depth=1
	buffer_load_dword v121, v119, s[0:3], 0 offen
	v_mov_b32_e32 v122, s14
	ds_read_b32 v122, v122
	v_add_u32_e32 v120, -1, v120
	s_add_i32 s14, s14, 4
	v_cmp_eq_u32_e32 vcc, 0, v120
	v_add_u32_e32 v119, 4, v119
	s_or_b64 s[6:7], vcc, s[6:7]
	s_waitcnt vmcnt(0) lgkmcnt(0)
	v_fmac_f32_e32 v118, v121, v122
	s_andn2_b64 exec, exec, s[6:7]
	s_cbranch_execnz .LBB114_253
; %bb.254:
	s_or_b64 exec, exec, s[6:7]
.LBB114_255:
	s_or_b64 exec, exec, s[12:13]
	v_mov_b32_e32 v119, 0
	ds_read_b32 v119, v119 offset:96
	s_waitcnt lgkmcnt(0)
	v_mul_f32_e32 v118, v118, v119
	buffer_store_dword v118, off, s[0:3], 0 offset:96
.LBB114_256:
	s_or_b64 exec, exec, s[8:9]
	buffer_load_dword v118, off, s[0:3], 0 offset:92
	v_cmp_lt_u32_e64 s[6:7], 23, v0
	s_waitcnt vmcnt(0)
	ds_write_b32 v104, v118
	s_waitcnt lgkmcnt(0)
	; wave barrier
	s_waitcnt lgkmcnt(0)
	s_and_saveexec_b64 s[8:9], s[6:7]
	s_cbranch_execz .LBB114_266
; %bb.257:
	s_andn2_b64 vcc, exec, s[10:11]
	s_cbranch_vccnz .LBB114_259
; %bb.258:
	buffer_load_dword v118, v105, s[0:3], 0 offen
	ds_read_b32 v119, v104
	s_waitcnt vmcnt(0) lgkmcnt(0)
	v_mul_f32_e32 v118, v118, v119
	s_cbranch_execz .LBB114_260
	s_branch .LBB114_261
.LBB114_259:
                                        ; implicit-def: $vgpr118
.LBB114_260:
	ds_read_b32 v118, v104
.LBB114_261:
	s_and_saveexec_b64 s[12:13], s[4:5]
	s_cbranch_execz .LBB114_265
; %bb.262:
	v_subrev_u32_e32 v119, 24, v0
	s_movk_i32 s14, 0x130
	s_mov_b64 s[4:5], 0
.LBB114_263:                            ; =>This Inner Loop Header: Depth=1
	buffer_load_dword v120, v117, s[0:3], 0 offen
	v_mov_b32_e32 v121, s14
	ds_read_b32 v121, v121
	v_add_u32_e32 v119, -1, v119
	s_add_i32 s14, s14, 4
	v_cmp_eq_u32_e32 vcc, 0, v119
	v_add_u32_e32 v117, 4, v117
	s_or_b64 s[4:5], vcc, s[4:5]
	s_waitcnt vmcnt(0) lgkmcnt(0)
	v_fmac_f32_e32 v118, v120, v121
	s_andn2_b64 exec, exec, s[4:5]
	s_cbranch_execnz .LBB114_263
; %bb.264:
	s_or_b64 exec, exec, s[4:5]
.LBB114_265:
	s_or_b64 exec, exec, s[12:13]
	v_mov_b32_e32 v117, 0
	ds_read_b32 v117, v117 offset:92
	s_waitcnt lgkmcnt(0)
	v_mul_f32_e32 v117, v118, v117
	buffer_store_dword v117, off, s[0:3], 0 offset:92
.LBB114_266:
	s_or_b64 exec, exec, s[8:9]
	buffer_load_dword v117, off, s[0:3], 0 offset:88
	v_cmp_lt_u32_e64 s[4:5], 22, v0
	s_waitcnt vmcnt(0)
	ds_write_b32 v104, v117
	s_waitcnt lgkmcnt(0)
	; wave barrier
	s_waitcnt lgkmcnt(0)
	s_and_saveexec_b64 s[8:9], s[4:5]
	s_cbranch_execz .LBB114_276
; %bb.267:
	s_andn2_b64 vcc, exec, s[10:11]
	s_cbranch_vccnz .LBB114_269
; %bb.268:
	buffer_load_dword v117, v105, s[0:3], 0 offen
	ds_read_b32 v118, v104
	s_waitcnt vmcnt(0) lgkmcnt(0)
	v_mul_f32_e32 v117, v117, v118
	s_cbranch_execz .LBB114_270
	s_branch .LBB114_271
.LBB114_269:
                                        ; implicit-def: $vgpr117
.LBB114_270:
	ds_read_b32 v117, v104
.LBB114_271:
	s_and_saveexec_b64 s[12:13], s[6:7]
	s_cbranch_execz .LBB114_275
; %bb.272:
	v_mov_b32_e32 v118, 0
	v_add_u32_e32 v118, 0x5c, v118
	v_subrev_u32_e32 v119, 23, v0
	s_movk_i32 s14, 0x12c
	s_mov_b64 s[6:7], 0
.LBB114_273:                            ; =>This Inner Loop Header: Depth=1
	buffer_load_dword v120, v118, s[0:3], 0 offen
	v_mov_b32_e32 v121, s14
	ds_read_b32 v121, v121
	v_add_u32_e32 v119, -1, v119
	s_add_i32 s14, s14, 4
	v_cmp_eq_u32_e32 vcc, 0, v119
	v_add_u32_e32 v118, 4, v118
	s_or_b64 s[6:7], vcc, s[6:7]
	s_waitcnt vmcnt(0) lgkmcnt(0)
	v_fmac_f32_e32 v117, v120, v121
	s_andn2_b64 exec, exec, s[6:7]
	s_cbranch_execnz .LBB114_273
; %bb.274:
	s_or_b64 exec, exec, s[6:7]
.LBB114_275:
	s_or_b64 exec, exec, s[12:13]
	v_mov_b32_e32 v118, 0
	ds_read_b32 v118, v118 offset:88
	s_waitcnt lgkmcnt(0)
	v_mul_f32_e32 v117, v117, v118
	buffer_store_dword v117, off, s[0:3], 0 offset:88
.LBB114_276:
	s_or_b64 exec, exec, s[8:9]
	buffer_load_dword v117, off, s[0:3], 0 offset:84
	v_cmp_lt_u32_e64 s[6:7], 21, v0
	s_waitcnt vmcnt(0)
	ds_write_b32 v104, v117
	s_waitcnt lgkmcnt(0)
	; wave barrier
	s_waitcnt lgkmcnt(0)
	s_and_saveexec_b64 s[8:9], s[6:7]
	s_cbranch_execz .LBB114_286
; %bb.277:
	s_andn2_b64 vcc, exec, s[10:11]
	s_cbranch_vccnz .LBB114_279
; %bb.278:
	buffer_load_dword v117, v105, s[0:3], 0 offen
	ds_read_b32 v118, v104
	s_waitcnt vmcnt(0) lgkmcnt(0)
	v_mul_f32_e32 v117, v117, v118
	s_cbranch_execz .LBB114_280
	s_branch .LBB114_281
.LBB114_279:
                                        ; implicit-def: $vgpr117
.LBB114_280:
	ds_read_b32 v117, v104
.LBB114_281:
	s_and_saveexec_b64 s[12:13], s[4:5]
	s_cbranch_execz .LBB114_285
; %bb.282:
	v_subrev_u32_e32 v118, 22, v0
	s_movk_i32 s14, 0x128
	s_mov_b64 s[4:5], 0
.LBB114_283:                            ; =>This Inner Loop Header: Depth=1
	buffer_load_dword v119, v116, s[0:3], 0 offen
	v_mov_b32_e32 v120, s14
	ds_read_b32 v120, v120
	v_add_u32_e32 v118, -1, v118
	s_add_i32 s14, s14, 4
	v_cmp_eq_u32_e32 vcc, 0, v118
	v_add_u32_e32 v116, 4, v116
	s_or_b64 s[4:5], vcc, s[4:5]
	s_waitcnt vmcnt(0) lgkmcnt(0)
	v_fmac_f32_e32 v117, v119, v120
	s_andn2_b64 exec, exec, s[4:5]
	s_cbranch_execnz .LBB114_283
; %bb.284:
	s_or_b64 exec, exec, s[4:5]
.LBB114_285:
	s_or_b64 exec, exec, s[12:13]
	v_mov_b32_e32 v116, 0
	ds_read_b32 v116, v116 offset:84
	s_waitcnt lgkmcnt(0)
	v_mul_f32_e32 v116, v117, v116
	buffer_store_dword v116, off, s[0:3], 0 offset:84
.LBB114_286:
	s_or_b64 exec, exec, s[8:9]
	buffer_load_dword v116, off, s[0:3], 0 offset:80
	v_cmp_lt_u32_e64 s[4:5], 20, v0
	s_waitcnt vmcnt(0)
	ds_write_b32 v104, v116
	s_waitcnt lgkmcnt(0)
	; wave barrier
	s_waitcnt lgkmcnt(0)
	s_and_saveexec_b64 s[8:9], s[4:5]
	s_cbranch_execz .LBB114_296
; %bb.287:
	s_andn2_b64 vcc, exec, s[10:11]
	s_cbranch_vccnz .LBB114_289
; %bb.288:
	buffer_load_dword v116, v105, s[0:3], 0 offen
	ds_read_b32 v117, v104
	s_waitcnt vmcnt(0) lgkmcnt(0)
	v_mul_f32_e32 v116, v116, v117
	s_cbranch_execz .LBB114_290
	s_branch .LBB114_291
.LBB114_289:
                                        ; implicit-def: $vgpr116
.LBB114_290:
	ds_read_b32 v116, v104
.LBB114_291:
	s_and_saveexec_b64 s[12:13], s[6:7]
	s_cbranch_execz .LBB114_295
; %bb.292:
	v_mov_b32_e32 v117, 0
	v_add_u32_e32 v117, 0x54, v117
	v_subrev_u32_e32 v118, 21, v0
	s_movk_i32 s14, 0x124
	s_mov_b64 s[6:7], 0
.LBB114_293:                            ; =>This Inner Loop Header: Depth=1
	buffer_load_dword v119, v117, s[0:3], 0 offen
	v_mov_b32_e32 v120, s14
	ds_read_b32 v120, v120
	v_add_u32_e32 v118, -1, v118
	s_add_i32 s14, s14, 4
	v_cmp_eq_u32_e32 vcc, 0, v118
	v_add_u32_e32 v117, 4, v117
	s_or_b64 s[6:7], vcc, s[6:7]
	s_waitcnt vmcnt(0) lgkmcnt(0)
	v_fmac_f32_e32 v116, v119, v120
	s_andn2_b64 exec, exec, s[6:7]
	s_cbranch_execnz .LBB114_293
; %bb.294:
	s_or_b64 exec, exec, s[6:7]
.LBB114_295:
	s_or_b64 exec, exec, s[12:13]
	v_mov_b32_e32 v117, 0
	ds_read_b32 v117, v117 offset:80
	s_waitcnt lgkmcnt(0)
	v_mul_f32_e32 v116, v116, v117
	buffer_store_dword v116, off, s[0:3], 0 offset:80
.LBB114_296:
	s_or_b64 exec, exec, s[8:9]
	buffer_load_dword v116, off, s[0:3], 0 offset:76
	v_cmp_lt_u32_e64 s[6:7], 19, v0
	s_waitcnt vmcnt(0)
	ds_write_b32 v104, v116
	s_waitcnt lgkmcnt(0)
	; wave barrier
	s_waitcnt lgkmcnt(0)
	s_and_saveexec_b64 s[8:9], s[6:7]
	s_cbranch_execz .LBB114_306
; %bb.297:
	s_andn2_b64 vcc, exec, s[10:11]
	s_cbranch_vccnz .LBB114_299
; %bb.298:
	buffer_load_dword v116, v105, s[0:3], 0 offen
	ds_read_b32 v117, v104
	s_waitcnt vmcnt(0) lgkmcnt(0)
	v_mul_f32_e32 v116, v116, v117
	s_cbranch_execz .LBB114_300
	s_branch .LBB114_301
.LBB114_299:
                                        ; implicit-def: $vgpr116
.LBB114_300:
	ds_read_b32 v116, v104
.LBB114_301:
	s_and_saveexec_b64 s[12:13], s[4:5]
	s_cbranch_execz .LBB114_305
; %bb.302:
	v_subrev_u32_e32 v117, 20, v0
	s_movk_i32 s14, 0x120
	s_mov_b64 s[4:5], 0
.LBB114_303:                            ; =>This Inner Loop Header: Depth=1
	buffer_load_dword v118, v115, s[0:3], 0 offen
	v_mov_b32_e32 v119, s14
	ds_read_b32 v119, v119
	v_add_u32_e32 v117, -1, v117
	s_add_i32 s14, s14, 4
	v_cmp_eq_u32_e32 vcc, 0, v117
	v_add_u32_e32 v115, 4, v115
	s_or_b64 s[4:5], vcc, s[4:5]
	s_waitcnt vmcnt(0) lgkmcnt(0)
	v_fmac_f32_e32 v116, v118, v119
	s_andn2_b64 exec, exec, s[4:5]
	s_cbranch_execnz .LBB114_303
; %bb.304:
	s_or_b64 exec, exec, s[4:5]
.LBB114_305:
	s_or_b64 exec, exec, s[12:13]
	v_mov_b32_e32 v115, 0
	ds_read_b32 v115, v115 offset:76
	s_waitcnt lgkmcnt(0)
	v_mul_f32_e32 v115, v116, v115
	buffer_store_dword v115, off, s[0:3], 0 offset:76
.LBB114_306:
	s_or_b64 exec, exec, s[8:9]
	buffer_load_dword v115, off, s[0:3], 0 offset:72
	v_cmp_lt_u32_e64 s[4:5], 18, v0
	s_waitcnt vmcnt(0)
	ds_write_b32 v104, v115
	s_waitcnt lgkmcnt(0)
	; wave barrier
	s_waitcnt lgkmcnt(0)
	s_and_saveexec_b64 s[8:9], s[4:5]
	s_cbranch_execz .LBB114_316
; %bb.307:
	s_andn2_b64 vcc, exec, s[10:11]
	s_cbranch_vccnz .LBB114_309
; %bb.308:
	buffer_load_dword v115, v105, s[0:3], 0 offen
	ds_read_b32 v116, v104
	s_waitcnt vmcnt(0) lgkmcnt(0)
	v_mul_f32_e32 v115, v115, v116
	s_cbranch_execz .LBB114_310
	s_branch .LBB114_311
.LBB114_309:
                                        ; implicit-def: $vgpr115
.LBB114_310:
	ds_read_b32 v115, v104
.LBB114_311:
	s_and_saveexec_b64 s[12:13], s[6:7]
	s_cbranch_execz .LBB114_315
; %bb.312:
	v_mov_b32_e32 v116, 0
	v_add_u32_e32 v116, 0x4c, v116
	v_subrev_u32_e32 v117, 19, v0
	s_movk_i32 s14, 0x11c
	s_mov_b64 s[6:7], 0
.LBB114_313:                            ; =>This Inner Loop Header: Depth=1
	buffer_load_dword v118, v116, s[0:3], 0 offen
	v_mov_b32_e32 v119, s14
	ds_read_b32 v119, v119
	v_add_u32_e32 v117, -1, v117
	s_add_i32 s14, s14, 4
	v_cmp_eq_u32_e32 vcc, 0, v117
	v_add_u32_e32 v116, 4, v116
	s_or_b64 s[6:7], vcc, s[6:7]
	s_waitcnt vmcnt(0) lgkmcnt(0)
	v_fmac_f32_e32 v115, v118, v119
	s_andn2_b64 exec, exec, s[6:7]
	s_cbranch_execnz .LBB114_313
; %bb.314:
	s_or_b64 exec, exec, s[6:7]
.LBB114_315:
	s_or_b64 exec, exec, s[12:13]
	v_mov_b32_e32 v116, 0
	ds_read_b32 v116, v116 offset:72
	s_waitcnt lgkmcnt(0)
	v_mul_f32_e32 v115, v115, v116
	buffer_store_dword v115, off, s[0:3], 0 offset:72
.LBB114_316:
	s_or_b64 exec, exec, s[8:9]
	buffer_load_dword v115, off, s[0:3], 0 offset:68
	v_cmp_lt_u32_e64 s[6:7], 17, v0
	s_waitcnt vmcnt(0)
	ds_write_b32 v104, v115
	s_waitcnt lgkmcnt(0)
	; wave barrier
	s_waitcnt lgkmcnt(0)
	s_and_saveexec_b64 s[8:9], s[6:7]
	s_cbranch_execz .LBB114_326
; %bb.317:
	s_andn2_b64 vcc, exec, s[10:11]
	s_cbranch_vccnz .LBB114_319
; %bb.318:
	buffer_load_dword v115, v105, s[0:3], 0 offen
	ds_read_b32 v116, v104
	s_waitcnt vmcnt(0) lgkmcnt(0)
	v_mul_f32_e32 v115, v115, v116
	s_cbranch_execz .LBB114_320
	s_branch .LBB114_321
.LBB114_319:
                                        ; implicit-def: $vgpr115
.LBB114_320:
	ds_read_b32 v115, v104
.LBB114_321:
	s_and_saveexec_b64 s[12:13], s[4:5]
	s_cbranch_execz .LBB114_325
; %bb.322:
	v_subrev_u32_e32 v116, 18, v0
	s_movk_i32 s14, 0x118
	s_mov_b64 s[4:5], 0
.LBB114_323:                            ; =>This Inner Loop Header: Depth=1
	buffer_load_dword v117, v114, s[0:3], 0 offen
	v_mov_b32_e32 v118, s14
	ds_read_b32 v118, v118
	v_add_u32_e32 v116, -1, v116
	s_add_i32 s14, s14, 4
	v_cmp_eq_u32_e32 vcc, 0, v116
	v_add_u32_e32 v114, 4, v114
	s_or_b64 s[4:5], vcc, s[4:5]
	s_waitcnt vmcnt(0) lgkmcnt(0)
	v_fmac_f32_e32 v115, v117, v118
	s_andn2_b64 exec, exec, s[4:5]
	s_cbranch_execnz .LBB114_323
; %bb.324:
	s_or_b64 exec, exec, s[4:5]
.LBB114_325:
	s_or_b64 exec, exec, s[12:13]
	v_mov_b32_e32 v114, 0
	ds_read_b32 v114, v114 offset:68
	s_waitcnt lgkmcnt(0)
	v_mul_f32_e32 v114, v115, v114
	buffer_store_dword v114, off, s[0:3], 0 offset:68
.LBB114_326:
	s_or_b64 exec, exec, s[8:9]
	buffer_load_dword v114, off, s[0:3], 0 offset:64
	v_cmp_lt_u32_e64 s[4:5], 16, v0
	s_waitcnt vmcnt(0)
	ds_write_b32 v104, v114
	s_waitcnt lgkmcnt(0)
	; wave barrier
	s_waitcnt lgkmcnt(0)
	s_and_saveexec_b64 s[8:9], s[4:5]
	s_cbranch_execz .LBB114_336
; %bb.327:
	s_andn2_b64 vcc, exec, s[10:11]
	s_cbranch_vccnz .LBB114_329
; %bb.328:
	buffer_load_dword v114, v105, s[0:3], 0 offen
	ds_read_b32 v115, v104
	s_waitcnt vmcnt(0) lgkmcnt(0)
	v_mul_f32_e32 v114, v114, v115
	s_cbranch_execz .LBB114_330
	s_branch .LBB114_331
.LBB114_329:
                                        ; implicit-def: $vgpr114
.LBB114_330:
	ds_read_b32 v114, v104
.LBB114_331:
	s_and_saveexec_b64 s[12:13], s[6:7]
	s_cbranch_execz .LBB114_335
; %bb.332:
	v_mov_b32_e32 v115, 0
	v_add_u32_e32 v115, 0x44, v115
	v_subrev_u32_e32 v116, 17, v0
	s_movk_i32 s14, 0x114
	s_mov_b64 s[6:7], 0
.LBB114_333:                            ; =>This Inner Loop Header: Depth=1
	buffer_load_dword v117, v115, s[0:3], 0 offen
	v_mov_b32_e32 v118, s14
	ds_read_b32 v118, v118
	v_add_u32_e32 v116, -1, v116
	s_add_i32 s14, s14, 4
	v_cmp_eq_u32_e32 vcc, 0, v116
	v_add_u32_e32 v115, 4, v115
	s_or_b64 s[6:7], vcc, s[6:7]
	s_waitcnt vmcnt(0) lgkmcnt(0)
	v_fmac_f32_e32 v114, v117, v118
	s_andn2_b64 exec, exec, s[6:7]
	s_cbranch_execnz .LBB114_333
; %bb.334:
	s_or_b64 exec, exec, s[6:7]
.LBB114_335:
	s_or_b64 exec, exec, s[12:13]
	v_mov_b32_e32 v115, 0
	ds_read_b32 v115, v115 offset:64
	s_waitcnt lgkmcnt(0)
	v_mul_f32_e32 v114, v114, v115
	buffer_store_dword v114, off, s[0:3], 0 offset:64
.LBB114_336:
	s_or_b64 exec, exec, s[8:9]
	buffer_load_dword v114, off, s[0:3], 0 offset:60
	v_cmp_lt_u32_e64 s[6:7], 15, v0
	s_waitcnt vmcnt(0)
	ds_write_b32 v104, v114
	s_waitcnt lgkmcnt(0)
	; wave barrier
	s_waitcnt lgkmcnt(0)
	s_and_saveexec_b64 s[8:9], s[6:7]
	s_cbranch_execz .LBB114_346
; %bb.337:
	s_andn2_b64 vcc, exec, s[10:11]
	s_cbranch_vccnz .LBB114_339
; %bb.338:
	buffer_load_dword v114, v105, s[0:3], 0 offen
	ds_read_b32 v115, v104
	s_waitcnt vmcnt(0) lgkmcnt(0)
	v_mul_f32_e32 v114, v114, v115
	s_cbranch_execz .LBB114_340
	s_branch .LBB114_341
.LBB114_339:
                                        ; implicit-def: $vgpr114
.LBB114_340:
	ds_read_b32 v114, v104
.LBB114_341:
	s_and_saveexec_b64 s[12:13], s[4:5]
	s_cbranch_execz .LBB114_345
; %bb.342:
	v_add_u32_e32 v115, -16, v0
	s_movk_i32 s14, 0x110
	s_mov_b64 s[4:5], 0
.LBB114_343:                            ; =>This Inner Loop Header: Depth=1
	buffer_load_dword v116, v113, s[0:3], 0 offen
	v_mov_b32_e32 v117, s14
	ds_read_b32 v117, v117
	v_add_u32_e32 v115, -1, v115
	s_add_i32 s14, s14, 4
	v_cmp_eq_u32_e32 vcc, 0, v115
	v_add_u32_e32 v113, 4, v113
	s_or_b64 s[4:5], vcc, s[4:5]
	s_waitcnt vmcnt(0) lgkmcnt(0)
	v_fmac_f32_e32 v114, v116, v117
	s_andn2_b64 exec, exec, s[4:5]
	s_cbranch_execnz .LBB114_343
; %bb.344:
	s_or_b64 exec, exec, s[4:5]
.LBB114_345:
	s_or_b64 exec, exec, s[12:13]
	v_mov_b32_e32 v113, 0
	ds_read_b32 v113, v113 offset:60
	s_waitcnt lgkmcnt(0)
	v_mul_f32_e32 v113, v114, v113
	buffer_store_dword v113, off, s[0:3], 0 offset:60
.LBB114_346:
	s_or_b64 exec, exec, s[8:9]
	buffer_load_dword v113, off, s[0:3], 0 offset:56
	v_cmp_lt_u32_e64 s[4:5], 14, v0
	s_waitcnt vmcnt(0)
	ds_write_b32 v104, v113
	s_waitcnt lgkmcnt(0)
	; wave barrier
	s_waitcnt lgkmcnt(0)
	s_and_saveexec_b64 s[8:9], s[4:5]
	s_cbranch_execz .LBB114_356
; %bb.347:
	s_andn2_b64 vcc, exec, s[10:11]
	s_cbranch_vccnz .LBB114_349
; %bb.348:
	buffer_load_dword v113, v105, s[0:3], 0 offen
	ds_read_b32 v114, v104
	s_waitcnt vmcnt(0) lgkmcnt(0)
	v_mul_f32_e32 v113, v113, v114
	s_cbranch_execz .LBB114_350
	s_branch .LBB114_351
.LBB114_349:
                                        ; implicit-def: $vgpr113
.LBB114_350:
	ds_read_b32 v113, v104
.LBB114_351:
	s_and_saveexec_b64 s[12:13], s[6:7]
	s_cbranch_execz .LBB114_355
; %bb.352:
	v_mov_b32_e32 v114, 0
	v_add_u32_e32 v114, 60, v114
	v_add_u32_e32 v115, -15, v0
	s_movk_i32 s14, 0x10c
	s_mov_b64 s[6:7], 0
.LBB114_353:                            ; =>This Inner Loop Header: Depth=1
	buffer_load_dword v116, v114, s[0:3], 0 offen
	v_mov_b32_e32 v117, s14
	ds_read_b32 v117, v117
	v_add_u32_e32 v115, -1, v115
	s_add_i32 s14, s14, 4
	v_cmp_eq_u32_e32 vcc, 0, v115
	v_add_u32_e32 v114, 4, v114
	s_or_b64 s[6:7], vcc, s[6:7]
	s_waitcnt vmcnt(0) lgkmcnt(0)
	v_fmac_f32_e32 v113, v116, v117
	s_andn2_b64 exec, exec, s[6:7]
	s_cbranch_execnz .LBB114_353
; %bb.354:
	s_or_b64 exec, exec, s[6:7]
.LBB114_355:
	s_or_b64 exec, exec, s[12:13]
	v_mov_b32_e32 v114, 0
	ds_read_b32 v114, v114 offset:56
	s_waitcnt lgkmcnt(0)
	v_mul_f32_e32 v113, v113, v114
	buffer_store_dword v113, off, s[0:3], 0 offset:56
.LBB114_356:
	s_or_b64 exec, exec, s[8:9]
	buffer_load_dword v113, off, s[0:3], 0 offset:52
	v_cmp_lt_u32_e64 s[6:7], 13, v0
	s_waitcnt vmcnt(0)
	ds_write_b32 v104, v113
	s_waitcnt lgkmcnt(0)
	; wave barrier
	s_waitcnt lgkmcnt(0)
	s_and_saveexec_b64 s[8:9], s[6:7]
	s_cbranch_execz .LBB114_366
; %bb.357:
	s_andn2_b64 vcc, exec, s[10:11]
	s_cbranch_vccnz .LBB114_359
; %bb.358:
	buffer_load_dword v113, v105, s[0:3], 0 offen
	ds_read_b32 v114, v104
	s_waitcnt vmcnt(0) lgkmcnt(0)
	v_mul_f32_e32 v113, v113, v114
	s_cbranch_execz .LBB114_360
	s_branch .LBB114_361
.LBB114_359:
                                        ; implicit-def: $vgpr113
.LBB114_360:
	ds_read_b32 v113, v104
.LBB114_361:
	s_and_saveexec_b64 s[12:13], s[4:5]
	s_cbranch_execz .LBB114_365
; %bb.362:
	v_add_u32_e32 v114, -14, v0
	s_movk_i32 s14, 0x108
	s_mov_b64 s[4:5], 0
.LBB114_363:                            ; =>This Inner Loop Header: Depth=1
	buffer_load_dword v115, v112, s[0:3], 0 offen
	v_mov_b32_e32 v116, s14
	ds_read_b32 v116, v116
	v_add_u32_e32 v114, -1, v114
	s_add_i32 s14, s14, 4
	v_cmp_eq_u32_e32 vcc, 0, v114
	v_add_u32_e32 v112, 4, v112
	s_or_b64 s[4:5], vcc, s[4:5]
	s_waitcnt vmcnt(0) lgkmcnt(0)
	v_fmac_f32_e32 v113, v115, v116
	s_andn2_b64 exec, exec, s[4:5]
	s_cbranch_execnz .LBB114_363
; %bb.364:
	s_or_b64 exec, exec, s[4:5]
.LBB114_365:
	s_or_b64 exec, exec, s[12:13]
	v_mov_b32_e32 v112, 0
	ds_read_b32 v112, v112 offset:52
	s_waitcnt lgkmcnt(0)
	v_mul_f32_e32 v112, v113, v112
	buffer_store_dword v112, off, s[0:3], 0 offset:52
.LBB114_366:
	s_or_b64 exec, exec, s[8:9]
	buffer_load_dword v112, off, s[0:3], 0 offset:48
	v_cmp_lt_u32_e64 s[4:5], 12, v0
	s_waitcnt vmcnt(0)
	ds_write_b32 v104, v112
	s_waitcnt lgkmcnt(0)
	; wave barrier
	s_waitcnt lgkmcnt(0)
	s_and_saveexec_b64 s[8:9], s[4:5]
	s_cbranch_execz .LBB114_376
; %bb.367:
	s_andn2_b64 vcc, exec, s[10:11]
	s_cbranch_vccnz .LBB114_369
; %bb.368:
	buffer_load_dword v112, v105, s[0:3], 0 offen
	ds_read_b32 v113, v104
	s_waitcnt vmcnt(0) lgkmcnt(0)
	v_mul_f32_e32 v112, v112, v113
	s_cbranch_execz .LBB114_370
	s_branch .LBB114_371
.LBB114_369:
                                        ; implicit-def: $vgpr112
.LBB114_370:
	ds_read_b32 v112, v104
.LBB114_371:
	s_and_saveexec_b64 s[12:13], s[6:7]
	s_cbranch_execz .LBB114_375
; %bb.372:
	v_mov_b32_e32 v113, 0
	v_add_u32_e32 v113, 52, v113
	v_add_u32_e32 v114, -13, v0
	s_movk_i32 s14, 0x104
	s_mov_b64 s[6:7], 0
.LBB114_373:                            ; =>This Inner Loop Header: Depth=1
	buffer_load_dword v115, v113, s[0:3], 0 offen
	v_mov_b32_e32 v116, s14
	ds_read_b32 v116, v116
	v_add_u32_e32 v114, -1, v114
	s_add_i32 s14, s14, 4
	v_cmp_eq_u32_e32 vcc, 0, v114
	v_add_u32_e32 v113, 4, v113
	s_or_b64 s[6:7], vcc, s[6:7]
	s_waitcnt vmcnt(0) lgkmcnt(0)
	v_fmac_f32_e32 v112, v115, v116
	s_andn2_b64 exec, exec, s[6:7]
	s_cbranch_execnz .LBB114_373
; %bb.374:
	s_or_b64 exec, exec, s[6:7]
.LBB114_375:
	s_or_b64 exec, exec, s[12:13]
	v_mov_b32_e32 v113, 0
	ds_read_b32 v113, v113 offset:48
	s_waitcnt lgkmcnt(0)
	v_mul_f32_e32 v112, v112, v113
	buffer_store_dword v112, off, s[0:3], 0 offset:48
.LBB114_376:
	s_or_b64 exec, exec, s[8:9]
	buffer_load_dword v112, off, s[0:3], 0 offset:44
	v_cmp_lt_u32_e64 s[6:7], 11, v0
	s_waitcnt vmcnt(0)
	ds_write_b32 v104, v112
	s_waitcnt lgkmcnt(0)
	; wave barrier
	s_waitcnt lgkmcnt(0)
	s_and_saveexec_b64 s[8:9], s[6:7]
	s_cbranch_execz .LBB114_386
; %bb.377:
	s_andn2_b64 vcc, exec, s[10:11]
	s_cbranch_vccnz .LBB114_379
; %bb.378:
	buffer_load_dword v112, v105, s[0:3], 0 offen
	ds_read_b32 v113, v104
	s_waitcnt vmcnt(0) lgkmcnt(0)
	v_mul_f32_e32 v112, v112, v113
	s_cbranch_execz .LBB114_380
	s_branch .LBB114_381
.LBB114_379:
                                        ; implicit-def: $vgpr112
.LBB114_380:
	ds_read_b32 v112, v104
.LBB114_381:
	s_and_saveexec_b64 s[12:13], s[4:5]
	s_cbranch_execz .LBB114_385
; %bb.382:
	v_add_u32_e32 v113, -12, v0
	s_movk_i32 s14, 0x100
	s_mov_b64 s[4:5], 0
.LBB114_383:                            ; =>This Inner Loop Header: Depth=1
	buffer_load_dword v114, v111, s[0:3], 0 offen
	v_mov_b32_e32 v115, s14
	ds_read_b32 v115, v115
	v_add_u32_e32 v113, -1, v113
	s_add_i32 s14, s14, 4
	v_cmp_eq_u32_e32 vcc, 0, v113
	v_add_u32_e32 v111, 4, v111
	s_or_b64 s[4:5], vcc, s[4:5]
	s_waitcnt vmcnt(0) lgkmcnt(0)
	v_fmac_f32_e32 v112, v114, v115
	s_andn2_b64 exec, exec, s[4:5]
	s_cbranch_execnz .LBB114_383
; %bb.384:
	s_or_b64 exec, exec, s[4:5]
.LBB114_385:
	s_or_b64 exec, exec, s[12:13]
	v_mov_b32_e32 v111, 0
	ds_read_b32 v111, v111 offset:44
	s_waitcnt lgkmcnt(0)
	v_mul_f32_e32 v111, v112, v111
	buffer_store_dword v111, off, s[0:3], 0 offset:44
.LBB114_386:
	s_or_b64 exec, exec, s[8:9]
	buffer_load_dword v111, off, s[0:3], 0 offset:40
	v_cmp_lt_u32_e64 s[4:5], 10, v0
	s_waitcnt vmcnt(0)
	ds_write_b32 v104, v111
	s_waitcnt lgkmcnt(0)
	; wave barrier
	s_waitcnt lgkmcnt(0)
	s_and_saveexec_b64 s[8:9], s[4:5]
	s_cbranch_execz .LBB114_396
; %bb.387:
	s_andn2_b64 vcc, exec, s[10:11]
	s_cbranch_vccnz .LBB114_389
; %bb.388:
	buffer_load_dword v111, v105, s[0:3], 0 offen
	ds_read_b32 v112, v104
	s_waitcnt vmcnt(0) lgkmcnt(0)
	v_mul_f32_e32 v111, v111, v112
	s_cbranch_execz .LBB114_390
	s_branch .LBB114_391
.LBB114_389:
                                        ; implicit-def: $vgpr111
.LBB114_390:
	ds_read_b32 v111, v104
.LBB114_391:
	s_and_saveexec_b64 s[12:13], s[6:7]
	s_cbranch_execz .LBB114_395
; %bb.392:
	v_mov_b32_e32 v112, 0
	v_add_u32_e32 v112, 44, v112
	v_add_u32_e32 v113, -11, v0
	s_movk_i32 s14, 0xfc
	s_mov_b64 s[6:7], 0
.LBB114_393:                            ; =>This Inner Loop Header: Depth=1
	buffer_load_dword v114, v112, s[0:3], 0 offen
	v_mov_b32_e32 v115, s14
	ds_read_b32 v115, v115
	v_add_u32_e32 v113, -1, v113
	s_add_i32 s14, s14, 4
	v_cmp_eq_u32_e32 vcc, 0, v113
	v_add_u32_e32 v112, 4, v112
	s_or_b64 s[6:7], vcc, s[6:7]
	s_waitcnt vmcnt(0) lgkmcnt(0)
	v_fmac_f32_e32 v111, v114, v115
	s_andn2_b64 exec, exec, s[6:7]
	s_cbranch_execnz .LBB114_393
; %bb.394:
	s_or_b64 exec, exec, s[6:7]
.LBB114_395:
	s_or_b64 exec, exec, s[12:13]
	v_mov_b32_e32 v112, 0
	ds_read_b32 v112, v112 offset:40
	s_waitcnt lgkmcnt(0)
	v_mul_f32_e32 v111, v111, v112
	buffer_store_dword v111, off, s[0:3], 0 offset:40
.LBB114_396:
	s_or_b64 exec, exec, s[8:9]
	buffer_load_dword v111, off, s[0:3], 0 offset:36
	v_cmp_lt_u32_e64 s[6:7], 9, v0
	s_waitcnt vmcnt(0)
	ds_write_b32 v104, v111
	s_waitcnt lgkmcnt(0)
	; wave barrier
	s_waitcnt lgkmcnt(0)
	s_and_saveexec_b64 s[8:9], s[6:7]
	s_cbranch_execz .LBB114_406
; %bb.397:
	s_andn2_b64 vcc, exec, s[10:11]
	s_cbranch_vccnz .LBB114_399
; %bb.398:
	buffer_load_dword v111, v105, s[0:3], 0 offen
	ds_read_b32 v112, v104
	s_waitcnt vmcnt(0) lgkmcnt(0)
	v_mul_f32_e32 v111, v111, v112
	s_cbranch_execz .LBB114_400
	s_branch .LBB114_401
.LBB114_399:
                                        ; implicit-def: $vgpr111
.LBB114_400:
	ds_read_b32 v111, v104
.LBB114_401:
	s_and_saveexec_b64 s[12:13], s[4:5]
	s_cbranch_execz .LBB114_405
; %bb.402:
	v_add_u32_e32 v112, -10, v0
	s_movk_i32 s14, 0xf8
	s_mov_b64 s[4:5], 0
.LBB114_403:                            ; =>This Inner Loop Header: Depth=1
	buffer_load_dword v113, v110, s[0:3], 0 offen
	v_mov_b32_e32 v114, s14
	ds_read_b32 v114, v114
	v_add_u32_e32 v112, -1, v112
	s_add_i32 s14, s14, 4
	v_cmp_eq_u32_e32 vcc, 0, v112
	v_add_u32_e32 v110, 4, v110
	s_or_b64 s[4:5], vcc, s[4:5]
	s_waitcnt vmcnt(0) lgkmcnt(0)
	v_fmac_f32_e32 v111, v113, v114
	s_andn2_b64 exec, exec, s[4:5]
	s_cbranch_execnz .LBB114_403
; %bb.404:
	s_or_b64 exec, exec, s[4:5]
.LBB114_405:
	s_or_b64 exec, exec, s[12:13]
	v_mov_b32_e32 v110, 0
	ds_read_b32 v110, v110 offset:36
	s_waitcnt lgkmcnt(0)
	v_mul_f32_e32 v110, v111, v110
	buffer_store_dword v110, off, s[0:3], 0 offset:36
.LBB114_406:
	s_or_b64 exec, exec, s[8:9]
	buffer_load_dword v110, off, s[0:3], 0 offset:32
	v_cmp_lt_u32_e64 s[4:5], 8, v0
	s_waitcnt vmcnt(0)
	ds_write_b32 v104, v110
	s_waitcnt lgkmcnt(0)
	; wave barrier
	s_waitcnt lgkmcnt(0)
	s_and_saveexec_b64 s[8:9], s[4:5]
	s_cbranch_execz .LBB114_416
; %bb.407:
	s_andn2_b64 vcc, exec, s[10:11]
	s_cbranch_vccnz .LBB114_409
; %bb.408:
	buffer_load_dword v110, v105, s[0:3], 0 offen
	ds_read_b32 v111, v104
	s_waitcnt vmcnt(0) lgkmcnt(0)
	v_mul_f32_e32 v110, v110, v111
	s_cbranch_execz .LBB114_410
	s_branch .LBB114_411
.LBB114_409:
                                        ; implicit-def: $vgpr110
.LBB114_410:
	ds_read_b32 v110, v104
.LBB114_411:
	s_and_saveexec_b64 s[12:13], s[6:7]
	s_cbranch_execz .LBB114_415
; %bb.412:
	v_mov_b32_e32 v111, 0
	v_add_u32_e32 v111, 36, v111
	v_add_u32_e32 v112, -9, v0
	s_movk_i32 s14, 0xf4
	s_mov_b64 s[6:7], 0
.LBB114_413:                            ; =>This Inner Loop Header: Depth=1
	buffer_load_dword v113, v111, s[0:3], 0 offen
	v_mov_b32_e32 v114, s14
	ds_read_b32 v114, v114
	v_add_u32_e32 v112, -1, v112
	s_add_i32 s14, s14, 4
	v_cmp_eq_u32_e32 vcc, 0, v112
	v_add_u32_e32 v111, 4, v111
	s_or_b64 s[6:7], vcc, s[6:7]
	s_waitcnt vmcnt(0) lgkmcnt(0)
	v_fmac_f32_e32 v110, v113, v114
	s_andn2_b64 exec, exec, s[6:7]
	s_cbranch_execnz .LBB114_413
; %bb.414:
	s_or_b64 exec, exec, s[6:7]
.LBB114_415:
	s_or_b64 exec, exec, s[12:13]
	v_mov_b32_e32 v111, 0
	ds_read_b32 v111, v111 offset:32
	s_waitcnt lgkmcnt(0)
	v_mul_f32_e32 v110, v110, v111
	buffer_store_dword v110, off, s[0:3], 0 offset:32
.LBB114_416:
	s_or_b64 exec, exec, s[8:9]
	buffer_load_dword v110, off, s[0:3], 0 offset:28
	v_cmp_lt_u32_e64 s[6:7], 7, v0
	s_waitcnt vmcnt(0)
	ds_write_b32 v104, v110
	s_waitcnt lgkmcnt(0)
	; wave barrier
	s_waitcnt lgkmcnt(0)
	s_and_saveexec_b64 s[8:9], s[6:7]
	s_cbranch_execz .LBB114_426
; %bb.417:
	s_andn2_b64 vcc, exec, s[10:11]
	s_cbranch_vccnz .LBB114_419
; %bb.418:
	buffer_load_dword v110, v105, s[0:3], 0 offen
	ds_read_b32 v111, v104
	s_waitcnt vmcnt(0) lgkmcnt(0)
	v_mul_f32_e32 v110, v110, v111
	s_cbranch_execz .LBB114_420
	s_branch .LBB114_421
.LBB114_419:
                                        ; implicit-def: $vgpr110
.LBB114_420:
	ds_read_b32 v110, v104
.LBB114_421:
	s_and_saveexec_b64 s[12:13], s[4:5]
	s_cbranch_execz .LBB114_425
; %bb.422:
	v_add_u32_e32 v111, -8, v0
	s_movk_i32 s14, 0xf0
	s_mov_b64 s[4:5], 0
.LBB114_423:                            ; =>This Inner Loop Header: Depth=1
	buffer_load_dword v112, v109, s[0:3], 0 offen
	v_mov_b32_e32 v113, s14
	ds_read_b32 v113, v113
	v_add_u32_e32 v111, -1, v111
	s_add_i32 s14, s14, 4
	v_cmp_eq_u32_e32 vcc, 0, v111
	v_add_u32_e32 v109, 4, v109
	s_or_b64 s[4:5], vcc, s[4:5]
	s_waitcnt vmcnt(0) lgkmcnt(0)
	v_fmac_f32_e32 v110, v112, v113
	s_andn2_b64 exec, exec, s[4:5]
	s_cbranch_execnz .LBB114_423
; %bb.424:
	s_or_b64 exec, exec, s[4:5]
.LBB114_425:
	s_or_b64 exec, exec, s[12:13]
	v_mov_b32_e32 v109, 0
	ds_read_b32 v109, v109 offset:28
	s_waitcnt lgkmcnt(0)
	v_mul_f32_e32 v109, v110, v109
	buffer_store_dword v109, off, s[0:3], 0 offset:28
.LBB114_426:
	s_or_b64 exec, exec, s[8:9]
	buffer_load_dword v109, off, s[0:3], 0 offset:24
	v_cmp_lt_u32_e64 s[4:5], 6, v0
	s_waitcnt vmcnt(0)
	ds_write_b32 v104, v109
	s_waitcnt lgkmcnt(0)
	; wave barrier
	s_waitcnt lgkmcnt(0)
	s_and_saveexec_b64 s[8:9], s[4:5]
	s_cbranch_execz .LBB114_436
; %bb.427:
	s_andn2_b64 vcc, exec, s[10:11]
	s_cbranch_vccnz .LBB114_429
; %bb.428:
	buffer_load_dword v109, v105, s[0:3], 0 offen
	ds_read_b32 v110, v104
	s_waitcnt vmcnt(0) lgkmcnt(0)
	v_mul_f32_e32 v109, v109, v110
	s_cbranch_execz .LBB114_430
	s_branch .LBB114_431
.LBB114_429:
                                        ; implicit-def: $vgpr109
.LBB114_430:
	ds_read_b32 v109, v104
.LBB114_431:
	s_and_saveexec_b64 s[12:13], s[6:7]
	s_cbranch_execz .LBB114_435
; %bb.432:
	v_mov_b32_e32 v110, 0
	v_add_u32_e32 v110, 28, v110
	v_add_u32_e32 v111, -7, v0
	s_movk_i32 s14, 0xec
	s_mov_b64 s[6:7], 0
.LBB114_433:                            ; =>This Inner Loop Header: Depth=1
	buffer_load_dword v112, v110, s[0:3], 0 offen
	v_mov_b32_e32 v113, s14
	ds_read_b32 v113, v113
	v_add_u32_e32 v111, -1, v111
	s_add_i32 s14, s14, 4
	v_cmp_eq_u32_e32 vcc, 0, v111
	v_add_u32_e32 v110, 4, v110
	s_or_b64 s[6:7], vcc, s[6:7]
	s_waitcnt vmcnt(0) lgkmcnt(0)
	v_fmac_f32_e32 v109, v112, v113
	s_andn2_b64 exec, exec, s[6:7]
	s_cbranch_execnz .LBB114_433
; %bb.434:
	s_or_b64 exec, exec, s[6:7]
.LBB114_435:
	s_or_b64 exec, exec, s[12:13]
	v_mov_b32_e32 v110, 0
	ds_read_b32 v110, v110 offset:24
	s_waitcnt lgkmcnt(0)
	v_mul_f32_e32 v109, v109, v110
	buffer_store_dword v109, off, s[0:3], 0 offset:24
.LBB114_436:
	s_or_b64 exec, exec, s[8:9]
	buffer_load_dword v109, off, s[0:3], 0 offset:20
	v_cmp_lt_u32_e64 s[6:7], 5, v0
	s_waitcnt vmcnt(0)
	ds_write_b32 v104, v109
	s_waitcnt lgkmcnt(0)
	; wave barrier
	s_waitcnt lgkmcnt(0)
	s_and_saveexec_b64 s[8:9], s[6:7]
	s_cbranch_execz .LBB114_446
; %bb.437:
	s_andn2_b64 vcc, exec, s[10:11]
	s_cbranch_vccnz .LBB114_439
; %bb.438:
	buffer_load_dword v109, v105, s[0:3], 0 offen
	ds_read_b32 v110, v104
	s_waitcnt vmcnt(0) lgkmcnt(0)
	v_mul_f32_e32 v109, v109, v110
	s_cbranch_execz .LBB114_440
	s_branch .LBB114_441
.LBB114_439:
                                        ; implicit-def: $vgpr109
.LBB114_440:
	ds_read_b32 v109, v104
.LBB114_441:
	s_and_saveexec_b64 s[12:13], s[4:5]
	s_cbranch_execz .LBB114_445
; %bb.442:
	v_add_u32_e32 v110, -6, v0
	s_movk_i32 s14, 0xe8
	s_mov_b64 s[4:5], 0
.LBB114_443:                            ; =>This Inner Loop Header: Depth=1
	buffer_load_dword v111, v108, s[0:3], 0 offen
	v_mov_b32_e32 v112, s14
	ds_read_b32 v112, v112
	v_add_u32_e32 v110, -1, v110
	s_add_i32 s14, s14, 4
	v_cmp_eq_u32_e32 vcc, 0, v110
	v_add_u32_e32 v108, 4, v108
	s_or_b64 s[4:5], vcc, s[4:5]
	s_waitcnt vmcnt(0) lgkmcnt(0)
	v_fmac_f32_e32 v109, v111, v112
	s_andn2_b64 exec, exec, s[4:5]
	s_cbranch_execnz .LBB114_443
; %bb.444:
	s_or_b64 exec, exec, s[4:5]
.LBB114_445:
	s_or_b64 exec, exec, s[12:13]
	v_mov_b32_e32 v108, 0
	ds_read_b32 v108, v108 offset:20
	s_waitcnt lgkmcnt(0)
	v_mul_f32_e32 v108, v109, v108
	buffer_store_dword v108, off, s[0:3], 0 offset:20
.LBB114_446:
	s_or_b64 exec, exec, s[8:9]
	buffer_load_dword v108, off, s[0:3], 0 offset:16
	v_cmp_lt_u32_e64 s[4:5], 4, v0
	s_waitcnt vmcnt(0)
	ds_write_b32 v104, v108
	s_waitcnt lgkmcnt(0)
	; wave barrier
	s_waitcnt lgkmcnt(0)
	s_and_saveexec_b64 s[8:9], s[4:5]
	s_cbranch_execz .LBB114_456
; %bb.447:
	s_andn2_b64 vcc, exec, s[10:11]
	s_cbranch_vccnz .LBB114_449
; %bb.448:
	buffer_load_dword v108, v105, s[0:3], 0 offen
	ds_read_b32 v109, v104
	s_waitcnt vmcnt(0) lgkmcnt(0)
	v_mul_f32_e32 v108, v108, v109
	s_cbranch_execz .LBB114_450
	s_branch .LBB114_451
.LBB114_449:
                                        ; implicit-def: $vgpr108
.LBB114_450:
	ds_read_b32 v108, v104
.LBB114_451:
	s_and_saveexec_b64 s[12:13], s[6:7]
	s_cbranch_execz .LBB114_455
; %bb.452:
	v_mov_b32_e32 v109, 0
	v_add_u32_e32 v109, 20, v109
	v_add_u32_e32 v110, -5, v0
	s_movk_i32 s14, 0xe4
	s_mov_b64 s[6:7], 0
.LBB114_453:                            ; =>This Inner Loop Header: Depth=1
	buffer_load_dword v111, v109, s[0:3], 0 offen
	v_mov_b32_e32 v112, s14
	ds_read_b32 v112, v112
	v_add_u32_e32 v110, -1, v110
	s_add_i32 s14, s14, 4
	v_cmp_eq_u32_e32 vcc, 0, v110
	v_add_u32_e32 v109, 4, v109
	s_or_b64 s[6:7], vcc, s[6:7]
	s_waitcnt vmcnt(0) lgkmcnt(0)
	v_fmac_f32_e32 v108, v111, v112
	s_andn2_b64 exec, exec, s[6:7]
	s_cbranch_execnz .LBB114_453
; %bb.454:
	s_or_b64 exec, exec, s[6:7]
.LBB114_455:
	s_or_b64 exec, exec, s[12:13]
	v_mov_b32_e32 v109, 0
	ds_read_b32 v109, v109 offset:16
	s_waitcnt lgkmcnt(0)
	v_mul_f32_e32 v108, v108, v109
	buffer_store_dword v108, off, s[0:3], 0 offset:16
.LBB114_456:
	s_or_b64 exec, exec, s[8:9]
	buffer_load_dword v108, off, s[0:3], 0 offset:12
	v_cmp_lt_u32_e64 s[6:7], 3, v0
	s_waitcnt vmcnt(0)
	ds_write_b32 v104, v108
	s_waitcnt lgkmcnt(0)
	; wave barrier
	s_waitcnt lgkmcnt(0)
	s_and_saveexec_b64 s[8:9], s[6:7]
	s_cbranch_execz .LBB114_466
; %bb.457:
	s_andn2_b64 vcc, exec, s[10:11]
	s_cbranch_vccnz .LBB114_459
; %bb.458:
	buffer_load_dword v108, v105, s[0:3], 0 offen
	ds_read_b32 v109, v104
	s_waitcnt vmcnt(0) lgkmcnt(0)
	v_mul_f32_e32 v108, v108, v109
	s_cbranch_execz .LBB114_460
	s_branch .LBB114_461
.LBB114_459:
                                        ; implicit-def: $vgpr108
.LBB114_460:
	ds_read_b32 v108, v104
.LBB114_461:
	s_and_saveexec_b64 s[12:13], s[4:5]
	s_cbranch_execz .LBB114_465
; %bb.462:
	v_add_u32_e32 v109, -4, v0
	s_movk_i32 s14, 0xe0
	s_mov_b64 s[4:5], 0
.LBB114_463:                            ; =>This Inner Loop Header: Depth=1
	buffer_load_dword v110, v107, s[0:3], 0 offen
	v_mov_b32_e32 v111, s14
	ds_read_b32 v111, v111
	v_add_u32_e32 v109, -1, v109
	s_add_i32 s14, s14, 4
	v_cmp_eq_u32_e32 vcc, 0, v109
	v_add_u32_e32 v107, 4, v107
	s_or_b64 s[4:5], vcc, s[4:5]
	s_waitcnt vmcnt(0) lgkmcnt(0)
	v_fmac_f32_e32 v108, v110, v111
	s_andn2_b64 exec, exec, s[4:5]
	s_cbranch_execnz .LBB114_463
; %bb.464:
	s_or_b64 exec, exec, s[4:5]
.LBB114_465:
	s_or_b64 exec, exec, s[12:13]
	v_mov_b32_e32 v107, 0
	ds_read_b32 v107, v107 offset:12
	s_waitcnt lgkmcnt(0)
	v_mul_f32_e32 v107, v108, v107
	buffer_store_dword v107, off, s[0:3], 0 offset:12
.LBB114_466:
	s_or_b64 exec, exec, s[8:9]
	buffer_load_dword v107, off, s[0:3], 0 offset:8
	v_cmp_lt_u32_e64 s[4:5], 2, v0
	s_waitcnt vmcnt(0)
	ds_write_b32 v104, v107
	s_waitcnt lgkmcnt(0)
	; wave barrier
	s_waitcnt lgkmcnt(0)
	s_and_saveexec_b64 s[8:9], s[4:5]
	s_cbranch_execz .LBB114_476
; %bb.467:
	s_andn2_b64 vcc, exec, s[10:11]
	s_cbranch_vccnz .LBB114_469
; %bb.468:
	buffer_load_dword v107, v105, s[0:3], 0 offen
	ds_read_b32 v108, v104
	s_waitcnt vmcnt(0) lgkmcnt(0)
	v_mul_f32_e32 v107, v107, v108
	s_cbranch_execz .LBB114_470
	s_branch .LBB114_471
.LBB114_469:
                                        ; implicit-def: $vgpr107
.LBB114_470:
	ds_read_b32 v107, v104
.LBB114_471:
	s_and_saveexec_b64 s[12:13], s[6:7]
	s_cbranch_execz .LBB114_475
; %bb.472:
	v_mov_b32_e32 v108, 0
	v_or_b32_e32 v108, 12, v108
	v_add_u32_e32 v109, -3, v0
	s_movk_i32 s14, 0xdc
	s_mov_b64 s[6:7], 0
.LBB114_473:                            ; =>This Inner Loop Header: Depth=1
	buffer_load_dword v110, v108, s[0:3], 0 offen
	v_mov_b32_e32 v111, s14
	ds_read_b32 v111, v111
	v_add_u32_e32 v109, -1, v109
	s_add_i32 s14, s14, 4
	v_cmp_eq_u32_e32 vcc, 0, v109
	v_add_u32_e32 v108, 4, v108
	s_or_b64 s[6:7], vcc, s[6:7]
	s_waitcnt vmcnt(0) lgkmcnt(0)
	v_fmac_f32_e32 v107, v110, v111
	s_andn2_b64 exec, exec, s[6:7]
	s_cbranch_execnz .LBB114_473
; %bb.474:
	s_or_b64 exec, exec, s[6:7]
.LBB114_475:
	s_or_b64 exec, exec, s[12:13]
	v_mov_b32_e32 v108, 0
	ds_read_b32 v108, v108 offset:8
	s_waitcnt lgkmcnt(0)
	v_mul_f32_e32 v107, v107, v108
	buffer_store_dword v107, off, s[0:3], 0 offset:8
.LBB114_476:
	s_or_b64 exec, exec, s[8:9]
	buffer_load_dword v107, off, s[0:3], 0 offset:4
	v_cmp_lt_u32_e64 s[6:7], 1, v0
	s_waitcnt vmcnt(0)
	ds_write_b32 v104, v107
	s_waitcnt lgkmcnt(0)
	; wave barrier
	s_waitcnt lgkmcnt(0)
	s_and_saveexec_b64 s[8:9], s[6:7]
	s_cbranch_execz .LBB114_486
; %bb.477:
	s_andn2_b64 vcc, exec, s[10:11]
	s_cbranch_vccnz .LBB114_479
; %bb.478:
	buffer_load_dword v107, v105, s[0:3], 0 offen
	ds_read_b32 v108, v104
	s_waitcnt vmcnt(0) lgkmcnt(0)
	v_mul_f32_e32 v107, v107, v108
	s_cbranch_execz .LBB114_480
	s_branch .LBB114_481
.LBB114_479:
                                        ; implicit-def: $vgpr107
.LBB114_480:
	ds_read_b32 v107, v104
.LBB114_481:
	s_and_saveexec_b64 s[12:13], s[4:5]
	s_cbranch_execz .LBB114_485
; %bb.482:
	v_add_u32_e32 v108, -2, v0
	s_movk_i32 s14, 0xd8
	s_mov_b64 s[4:5], 0
.LBB114_483:                            ; =>This Inner Loop Header: Depth=1
	buffer_load_dword v109, v106, s[0:3], 0 offen
	v_mov_b32_e32 v110, s14
	ds_read_b32 v110, v110
	v_add_u32_e32 v108, -1, v108
	s_add_i32 s14, s14, 4
	v_cmp_eq_u32_e32 vcc, 0, v108
	v_add_u32_e32 v106, 4, v106
	s_or_b64 s[4:5], vcc, s[4:5]
	s_waitcnt vmcnt(0) lgkmcnt(0)
	v_fmac_f32_e32 v107, v109, v110
	s_andn2_b64 exec, exec, s[4:5]
	s_cbranch_execnz .LBB114_483
; %bb.484:
	s_or_b64 exec, exec, s[4:5]
.LBB114_485:
	s_or_b64 exec, exec, s[12:13]
	v_mov_b32_e32 v106, 0
	ds_read_b32 v106, v106 offset:4
	s_waitcnt lgkmcnt(0)
	v_mul_f32_e32 v106, v107, v106
	buffer_store_dword v106, off, s[0:3], 0 offset:4
.LBB114_486:
	s_or_b64 exec, exec, s[8:9]
	buffer_load_dword v106, off, s[0:3], 0
	v_cmp_ne_u32_e32 vcc, 0, v0
	s_waitcnt vmcnt(0)
	ds_write_b32 v104, v106
	s_waitcnt lgkmcnt(0)
	; wave barrier
	s_waitcnt lgkmcnt(0)
	s_and_saveexec_b64 s[4:5], vcc
	s_cbranch_execz .LBB114_496
; %bb.487:
	s_andn2_b64 vcc, exec, s[10:11]
	s_cbranch_vccnz .LBB114_489
; %bb.488:
	buffer_load_dword v106, v105, s[0:3], 0 offen
	ds_read_b32 v107, v104
	s_waitcnt vmcnt(0) lgkmcnt(0)
	v_mul_f32_e32 v106, v106, v107
	s_cbranch_execz .LBB114_490
	s_branch .LBB114_491
.LBB114_489:
                                        ; implicit-def: $vgpr106
.LBB114_490:
	ds_read_b32 v106, v104
.LBB114_491:
	s_and_saveexec_b64 s[8:9], s[6:7]
	s_cbranch_execz .LBB114_495
; %bb.492:
	v_mov_b32_e32 v107, 0
	v_or_b32_e32 v107, 4, v107
	v_add_u32_e32 v108, -1, v0
	s_movk_i32 s12, 0xd4
	s_mov_b64 s[6:7], 0
.LBB114_493:                            ; =>This Inner Loop Header: Depth=1
	buffer_load_dword v109, v107, s[0:3], 0 offen
	v_mov_b32_e32 v110, s12
	ds_read_b32 v110, v110
	v_add_u32_e32 v108, -1, v108
	s_add_i32 s12, s12, 4
	v_cmp_eq_u32_e32 vcc, 0, v108
	v_add_u32_e32 v107, 4, v107
	s_or_b64 s[6:7], vcc, s[6:7]
	s_waitcnt vmcnt(0) lgkmcnt(0)
	v_fmac_f32_e32 v106, v109, v110
	s_andn2_b64 exec, exec, s[6:7]
	s_cbranch_execnz .LBB114_493
; %bb.494:
	s_or_b64 exec, exec, s[6:7]
.LBB114_495:
	s_or_b64 exec, exec, s[8:9]
	v_mov_b32_e32 v107, 0
	ds_read_b32 v107, v107
	s_waitcnt lgkmcnt(0)
	v_mul_f32_e32 v106, v106, v107
	buffer_store_dword v106, off, s[0:3], 0
.LBB114_496:
	s_or_b64 exec, exec, s[4:5]
	s_mov_b64 s[4:5], 0
.LBB114_497:
	s_and_b64 vcc, exec, s[4:5]
	s_cbranch_vccz .LBB114_991
; %bb.498:
	buffer_load_dword v106, off, s[0:3], 0 offset:4
	v_cmp_eq_u32_e64 s[6:7], 0, v0
	s_waitcnt vmcnt(0)
	ds_write_b32 v104, v106
	s_waitcnt lgkmcnt(0)
	; wave barrier
	s_waitcnt lgkmcnt(0)
	s_and_saveexec_b64 s[4:5], s[6:7]
	s_cbranch_execz .LBB114_504
; %bb.499:
	s_and_b64 vcc, exec, s[10:11]
	s_cbranch_vccz .LBB114_501
; %bb.500:
	buffer_load_dword v106, v105, s[0:3], 0 offen
	ds_read_b32 v107, v104
	s_waitcnt vmcnt(0) lgkmcnt(0)
	v_mul_f32_e32 v106, v106, v107
	s_cbranch_execz .LBB114_502
	s_branch .LBB114_503
.LBB114_501:
                                        ; implicit-def: $vgpr106
.LBB114_502:
	ds_read_b32 v106, v104
.LBB114_503:
	v_mov_b32_e32 v107, 0
	ds_read_b32 v107, v107 offset:4
	s_waitcnt lgkmcnt(0)
	v_mul_f32_e32 v106, v106, v107
	buffer_store_dword v106, off, s[0:3], 0 offset:4
.LBB114_504:
	s_or_b64 exec, exec, s[4:5]
	buffer_load_dword v106, off, s[0:3], 0 offset:8
	v_cndmask_b32_e64 v107, 0, 1, s[10:11]
	v_cmp_gt_u32_e32 vcc, 2, v0
	v_cmp_ne_u32_e64 s[4:5], 1, v107
	s_waitcnt vmcnt(0)
	ds_write_b32 v104, v106
	s_waitcnt lgkmcnt(0)
	; wave barrier
	s_waitcnt lgkmcnt(0)
	s_and_saveexec_b64 s[8:9], vcc
	s_cbranch_execz .LBB114_512
; %bb.505:
	s_and_b64 vcc, exec, s[4:5]
	s_cbranch_vccnz .LBB114_507
; %bb.506:
	buffer_load_dword v106, v105, s[0:3], 0 offen
	ds_read_b32 v107, v104
	s_waitcnt vmcnt(0) lgkmcnt(0)
	v_mul_f32_e32 v106, v106, v107
	s_cbranch_execz .LBB114_508
	s_branch .LBB114_509
.LBB114_507:
                                        ; implicit-def: $vgpr106
.LBB114_508:
	ds_read_b32 v106, v104
.LBB114_509:
	s_and_saveexec_b64 s[10:11], s[6:7]
	s_cbranch_execz .LBB114_511
; %bb.510:
	buffer_load_dword v107, v105, s[0:3], 0 offen offset:4
	ds_read_b32 v108, v104 offset:4
	s_waitcnt vmcnt(0) lgkmcnt(0)
	v_fmac_f32_e32 v106, v107, v108
.LBB114_511:
	s_or_b64 exec, exec, s[10:11]
	v_mov_b32_e32 v107, 0
	ds_read_b32 v107, v107 offset:8
	s_waitcnt lgkmcnt(0)
	v_mul_f32_e32 v106, v106, v107
	buffer_store_dword v106, off, s[0:3], 0 offset:8
.LBB114_512:
	s_or_b64 exec, exec, s[8:9]
	buffer_load_dword v106, off, s[0:3], 0 offset:12
	v_cmp_gt_u32_e32 vcc, 3, v0
	s_waitcnt vmcnt(0)
	ds_write_b32 v104, v106
	s_waitcnt lgkmcnt(0)
	; wave barrier
	s_waitcnt lgkmcnt(0)
	s_and_saveexec_b64 s[8:9], vcc
	s_cbranch_execz .LBB114_520
; %bb.513:
	s_and_b64 vcc, exec, s[4:5]
	s_cbranch_vccnz .LBB114_515
; %bb.514:
	buffer_load_dword v106, v105, s[0:3], 0 offen
	ds_read_b32 v107, v104
	s_waitcnt vmcnt(0) lgkmcnt(0)
	v_mul_f32_e32 v106, v106, v107
	s_cbranch_execz .LBB114_516
	s_branch .LBB114_517
.LBB114_515:
                                        ; implicit-def: $vgpr106
.LBB114_516:
	ds_read_b32 v106, v104
.LBB114_517:
	v_cmp_ne_u32_e32 vcc, 2, v0
	s_and_saveexec_b64 s[10:11], vcc
	s_cbranch_execz .LBB114_519
; %bb.518:
	buffer_load_dword v107, v105, s[0:3], 0 offen offset:4
	buffer_load_dword v108, off, s[0:3], 0 offset:8
	v_mov_b32_e32 v109, 0
	ds_read_b32 v110, v104 offset:4
	ds_read_b32 v109, v109 offset:216
	s_waitcnt vmcnt(1) lgkmcnt(1)
	v_fmac_f32_e32 v106, v107, v110
	s_waitcnt vmcnt(0) lgkmcnt(0)
	v_fma_f32 v107, v108, v109, v106
	v_cndmask_b32_e64 v106, v106, v107, s[6:7]
.LBB114_519:
	s_or_b64 exec, exec, s[10:11]
	v_mov_b32_e32 v107, 0
	ds_read_b32 v107, v107 offset:12
	s_waitcnt lgkmcnt(0)
	v_mul_f32_e32 v106, v106, v107
	buffer_store_dword v106, off, s[0:3], 0 offset:12
.LBB114_520:
	s_or_b64 exec, exec, s[8:9]
	buffer_load_dword v106, off, s[0:3], 0 offset:16
	v_cmp_gt_u32_e32 vcc, 4, v0
	s_waitcnt vmcnt(0)
	ds_write_b32 v104, v106
	s_waitcnt lgkmcnt(0)
	; wave barrier
	s_waitcnt lgkmcnt(0)
	s_and_saveexec_b64 s[6:7], vcc
	s_cbranch_execz .LBB114_530
; %bb.521:
	s_and_b64 vcc, exec, s[4:5]
	s_cbranch_vccnz .LBB114_523
; %bb.522:
	buffer_load_dword v106, v105, s[0:3], 0 offen
	ds_read_b32 v107, v104
	s_waitcnt vmcnt(0) lgkmcnt(0)
	v_mul_f32_e32 v106, v106, v107
	s_cbranch_execz .LBB114_524
	s_branch .LBB114_525
.LBB114_523:
                                        ; implicit-def: $vgpr106
.LBB114_524:
	ds_read_b32 v106, v104
.LBB114_525:
	v_cmp_ne_u32_e32 vcc, 3, v0
	s_and_saveexec_b64 s[8:9], vcc
	s_cbranch_execz .LBB114_529
; %bb.526:
	v_mov_b32_e32 v108, 0
	v_add_u32_e32 v107, 0xd4, v1
	v_add3_u32 v108, v1, v108, 4
	s_mov_b64 s[10:11], 0
	v_mov_b32_e32 v109, v0
.LBB114_527:                            ; =>This Inner Loop Header: Depth=1
	buffer_load_dword v110, v108, s[0:3], 0 offen
	ds_read_b32 v111, v107
	v_add_u32_e32 v109, 1, v109
	v_cmp_lt_u32_e32 vcc, 2, v109
	v_add_u32_e32 v107, 4, v107
	v_add_u32_e32 v108, 4, v108
	s_or_b64 s[10:11], vcc, s[10:11]
	s_waitcnt vmcnt(0) lgkmcnt(0)
	v_fmac_f32_e32 v106, v110, v111
	s_andn2_b64 exec, exec, s[10:11]
	s_cbranch_execnz .LBB114_527
; %bb.528:
	s_or_b64 exec, exec, s[10:11]
.LBB114_529:
	s_or_b64 exec, exec, s[8:9]
	v_mov_b32_e32 v107, 0
	ds_read_b32 v107, v107 offset:16
	s_waitcnt lgkmcnt(0)
	v_mul_f32_e32 v106, v106, v107
	buffer_store_dword v106, off, s[0:3], 0 offset:16
.LBB114_530:
	s_or_b64 exec, exec, s[6:7]
	buffer_load_dword v106, off, s[0:3], 0 offset:20
	v_cmp_gt_u32_e32 vcc, 5, v0
	s_waitcnt vmcnt(0)
	ds_write_b32 v104, v106
	s_waitcnt lgkmcnt(0)
	; wave barrier
	s_waitcnt lgkmcnt(0)
	s_and_saveexec_b64 s[6:7], vcc
	s_cbranch_execz .LBB114_540
; %bb.531:
	s_and_b64 vcc, exec, s[4:5]
	s_cbranch_vccnz .LBB114_533
; %bb.532:
	buffer_load_dword v106, v105, s[0:3], 0 offen
	ds_read_b32 v107, v104
	s_waitcnt vmcnt(0) lgkmcnt(0)
	v_mul_f32_e32 v106, v106, v107
	s_cbranch_execz .LBB114_534
	s_branch .LBB114_535
.LBB114_533:
                                        ; implicit-def: $vgpr106
.LBB114_534:
	ds_read_b32 v106, v104
.LBB114_535:
	v_cmp_ne_u32_e32 vcc, 4, v0
	s_and_saveexec_b64 s[8:9], vcc
	s_cbranch_execz .LBB114_539
; %bb.536:
	v_mov_b32_e32 v108, 0
	v_add_u32_e32 v107, 0xd4, v1
	v_add3_u32 v108, v1, v108, 4
	s_mov_b64 s[10:11], 0
	v_mov_b32_e32 v109, v0
.LBB114_537:                            ; =>This Inner Loop Header: Depth=1
	buffer_load_dword v110, v108, s[0:3], 0 offen
	ds_read_b32 v111, v107
	v_add_u32_e32 v109, 1, v109
	v_cmp_lt_u32_e32 vcc, 3, v109
	v_add_u32_e32 v107, 4, v107
	v_add_u32_e32 v108, 4, v108
	s_or_b64 s[10:11], vcc, s[10:11]
	s_waitcnt vmcnt(0) lgkmcnt(0)
	v_fmac_f32_e32 v106, v110, v111
	s_andn2_b64 exec, exec, s[10:11]
	s_cbranch_execnz .LBB114_537
; %bb.538:
	s_or_b64 exec, exec, s[10:11]
.LBB114_539:
	s_or_b64 exec, exec, s[8:9]
	v_mov_b32_e32 v107, 0
	ds_read_b32 v107, v107 offset:20
	s_waitcnt lgkmcnt(0)
	v_mul_f32_e32 v106, v106, v107
	buffer_store_dword v106, off, s[0:3], 0 offset:20
.LBB114_540:
	;; [unrolled: 56-line block ×45, first 2 shown]
	s_or_b64 exec, exec, s[6:7]
	buffer_load_dword v106, off, s[0:3], 0 offset:196
	v_cmp_gt_u32_e64 s[6:7], 49, v0
	s_waitcnt vmcnt(0)
	ds_write_b32 v104, v106
	s_waitcnt lgkmcnt(0)
	; wave barrier
	s_waitcnt lgkmcnt(0)
	s_and_saveexec_b64 s[8:9], s[6:7]
	s_cbranch_execz .LBB114_980
; %bb.971:
	s_and_b64 vcc, exec, s[4:5]
	s_cbranch_vccnz .LBB114_973
; %bb.972:
	buffer_load_dword v106, v105, s[0:3], 0 offen
	ds_read_b32 v107, v104
	s_waitcnt vmcnt(0) lgkmcnt(0)
	v_mul_f32_e32 v106, v106, v107
	s_cbranch_execz .LBB114_974
	s_branch .LBB114_975
.LBB114_973:
                                        ; implicit-def: $vgpr106
.LBB114_974:
	ds_read_b32 v106, v104
.LBB114_975:
	v_cmp_ne_u32_e32 vcc, 48, v0
	s_and_saveexec_b64 s[10:11], vcc
	s_cbranch_execz .LBB114_979
; %bb.976:
	v_mov_b32_e32 v108, 0
	v_add_u32_e32 v107, 0xd4, v1
	v_add3_u32 v108, v1, v108, 4
	s_mov_b64 s[12:13], 0
	v_mov_b32_e32 v109, v0
.LBB114_977:                            ; =>This Inner Loop Header: Depth=1
	buffer_load_dword v110, v108, s[0:3], 0 offen
	ds_read_b32 v111, v107
	v_add_u32_e32 v109, 1, v109
	v_cmp_lt_u32_e32 vcc, 47, v109
	v_add_u32_e32 v107, 4, v107
	v_add_u32_e32 v108, 4, v108
	s_or_b64 s[12:13], vcc, s[12:13]
	s_waitcnt vmcnt(0) lgkmcnt(0)
	v_fmac_f32_e32 v106, v110, v111
	s_andn2_b64 exec, exec, s[12:13]
	s_cbranch_execnz .LBB114_977
; %bb.978:
	s_or_b64 exec, exec, s[12:13]
.LBB114_979:
	s_or_b64 exec, exec, s[10:11]
	v_mov_b32_e32 v107, 0
	ds_read_b32 v107, v107 offset:196
	s_waitcnt lgkmcnt(0)
	v_mul_f32_e32 v106, v106, v107
	buffer_store_dword v106, off, s[0:3], 0 offset:196
.LBB114_980:
	s_or_b64 exec, exec, s[8:9]
	buffer_load_dword v106, off, s[0:3], 0 offset:200
	v_cmp_ne_u32_e32 vcc, 50, v0
	s_waitcnt vmcnt(0)
	ds_write_b32 v104, v106
	s_waitcnt lgkmcnt(0)
	; wave barrier
	s_waitcnt lgkmcnt(0)
	s_and_saveexec_b64 s[8:9], vcc
	s_cbranch_execz .LBB114_990
; %bb.981:
	s_and_b64 vcc, exec, s[4:5]
	s_cbranch_vccnz .LBB114_983
; %bb.982:
	buffer_load_dword v105, v105, s[0:3], 0 offen
	ds_read_b32 v106, v104
	s_waitcnt vmcnt(0) lgkmcnt(0)
	v_mul_f32_e32 v105, v105, v106
	s_cbranch_execz .LBB114_984
	s_branch .LBB114_985
.LBB114_983:
                                        ; implicit-def: $vgpr105
.LBB114_984:
	ds_read_b32 v105, v104
.LBB114_985:
	s_and_saveexec_b64 s[4:5], s[6:7]
	s_cbranch_execz .LBB114_989
; %bb.986:
	v_mov_b32_e32 v106, 0
	v_add_u32_e32 v104, 0xd4, v1
	v_add3_u32 v1, v1, v106, 4
	s_mov_b64 s[6:7], 0
.LBB114_987:                            ; =>This Inner Loop Header: Depth=1
	buffer_load_dword v106, v1, s[0:3], 0 offen
	ds_read_b32 v107, v104
	v_add_u32_e32 v0, 1, v0
	v_cmp_lt_u32_e32 vcc, 48, v0
	v_add_u32_e32 v104, 4, v104
	v_add_u32_e32 v1, 4, v1
	s_or_b64 s[6:7], vcc, s[6:7]
	s_waitcnt vmcnt(0) lgkmcnt(0)
	v_fmac_f32_e32 v105, v106, v107
	s_andn2_b64 exec, exec, s[6:7]
	s_cbranch_execnz .LBB114_987
; %bb.988:
	s_or_b64 exec, exec, s[6:7]
.LBB114_989:
	s_or_b64 exec, exec, s[4:5]
	v_mov_b32_e32 v0, 0
	ds_read_b32 v0, v0 offset:200
	s_waitcnt lgkmcnt(0)
	v_mul_f32_e32 v0, v105, v0
	buffer_store_dword v0, off, s[0:3], 0 offset:200
.LBB114_990:
	s_or_b64 exec, exec, s[8:9]
.LBB114_991:
	buffer_load_dword v0, off, s[0:3], 0
	buffer_load_dword v1, off, s[0:3], 0 offset:4
	buffer_load_dword v104, off, s[0:3], 0 offset:8
	buffer_load_dword v105, off, s[0:3], 0 offset:12
	buffer_load_dword v106, off, s[0:3], 0 offset:16
	buffer_load_dword v107, off, s[0:3], 0 offset:20
	buffer_load_dword v108, off, s[0:3], 0 offset:24
	buffer_load_dword v109, off, s[0:3], 0 offset:28
	buffer_load_dword v110, off, s[0:3], 0 offset:32
	buffer_load_dword v111, off, s[0:3], 0 offset:36
	buffer_load_dword v112, off, s[0:3], 0 offset:40
	buffer_load_dword v113, off, s[0:3], 0 offset:44
	buffer_load_dword v114, off, s[0:3], 0 offset:48
	buffer_load_dword v115, off, s[0:3], 0 offset:52
	buffer_load_dword v116, off, s[0:3], 0 offset:56
	buffer_load_dword v117, off, s[0:3], 0 offset:60
	buffer_load_dword v118, off, s[0:3], 0 offset:64
	buffer_load_dword v119, off, s[0:3], 0 offset:68
	buffer_load_dword v120, off, s[0:3], 0 offset:72
	buffer_load_dword v121, off, s[0:3], 0 offset:76
	buffer_load_dword v122, off, s[0:3], 0 offset:80
	buffer_load_dword v123, off, s[0:3], 0 offset:84
	buffer_load_dword v124, off, s[0:3], 0 offset:88
	buffer_load_dword v125, off, s[0:3], 0 offset:92
	buffer_load_dword v126, off, s[0:3], 0 offset:96
	buffer_load_dword v127, off, s[0:3], 0 offset:100
	buffer_load_dword v128, off, s[0:3], 0 offset:104
	buffer_load_dword v129, off, s[0:3], 0 offset:108
	buffer_load_dword v130, off, s[0:3], 0 offset:112
	buffer_load_dword v131, off, s[0:3], 0 offset:116
	buffer_load_dword v132, off, s[0:3], 0 offset:120
	buffer_load_dword v133, off, s[0:3], 0 offset:124
	buffer_load_dword v134, off, s[0:3], 0 offset:128
	buffer_load_dword v135, off, s[0:3], 0 offset:132
	buffer_load_dword v136, off, s[0:3], 0 offset:136
	buffer_load_dword v137, off, s[0:3], 0 offset:140
	buffer_load_dword v138, off, s[0:3], 0 offset:144
	buffer_load_dword v139, off, s[0:3], 0 offset:148
	buffer_load_dword v140, off, s[0:3], 0 offset:152
	buffer_load_dword v141, off, s[0:3], 0 offset:156
	buffer_load_dword v142, off, s[0:3], 0 offset:160
	buffer_load_dword v143, off, s[0:3], 0 offset:164
	buffer_load_dword v144, off, s[0:3], 0 offset:168
	buffer_load_dword v145, off, s[0:3], 0 offset:172
	buffer_load_dword v146, off, s[0:3], 0 offset:176
	buffer_load_dword v147, off, s[0:3], 0 offset:180
	buffer_load_dword v148, off, s[0:3], 0 offset:184
	buffer_load_dword v149, off, s[0:3], 0 offset:188
	buffer_load_dword v150, off, s[0:3], 0 offset:192
	buffer_load_dword v151, off, s[0:3], 0 offset:196
	buffer_load_dword v152, off, s[0:3], 0 offset:200
	s_waitcnt vmcnt(50)
	global_store_dword v[98:99], v0, off
	s_waitcnt vmcnt(50)
	global_store_dword v[100:101], v1, off
	;; [unrolled: 2-line block ×51, first 2 shown]
.LBB114_992:
	s_endpgm
	.section	.rodata,"a",@progbits
	.p2align	6, 0x0
	.amdhsa_kernel _ZN9rocsolver6v33100L18trti2_kernel_smallILi51EfPKPfEEv13rocblas_fill_17rocblas_diagonal_T1_iil
		.amdhsa_group_segment_fixed_size 412
		.amdhsa_private_segment_fixed_size 208
		.amdhsa_kernarg_size 32
		.amdhsa_user_sgpr_count 8
		.amdhsa_user_sgpr_private_segment_buffer 1
		.amdhsa_user_sgpr_dispatch_ptr 0
		.amdhsa_user_sgpr_queue_ptr 0
		.amdhsa_user_sgpr_kernarg_segment_ptr 1
		.amdhsa_user_sgpr_dispatch_id 0
		.amdhsa_user_sgpr_flat_scratch_init 1
		.amdhsa_user_sgpr_kernarg_preload_length 0
		.amdhsa_user_sgpr_kernarg_preload_offset 0
		.amdhsa_user_sgpr_private_segment_size 0
		.amdhsa_uses_dynamic_stack 0
		.amdhsa_system_sgpr_private_segment_wavefront_offset 1
		.amdhsa_system_sgpr_workgroup_id_x 1
		.amdhsa_system_sgpr_workgroup_id_y 0
		.amdhsa_system_sgpr_workgroup_id_z 0
		.amdhsa_system_sgpr_workgroup_info 0
		.amdhsa_system_vgpr_workitem_id 0
		.amdhsa_next_free_vgpr 155
		.amdhsa_next_free_sgpr 16
		.amdhsa_accum_offset 156
		.amdhsa_reserve_vcc 1
		.amdhsa_reserve_flat_scratch 0
		.amdhsa_float_round_mode_32 0
		.amdhsa_float_round_mode_16_64 0
		.amdhsa_float_denorm_mode_32 3
		.amdhsa_float_denorm_mode_16_64 3
		.amdhsa_dx10_clamp 1
		.amdhsa_ieee_mode 1
		.amdhsa_fp16_overflow 0
		.amdhsa_tg_split 0
		.amdhsa_exception_fp_ieee_invalid_op 0
		.amdhsa_exception_fp_denorm_src 0
		.amdhsa_exception_fp_ieee_div_zero 0
		.amdhsa_exception_fp_ieee_overflow 0
		.amdhsa_exception_fp_ieee_underflow 0
		.amdhsa_exception_fp_ieee_inexact 0
		.amdhsa_exception_int_div_zero 0
	.end_amdhsa_kernel
	.section	.text._ZN9rocsolver6v33100L18trti2_kernel_smallILi51EfPKPfEEv13rocblas_fill_17rocblas_diagonal_T1_iil,"axG",@progbits,_ZN9rocsolver6v33100L18trti2_kernel_smallILi51EfPKPfEEv13rocblas_fill_17rocblas_diagonal_T1_iil,comdat
.Lfunc_end114:
	.size	_ZN9rocsolver6v33100L18trti2_kernel_smallILi51EfPKPfEEv13rocblas_fill_17rocblas_diagonal_T1_iil, .Lfunc_end114-_ZN9rocsolver6v33100L18trti2_kernel_smallILi51EfPKPfEEv13rocblas_fill_17rocblas_diagonal_T1_iil
                                        ; -- End function
	.section	.AMDGPU.csdata,"",@progbits
; Kernel info:
; codeLenInByte = 24944
; NumSgprs: 20
; NumVgprs: 155
; NumAgprs: 0
; TotalNumVgprs: 155
; ScratchSize: 208
; MemoryBound: 0
; FloatMode: 240
; IeeeMode: 1
; LDSByteSize: 412 bytes/workgroup (compile time only)
; SGPRBlocks: 2
; VGPRBlocks: 19
; NumSGPRsForWavesPerEU: 20
; NumVGPRsForWavesPerEU: 155
; AccumOffset: 156
; Occupancy: 3
; WaveLimiterHint : 1
; COMPUTE_PGM_RSRC2:SCRATCH_EN: 1
; COMPUTE_PGM_RSRC2:USER_SGPR: 8
; COMPUTE_PGM_RSRC2:TRAP_HANDLER: 0
; COMPUTE_PGM_RSRC2:TGID_X_EN: 1
; COMPUTE_PGM_RSRC2:TGID_Y_EN: 0
; COMPUTE_PGM_RSRC2:TGID_Z_EN: 0
; COMPUTE_PGM_RSRC2:TIDIG_COMP_CNT: 0
; COMPUTE_PGM_RSRC3_GFX90A:ACCUM_OFFSET: 38
; COMPUTE_PGM_RSRC3_GFX90A:TG_SPLIT: 0
	.section	.text._ZN9rocsolver6v33100L18trti2_kernel_smallILi52EfPKPfEEv13rocblas_fill_17rocblas_diagonal_T1_iil,"axG",@progbits,_ZN9rocsolver6v33100L18trti2_kernel_smallILi52EfPKPfEEv13rocblas_fill_17rocblas_diagonal_T1_iil,comdat
	.globl	_ZN9rocsolver6v33100L18trti2_kernel_smallILi52EfPKPfEEv13rocblas_fill_17rocblas_diagonal_T1_iil ; -- Begin function _ZN9rocsolver6v33100L18trti2_kernel_smallILi52EfPKPfEEv13rocblas_fill_17rocblas_diagonal_T1_iil
	.p2align	8
	.type	_ZN9rocsolver6v33100L18trti2_kernel_smallILi52EfPKPfEEv13rocblas_fill_17rocblas_diagonal_T1_iil,@function
_ZN9rocsolver6v33100L18trti2_kernel_smallILi52EfPKPfEEv13rocblas_fill_17rocblas_diagonal_T1_iil: ; @_ZN9rocsolver6v33100L18trti2_kernel_smallILi52EfPKPfEEv13rocblas_fill_17rocblas_diagonal_T1_iil
; %bb.0:
	s_add_u32 s0, s0, s9
	s_addc_u32 s1, s1, 0
	v_cmp_gt_u32_e32 vcc, 52, v0
	s_and_saveexec_b64 s[6:7], vcc
	s_cbranch_execz .LBB115_1012
; %bb.1:
	s_load_dwordx2 s[6:7], s[4:5], 0x10
	s_load_dwordx4 s[12:15], s[4:5], 0x0
	s_ashr_i32 s9, s8, 31
	s_lshl_b64 s[4:5], s[8:9], 3
	s_waitcnt lgkmcnt(0)
	s_ashr_i32 s9, s6, 31
	s_add_u32 s4, s14, s4
	s_addc_u32 s5, s15, s5
	s_load_dwordx2 s[4:5], s[4:5], 0x0
	s_mov_b32 s8, s6
	s_lshl_b64 s[8:9], s[8:9], 2
	s_waitcnt lgkmcnt(0)
	s_add_u32 s4, s4, s8
	s_addc_u32 s5, s5, s9
	s_add_i32 s6, s7, s7
	v_add_u32_e32 v4, s6, v0
	v_ashrrev_i32_e32 v5, 31, v4
	v_lshlrev_b64 v[2:3], 2, v[4:5]
	v_add_u32_e32 v6, s7, v4
	v_mov_b32_e32 v1, s5
	v_add_co_u32_e32 v2, vcc, s4, v2
	v_ashrrev_i32_e32 v7, 31, v6
	v_addc_co_u32_e32 v3, vcc, v1, v3, vcc
	v_lshlrev_b64 v[4:5], 2, v[6:7]
	v_add_u32_e32 v8, s7, v6
	v_add_co_u32_e32 v4, vcc, s4, v4
	v_ashrrev_i32_e32 v9, 31, v8
	v_addc_co_u32_e32 v5, vcc, v1, v5, vcc
	v_lshlrev_b64 v[6:7], 2, v[8:9]
	v_add_u32_e32 v10, s7, v8
	;; [unrolled: 5-line block ×47, first 2 shown]
	v_add_co_u32_e32 v96, vcc, s4, v96
	v_ashrrev_i32_e32 v101, 31, v100
	v_addc_co_u32_e32 v97, vcc, v1, v97, vcc
	v_lshlrev_b64 v[98:99], 2, v[100:101]
	v_add_co_u32_e32 v98, vcc, s4, v98
	v_add_u32_e32 v100, s7, v100
	v_addc_co_u32_e32 v99, vcc, v1, v99, vcc
	v_ashrrev_i32_e32 v101, 31, v100
	v_lshlrev_b32_e32 v1, 2, v0
	v_lshlrev_b64 v[104:105], 2, v[100:101]
	v_mov_b32_e32 v101, s5
	v_add_co_u32_e32 v100, vcc, s4, v1
	s_ashr_i32 s9, s7, 31
	s_mov_b32 s8, s7
	v_addc_co_u32_e32 v101, vcc, 0, v101, vcc
	s_lshl_b64 s[6:7], s[8:9], 2
	v_mov_b32_e32 v103, s7
	v_add_co_u32_e32 v102, vcc, s6, v100
	v_addc_co_u32_e32 v103, vcc, v101, v103, vcc
	v_mov_b32_e32 v155, s5
	v_add_co_u32_e32 v104, vcc, s4, v104
	v_addc_co_u32_e32 v105, vcc, v155, v105, vcc
	global_load_dword v106, v1, s[4:5]
	global_load_dword v107, v[102:103], off
	global_load_dword v108, v[2:3], off
	;; [unrolled: 1-line block ×51, first 2 shown]
	s_cmpk_lg_i32 s13, 0x84
	s_waitcnt vmcnt(51)
	buffer_store_dword v106, off, s[0:3], 0
	s_waitcnt vmcnt(51)
	buffer_store_dword v107, off, s[0:3], 0 offset:4
	s_waitcnt vmcnt(51)
	buffer_store_dword v108, off, s[0:3], 0 offset:8
	;; [unrolled: 2-line block ×11, first 2 shown]
	buffer_store_dword v116, off, s[0:3], 0 offset:48
	buffer_store_dword v117, off, s[0:3], 0 offset:52
	;; [unrolled: 1-line block ×5, first 2 shown]
	s_waitcnt vmcnt(51)
	buffer_store_dword v123, off, s[0:3], 0 offset:68
	s_waitcnt vmcnt(51)
	buffer_store_dword v124, off, s[0:3], 0 offset:72
	;; [unrolled: 2-line block ×5, first 2 shown]
	buffer_store_dword v127, off, s[0:3], 0 offset:92
	buffer_store_dword v128, off, s[0:3], 0 offset:88
	s_waitcnt vmcnt(50)
	buffer_store_dword v131, off, s[0:3], 0 offset:100
	buffer_store_dword v126, off, s[0:3], 0 offset:96
	s_waitcnt vmcnt(46)
	buffer_store_dword v137, off, s[0:3], 0 offset:108
	s_waitcnt vmcnt(46)
	buffer_store_dword v138, off, s[0:3], 0 offset:104
	buffer_store_dword v135, off, s[0:3], 0 offset:116
	buffer_store_dword v136, off, s[0:3], 0 offset:112
	buffer_store_dword v133, off, s[0:3], 0 offset:124
	buffer_store_dword v134, off, s[0:3], 0 offset:120
	s_waitcnt vmcnt(50)
	buffer_store_dword v139, off, s[0:3], 0 offset:132
	buffer_store_dword v132, off, s[0:3], 0 offset:128
	s_waitcnt vmcnt(46)
	buffer_store_dword v145, off, s[0:3], 0 offset:140
	s_waitcnt vmcnt(46)
	buffer_store_dword v146, off, s[0:3], 0 offset:136
	buffer_store_dword v143, off, s[0:3], 0 offset:148
	buffer_store_dword v144, off, s[0:3], 0 offset:144
	;; [unrolled: 11-line block ×3, first 2 shown]
	buffer_store_dword v149, off, s[0:3], 0 offset:188
	buffer_store_dword v150, off, s[0:3], 0 offset:184
	s_waitcnt vmcnt(50)
	buffer_store_dword v156, off, s[0:3], 0 offset:196
	buffer_store_dword v148, off, s[0:3], 0 offset:192
	s_waitcnt vmcnt(51)
	buffer_store_dword v155, off, s[0:3], 0 offset:204
	s_waitcnt vmcnt(51)
	buffer_store_dword v157, off, s[0:3], 0 offset:200
	s_cselect_b64 s[8:9], -1, 0
	s_cmpk_eq_i32 s13, 0x84
	v_mov_b32_e32 v131, 0
	v_mov_b32_e32 v106, -1.0
	s_cbranch_scc1 .LBB115_3
; %bb.2:
	v_lshl_add_u32 v106, v0, 2, v131
	buffer_load_dword v107, v106, s[0:3], 0 offen
	s_waitcnt vmcnt(0)
	v_div_scale_f32 v108, s[4:5], v107, v107, 1.0
	v_rcp_f32_e32 v109, v108
	v_div_scale_f32 v110, vcc, 1.0, v107, 1.0
	v_fma_f32 v111, -v108, v109, 1.0
	v_fmac_f32_e32 v109, v111, v109
	v_mul_f32_e32 v111, v110, v109
	v_fma_f32 v112, -v108, v111, v110
	v_fmac_f32_e32 v111, v112, v109
	v_fma_f32 v108, -v108, v111, v110
	v_div_fmas_f32 v108, v108, v109, v111
	v_div_fixup_f32 v107, v108, v107, 1.0
	buffer_store_dword v107, v106, s[0:3], 0 offen
	v_xor_b32_e32 v106, 0x80000000, v107
.LBB115_3:
	ds_write_b32 v1, v106
	s_cmpk_eq_i32 s12, 0x79
	v_add_u32_e32 v106, 0xd0, v1
	v_add_u32_e32 v107, 0, v1
	s_mov_b64 s[4:5], -1
	s_cbranch_scc1 .LBB115_507
; %bb.4:
	buffer_load_dword v108, off, s[0:3], 0 offset:200
	v_cmp_eq_u32_e64 s[4:5], 51, v0
	s_waitcnt vmcnt(0)
	ds_write_b32 v106, v108
	s_waitcnt lgkmcnt(0)
	; wave barrier
	s_waitcnt lgkmcnt(0)
	s_and_saveexec_b64 s[6:7], s[4:5]
	s_cbranch_execz .LBB115_10
; %bb.5:
	s_and_b64 vcc, exec, s[8:9]
	s_cbranch_vccz .LBB115_7
; %bb.6:
	buffer_load_dword v108, v107, s[0:3], 0 offen
	ds_read_b32 v109, v106
	s_waitcnt vmcnt(0) lgkmcnt(0)
	v_mul_f32_e32 v108, v108, v109
	s_cbranch_execz .LBB115_8
	s_branch .LBB115_9
.LBB115_7:
                                        ; implicit-def: $vgpr108
.LBB115_8:
	ds_read_b32 v108, v106
.LBB115_9:
	v_mov_b32_e32 v109, 0
	ds_read_b32 v109, v109 offset:200
	s_waitcnt lgkmcnt(0)
	v_mul_f32_e32 v108, v108, v109
	buffer_store_dword v108, off, s[0:3], 0 offset:200
.LBB115_10:
	s_or_b64 exec, exec, s[6:7]
	buffer_load_dword v132, off, s[0:3], 0 offset:196
	v_or_b32_e32 v108, 8, v131
	v_add_u32_e32 v109, 16, v131
	v_add_u32_e32 v110, 24, v131
	;; [unrolled: 1-line block ×23, first 2 shown]
	v_cmp_lt_u32_e64 s[6:7], 49, v0
	s_waitcnt vmcnt(0)
	ds_write_b32 v106, v132
	s_waitcnt lgkmcnt(0)
	; wave barrier
	s_waitcnt lgkmcnt(0)
	s_and_saveexec_b64 s[10:11], s[6:7]
	s_cbranch_execz .LBB115_16
; %bb.11:
	s_andn2_b64 vcc, exec, s[8:9]
	s_cbranch_vccnz .LBB115_13
; %bb.12:
	buffer_load_dword v132, v107, s[0:3], 0 offen
	ds_read_b32 v133, v106
	s_waitcnt vmcnt(0) lgkmcnt(0)
	v_mul_f32_e32 v132, v132, v133
	s_cbranch_execz .LBB115_14
	s_branch .LBB115_15
.LBB115_13:
                                        ; implicit-def: $vgpr132
.LBB115_14:
	ds_read_b32 v132, v106
.LBB115_15:
	buffer_load_dword v133, off, s[0:3], 0 offset:200
	v_mov_b32_e32 v134, 0
	ds_read2_b32 v[134:135], v134 offset0:49 offset1:102
	s_waitcnt vmcnt(0) lgkmcnt(0)
	v_fma_f32 v133, v133, v135, v132
	v_cndmask_b32_e64 v132, v132, v133, s[4:5]
	v_mul_f32_e32 v132, v132, v134
	buffer_store_dword v132, off, s[0:3], 0 offset:196
.LBB115_16:
	s_or_b64 exec, exec, s[10:11]
	buffer_load_dword v132, off, s[0:3], 0 offset:192
	v_cmp_lt_u32_e64 s[4:5], 48, v0
	s_waitcnt vmcnt(0)
	ds_write_b32 v106, v132
	s_waitcnt lgkmcnt(0)
	; wave barrier
	s_waitcnt lgkmcnt(0)
	s_and_saveexec_b64 s[10:11], s[4:5]
	s_cbranch_execz .LBB115_26
; %bb.17:
	s_andn2_b64 vcc, exec, s[8:9]
	s_cbranch_vccnz .LBB115_19
; %bb.18:
	buffer_load_dword v132, v107, s[0:3], 0 offen
	ds_read_b32 v133, v106
	s_waitcnt vmcnt(0) lgkmcnt(0)
	v_mul_f32_e32 v132, v132, v133
	s_cbranch_execz .LBB115_20
	s_branch .LBB115_21
.LBB115_19:
                                        ; implicit-def: $vgpr132
.LBB115_20:
	ds_read_b32 v132, v106
.LBB115_21:
	s_and_saveexec_b64 s[12:13], s[6:7]
	s_cbranch_execz .LBB115_25
; %bb.22:
	v_mov_b32_e32 v133, 0
	v_add_u32_e32 v133, 0xc4, v133
	v_subrev_u32_e32 v134, 49, v0
	s_movk_i32 s14, 0x194
	s_mov_b64 s[6:7], 0
.LBB115_23:                             ; =>This Inner Loop Header: Depth=1
	buffer_load_dword v135, v133, s[0:3], 0 offen
	v_mov_b32_e32 v136, s14
	ds_read_b32 v136, v136
	v_add_u32_e32 v134, -1, v134
	s_add_i32 s14, s14, 4
	v_cmp_eq_u32_e32 vcc, 0, v134
	v_add_u32_e32 v133, 4, v133
	s_or_b64 s[6:7], vcc, s[6:7]
	s_waitcnt vmcnt(0) lgkmcnt(0)
	v_fmac_f32_e32 v132, v135, v136
	s_andn2_b64 exec, exec, s[6:7]
	s_cbranch_execnz .LBB115_23
; %bb.24:
	s_or_b64 exec, exec, s[6:7]
.LBB115_25:
	s_or_b64 exec, exec, s[12:13]
	v_mov_b32_e32 v133, 0
	ds_read_b32 v133, v133 offset:192
	s_waitcnt lgkmcnt(0)
	v_mul_f32_e32 v132, v132, v133
	buffer_store_dword v132, off, s[0:3], 0 offset:192
.LBB115_26:
	s_or_b64 exec, exec, s[10:11]
	buffer_load_dword v132, off, s[0:3], 0 offset:188
	v_cmp_lt_u32_e64 s[6:7], 47, v0
	s_waitcnt vmcnt(0)
	ds_write_b32 v106, v132
	s_waitcnt lgkmcnt(0)
	; wave barrier
	s_waitcnt lgkmcnt(0)
	s_and_saveexec_b64 s[10:11], s[6:7]
	s_cbranch_execz .LBB115_36
; %bb.27:
	s_andn2_b64 vcc, exec, s[8:9]
	s_cbranch_vccnz .LBB115_29
; %bb.28:
	buffer_load_dword v132, v107, s[0:3], 0 offen
	ds_read_b32 v133, v106
	s_waitcnt vmcnt(0) lgkmcnt(0)
	v_mul_f32_e32 v132, v132, v133
	s_cbranch_execz .LBB115_30
	s_branch .LBB115_31
.LBB115_29:
                                        ; implicit-def: $vgpr132
.LBB115_30:
	ds_read_b32 v132, v106
.LBB115_31:
	s_and_saveexec_b64 s[12:13], s[4:5]
	s_cbranch_execz .LBB115_35
; %bb.32:
	v_subrev_u32_e32 v133, 48, v0
	s_movk_i32 s14, 0x190
	s_mov_b64 s[4:5], 0
.LBB115_33:                             ; =>This Inner Loop Header: Depth=1
	buffer_load_dword v134, v131, s[0:3], 0 offen
	v_mov_b32_e32 v135, s14
	ds_read_b32 v135, v135
	v_add_u32_e32 v133, -1, v133
	s_add_i32 s14, s14, 4
	v_cmp_eq_u32_e32 vcc, 0, v133
	v_add_u32_e32 v131, 4, v131
	s_or_b64 s[4:5], vcc, s[4:5]
	s_waitcnt vmcnt(0) lgkmcnt(0)
	v_fmac_f32_e32 v132, v134, v135
	s_andn2_b64 exec, exec, s[4:5]
	s_cbranch_execnz .LBB115_33
; %bb.34:
	s_or_b64 exec, exec, s[4:5]
.LBB115_35:
	s_or_b64 exec, exec, s[12:13]
	v_mov_b32_e32 v131, 0
	ds_read_b32 v131, v131 offset:188
	s_waitcnt lgkmcnt(0)
	v_mul_f32_e32 v131, v132, v131
	buffer_store_dword v131, off, s[0:3], 0 offset:188
.LBB115_36:
	s_or_b64 exec, exec, s[10:11]
	buffer_load_dword v131, off, s[0:3], 0 offset:184
	v_cmp_lt_u32_e64 s[4:5], 46, v0
	s_waitcnt vmcnt(0)
	ds_write_b32 v106, v131
	s_waitcnt lgkmcnt(0)
	; wave barrier
	s_waitcnt lgkmcnt(0)
	s_and_saveexec_b64 s[10:11], s[4:5]
	s_cbranch_execz .LBB115_46
; %bb.37:
	s_andn2_b64 vcc, exec, s[8:9]
	s_cbranch_vccnz .LBB115_39
; %bb.38:
	buffer_load_dword v131, v107, s[0:3], 0 offen
	ds_read_b32 v132, v106
	s_waitcnt vmcnt(0) lgkmcnt(0)
	v_mul_f32_e32 v131, v131, v132
	s_cbranch_execz .LBB115_40
	s_branch .LBB115_41
.LBB115_39:
                                        ; implicit-def: $vgpr131
.LBB115_40:
	ds_read_b32 v131, v106
.LBB115_41:
	s_and_saveexec_b64 s[12:13], s[6:7]
	s_cbranch_execz .LBB115_45
; %bb.42:
	v_mov_b32_e32 v132, 0
	v_add_u32_e32 v132, 0xbc, v132
	v_subrev_u32_e32 v133, 47, v0
	s_movk_i32 s14, 0x18c
	s_mov_b64 s[6:7], 0
.LBB115_43:                             ; =>This Inner Loop Header: Depth=1
	buffer_load_dword v134, v132, s[0:3], 0 offen
	v_mov_b32_e32 v135, s14
	ds_read_b32 v135, v135
	v_add_u32_e32 v133, -1, v133
	s_add_i32 s14, s14, 4
	v_cmp_eq_u32_e32 vcc, 0, v133
	v_add_u32_e32 v132, 4, v132
	s_or_b64 s[6:7], vcc, s[6:7]
	s_waitcnt vmcnt(0) lgkmcnt(0)
	v_fmac_f32_e32 v131, v134, v135
	s_andn2_b64 exec, exec, s[6:7]
	s_cbranch_execnz .LBB115_43
; %bb.44:
	s_or_b64 exec, exec, s[6:7]
.LBB115_45:
	s_or_b64 exec, exec, s[12:13]
	v_mov_b32_e32 v132, 0
	ds_read_b32 v132, v132 offset:184
	s_waitcnt lgkmcnt(0)
	v_mul_f32_e32 v131, v131, v132
	buffer_store_dword v131, off, s[0:3], 0 offset:184
.LBB115_46:
	s_or_b64 exec, exec, s[10:11]
	buffer_load_dword v131, off, s[0:3], 0 offset:180
	v_cmp_lt_u32_e64 s[6:7], 45, v0
	s_waitcnt vmcnt(0)
	ds_write_b32 v106, v131
	s_waitcnt lgkmcnt(0)
	; wave barrier
	s_waitcnt lgkmcnt(0)
	s_and_saveexec_b64 s[10:11], s[6:7]
	s_cbranch_execz .LBB115_56
; %bb.47:
	s_andn2_b64 vcc, exec, s[8:9]
	s_cbranch_vccnz .LBB115_49
; %bb.48:
	buffer_load_dword v131, v107, s[0:3], 0 offen
	ds_read_b32 v132, v106
	s_waitcnt vmcnt(0) lgkmcnt(0)
	v_mul_f32_e32 v131, v131, v132
	s_cbranch_execz .LBB115_50
	s_branch .LBB115_51
.LBB115_49:
                                        ; implicit-def: $vgpr131
.LBB115_50:
	ds_read_b32 v131, v106
.LBB115_51:
	s_and_saveexec_b64 s[12:13], s[4:5]
	s_cbranch_execz .LBB115_55
; %bb.52:
	v_subrev_u32_e32 v132, 46, v0
	s_movk_i32 s14, 0x188
	s_mov_b64 s[4:5], 0
.LBB115_53:                             ; =>This Inner Loop Header: Depth=1
	buffer_load_dword v133, v130, s[0:3], 0 offen
	v_mov_b32_e32 v134, s14
	ds_read_b32 v134, v134
	v_add_u32_e32 v132, -1, v132
	s_add_i32 s14, s14, 4
	v_cmp_eq_u32_e32 vcc, 0, v132
	v_add_u32_e32 v130, 4, v130
	s_or_b64 s[4:5], vcc, s[4:5]
	s_waitcnt vmcnt(0) lgkmcnt(0)
	v_fmac_f32_e32 v131, v133, v134
	s_andn2_b64 exec, exec, s[4:5]
	s_cbranch_execnz .LBB115_53
; %bb.54:
	s_or_b64 exec, exec, s[4:5]
.LBB115_55:
	s_or_b64 exec, exec, s[12:13]
	v_mov_b32_e32 v130, 0
	ds_read_b32 v130, v130 offset:180
	s_waitcnt lgkmcnt(0)
	v_mul_f32_e32 v130, v131, v130
	buffer_store_dword v130, off, s[0:3], 0 offset:180
.LBB115_56:
	s_or_b64 exec, exec, s[10:11]
	buffer_load_dword v130, off, s[0:3], 0 offset:176
	v_cmp_lt_u32_e64 s[4:5], 44, v0
	s_waitcnt vmcnt(0)
	ds_write_b32 v106, v130
	s_waitcnt lgkmcnt(0)
	; wave barrier
	s_waitcnt lgkmcnt(0)
	s_and_saveexec_b64 s[10:11], s[4:5]
	s_cbranch_execz .LBB115_66
; %bb.57:
	s_andn2_b64 vcc, exec, s[8:9]
	s_cbranch_vccnz .LBB115_59
; %bb.58:
	buffer_load_dword v130, v107, s[0:3], 0 offen
	ds_read_b32 v131, v106
	s_waitcnt vmcnt(0) lgkmcnt(0)
	v_mul_f32_e32 v130, v130, v131
	s_cbranch_execz .LBB115_60
	s_branch .LBB115_61
.LBB115_59:
                                        ; implicit-def: $vgpr130
.LBB115_60:
	ds_read_b32 v130, v106
.LBB115_61:
	s_and_saveexec_b64 s[12:13], s[6:7]
	s_cbranch_execz .LBB115_65
; %bb.62:
	v_mov_b32_e32 v131, 0
	v_add_u32_e32 v131, 0xb4, v131
	v_subrev_u32_e32 v132, 45, v0
	s_movk_i32 s14, 0x184
	s_mov_b64 s[6:7], 0
.LBB115_63:                             ; =>This Inner Loop Header: Depth=1
	buffer_load_dword v133, v131, s[0:3], 0 offen
	v_mov_b32_e32 v134, s14
	ds_read_b32 v134, v134
	v_add_u32_e32 v132, -1, v132
	s_add_i32 s14, s14, 4
	v_cmp_eq_u32_e32 vcc, 0, v132
	v_add_u32_e32 v131, 4, v131
	s_or_b64 s[6:7], vcc, s[6:7]
	s_waitcnt vmcnt(0) lgkmcnt(0)
	v_fmac_f32_e32 v130, v133, v134
	s_andn2_b64 exec, exec, s[6:7]
	s_cbranch_execnz .LBB115_63
; %bb.64:
	s_or_b64 exec, exec, s[6:7]
.LBB115_65:
	s_or_b64 exec, exec, s[12:13]
	v_mov_b32_e32 v131, 0
	ds_read_b32 v131, v131 offset:176
	s_waitcnt lgkmcnt(0)
	v_mul_f32_e32 v130, v130, v131
	buffer_store_dword v130, off, s[0:3], 0 offset:176
.LBB115_66:
	s_or_b64 exec, exec, s[10:11]
	buffer_load_dword v130, off, s[0:3], 0 offset:172
	v_cmp_lt_u32_e64 s[6:7], 43, v0
	s_waitcnt vmcnt(0)
	ds_write_b32 v106, v130
	s_waitcnt lgkmcnt(0)
	; wave barrier
	s_waitcnt lgkmcnt(0)
	s_and_saveexec_b64 s[10:11], s[6:7]
	s_cbranch_execz .LBB115_76
; %bb.67:
	s_andn2_b64 vcc, exec, s[8:9]
	s_cbranch_vccnz .LBB115_69
; %bb.68:
	buffer_load_dword v130, v107, s[0:3], 0 offen
	ds_read_b32 v131, v106
	s_waitcnt vmcnt(0) lgkmcnt(0)
	v_mul_f32_e32 v130, v130, v131
	s_cbranch_execz .LBB115_70
	s_branch .LBB115_71
.LBB115_69:
                                        ; implicit-def: $vgpr130
.LBB115_70:
	ds_read_b32 v130, v106
.LBB115_71:
	s_and_saveexec_b64 s[12:13], s[4:5]
	s_cbranch_execz .LBB115_75
; %bb.72:
	v_subrev_u32_e32 v131, 44, v0
	s_movk_i32 s14, 0x180
	s_mov_b64 s[4:5], 0
.LBB115_73:                             ; =>This Inner Loop Header: Depth=1
	buffer_load_dword v132, v129, s[0:3], 0 offen
	v_mov_b32_e32 v133, s14
	ds_read_b32 v133, v133
	v_add_u32_e32 v131, -1, v131
	s_add_i32 s14, s14, 4
	v_cmp_eq_u32_e32 vcc, 0, v131
	v_add_u32_e32 v129, 4, v129
	s_or_b64 s[4:5], vcc, s[4:5]
	s_waitcnt vmcnt(0) lgkmcnt(0)
	v_fmac_f32_e32 v130, v132, v133
	s_andn2_b64 exec, exec, s[4:5]
	s_cbranch_execnz .LBB115_73
; %bb.74:
	s_or_b64 exec, exec, s[4:5]
.LBB115_75:
	s_or_b64 exec, exec, s[12:13]
	v_mov_b32_e32 v129, 0
	ds_read_b32 v129, v129 offset:172
	s_waitcnt lgkmcnt(0)
	v_mul_f32_e32 v129, v130, v129
	buffer_store_dword v129, off, s[0:3], 0 offset:172
.LBB115_76:
	s_or_b64 exec, exec, s[10:11]
	buffer_load_dword v129, off, s[0:3], 0 offset:168
	v_cmp_lt_u32_e64 s[4:5], 42, v0
	s_waitcnt vmcnt(0)
	ds_write_b32 v106, v129
	s_waitcnt lgkmcnt(0)
	; wave barrier
	s_waitcnt lgkmcnt(0)
	s_and_saveexec_b64 s[10:11], s[4:5]
	s_cbranch_execz .LBB115_86
; %bb.77:
	s_andn2_b64 vcc, exec, s[8:9]
	s_cbranch_vccnz .LBB115_79
; %bb.78:
	buffer_load_dword v129, v107, s[0:3], 0 offen
	ds_read_b32 v130, v106
	s_waitcnt vmcnt(0) lgkmcnt(0)
	v_mul_f32_e32 v129, v129, v130
	s_cbranch_execz .LBB115_80
	s_branch .LBB115_81
.LBB115_79:
                                        ; implicit-def: $vgpr129
.LBB115_80:
	ds_read_b32 v129, v106
.LBB115_81:
	s_and_saveexec_b64 s[12:13], s[6:7]
	s_cbranch_execz .LBB115_85
; %bb.82:
	v_mov_b32_e32 v130, 0
	v_add_u32_e32 v130, 0xac, v130
	v_subrev_u32_e32 v131, 43, v0
	s_movk_i32 s14, 0x17c
	s_mov_b64 s[6:7], 0
.LBB115_83:                             ; =>This Inner Loop Header: Depth=1
	buffer_load_dword v132, v130, s[0:3], 0 offen
	v_mov_b32_e32 v133, s14
	ds_read_b32 v133, v133
	v_add_u32_e32 v131, -1, v131
	s_add_i32 s14, s14, 4
	v_cmp_eq_u32_e32 vcc, 0, v131
	v_add_u32_e32 v130, 4, v130
	s_or_b64 s[6:7], vcc, s[6:7]
	s_waitcnt vmcnt(0) lgkmcnt(0)
	v_fmac_f32_e32 v129, v132, v133
	s_andn2_b64 exec, exec, s[6:7]
	s_cbranch_execnz .LBB115_83
; %bb.84:
	s_or_b64 exec, exec, s[6:7]
.LBB115_85:
	s_or_b64 exec, exec, s[12:13]
	v_mov_b32_e32 v130, 0
	ds_read_b32 v130, v130 offset:168
	s_waitcnt lgkmcnt(0)
	v_mul_f32_e32 v129, v129, v130
	buffer_store_dword v129, off, s[0:3], 0 offset:168
.LBB115_86:
	s_or_b64 exec, exec, s[10:11]
	buffer_load_dword v129, off, s[0:3], 0 offset:164
	v_cmp_lt_u32_e64 s[6:7], 41, v0
	s_waitcnt vmcnt(0)
	ds_write_b32 v106, v129
	s_waitcnt lgkmcnt(0)
	; wave barrier
	s_waitcnt lgkmcnt(0)
	s_and_saveexec_b64 s[10:11], s[6:7]
	s_cbranch_execz .LBB115_96
; %bb.87:
	s_andn2_b64 vcc, exec, s[8:9]
	s_cbranch_vccnz .LBB115_89
; %bb.88:
	buffer_load_dword v129, v107, s[0:3], 0 offen
	ds_read_b32 v130, v106
	s_waitcnt vmcnt(0) lgkmcnt(0)
	v_mul_f32_e32 v129, v129, v130
	s_cbranch_execz .LBB115_90
	s_branch .LBB115_91
.LBB115_89:
                                        ; implicit-def: $vgpr129
.LBB115_90:
	ds_read_b32 v129, v106
.LBB115_91:
	s_and_saveexec_b64 s[12:13], s[4:5]
	s_cbranch_execz .LBB115_95
; %bb.92:
	v_subrev_u32_e32 v130, 42, v0
	s_movk_i32 s14, 0x178
	s_mov_b64 s[4:5], 0
.LBB115_93:                             ; =>This Inner Loop Header: Depth=1
	buffer_load_dword v131, v128, s[0:3], 0 offen
	v_mov_b32_e32 v132, s14
	ds_read_b32 v132, v132
	v_add_u32_e32 v130, -1, v130
	s_add_i32 s14, s14, 4
	v_cmp_eq_u32_e32 vcc, 0, v130
	v_add_u32_e32 v128, 4, v128
	s_or_b64 s[4:5], vcc, s[4:5]
	s_waitcnt vmcnt(0) lgkmcnt(0)
	v_fmac_f32_e32 v129, v131, v132
	s_andn2_b64 exec, exec, s[4:5]
	s_cbranch_execnz .LBB115_93
; %bb.94:
	s_or_b64 exec, exec, s[4:5]
.LBB115_95:
	s_or_b64 exec, exec, s[12:13]
	v_mov_b32_e32 v128, 0
	ds_read_b32 v128, v128 offset:164
	s_waitcnt lgkmcnt(0)
	v_mul_f32_e32 v128, v129, v128
	buffer_store_dword v128, off, s[0:3], 0 offset:164
.LBB115_96:
	s_or_b64 exec, exec, s[10:11]
	buffer_load_dword v128, off, s[0:3], 0 offset:160
	v_cmp_lt_u32_e64 s[4:5], 40, v0
	s_waitcnt vmcnt(0)
	ds_write_b32 v106, v128
	s_waitcnt lgkmcnt(0)
	; wave barrier
	s_waitcnt lgkmcnt(0)
	s_and_saveexec_b64 s[10:11], s[4:5]
	s_cbranch_execz .LBB115_106
; %bb.97:
	s_andn2_b64 vcc, exec, s[8:9]
	s_cbranch_vccnz .LBB115_99
; %bb.98:
	buffer_load_dword v128, v107, s[0:3], 0 offen
	ds_read_b32 v129, v106
	s_waitcnt vmcnt(0) lgkmcnt(0)
	v_mul_f32_e32 v128, v128, v129
	s_cbranch_execz .LBB115_100
	s_branch .LBB115_101
.LBB115_99:
                                        ; implicit-def: $vgpr128
.LBB115_100:
	ds_read_b32 v128, v106
.LBB115_101:
	s_and_saveexec_b64 s[12:13], s[6:7]
	s_cbranch_execz .LBB115_105
; %bb.102:
	v_mov_b32_e32 v129, 0
	v_add_u32_e32 v129, 0xa4, v129
	v_subrev_u32_e32 v130, 41, v0
	s_movk_i32 s14, 0x174
	s_mov_b64 s[6:7], 0
.LBB115_103:                            ; =>This Inner Loop Header: Depth=1
	buffer_load_dword v131, v129, s[0:3], 0 offen
	v_mov_b32_e32 v132, s14
	ds_read_b32 v132, v132
	v_add_u32_e32 v130, -1, v130
	s_add_i32 s14, s14, 4
	v_cmp_eq_u32_e32 vcc, 0, v130
	v_add_u32_e32 v129, 4, v129
	s_or_b64 s[6:7], vcc, s[6:7]
	s_waitcnt vmcnt(0) lgkmcnt(0)
	v_fmac_f32_e32 v128, v131, v132
	s_andn2_b64 exec, exec, s[6:7]
	s_cbranch_execnz .LBB115_103
; %bb.104:
	s_or_b64 exec, exec, s[6:7]
.LBB115_105:
	s_or_b64 exec, exec, s[12:13]
	v_mov_b32_e32 v129, 0
	ds_read_b32 v129, v129 offset:160
	s_waitcnt lgkmcnt(0)
	v_mul_f32_e32 v128, v128, v129
	buffer_store_dword v128, off, s[0:3], 0 offset:160
.LBB115_106:
	s_or_b64 exec, exec, s[10:11]
	buffer_load_dword v128, off, s[0:3], 0 offset:156
	v_cmp_lt_u32_e64 s[6:7], 39, v0
	s_waitcnt vmcnt(0)
	ds_write_b32 v106, v128
	s_waitcnt lgkmcnt(0)
	; wave barrier
	s_waitcnt lgkmcnt(0)
	s_and_saveexec_b64 s[10:11], s[6:7]
	s_cbranch_execz .LBB115_116
; %bb.107:
	s_andn2_b64 vcc, exec, s[8:9]
	s_cbranch_vccnz .LBB115_109
; %bb.108:
	buffer_load_dword v128, v107, s[0:3], 0 offen
	ds_read_b32 v129, v106
	s_waitcnt vmcnt(0) lgkmcnt(0)
	v_mul_f32_e32 v128, v128, v129
	s_cbranch_execz .LBB115_110
	s_branch .LBB115_111
.LBB115_109:
                                        ; implicit-def: $vgpr128
.LBB115_110:
	ds_read_b32 v128, v106
.LBB115_111:
	s_and_saveexec_b64 s[12:13], s[4:5]
	s_cbranch_execz .LBB115_115
; %bb.112:
	v_subrev_u32_e32 v129, 40, v0
	s_movk_i32 s14, 0x170
	s_mov_b64 s[4:5], 0
.LBB115_113:                            ; =>This Inner Loop Header: Depth=1
	buffer_load_dword v130, v127, s[0:3], 0 offen
	v_mov_b32_e32 v131, s14
	ds_read_b32 v131, v131
	v_add_u32_e32 v129, -1, v129
	s_add_i32 s14, s14, 4
	v_cmp_eq_u32_e32 vcc, 0, v129
	v_add_u32_e32 v127, 4, v127
	s_or_b64 s[4:5], vcc, s[4:5]
	s_waitcnt vmcnt(0) lgkmcnt(0)
	v_fmac_f32_e32 v128, v130, v131
	s_andn2_b64 exec, exec, s[4:5]
	s_cbranch_execnz .LBB115_113
; %bb.114:
	s_or_b64 exec, exec, s[4:5]
.LBB115_115:
	s_or_b64 exec, exec, s[12:13]
	v_mov_b32_e32 v127, 0
	ds_read_b32 v127, v127 offset:156
	s_waitcnt lgkmcnt(0)
	v_mul_f32_e32 v127, v128, v127
	buffer_store_dword v127, off, s[0:3], 0 offset:156
.LBB115_116:
	s_or_b64 exec, exec, s[10:11]
	buffer_load_dword v127, off, s[0:3], 0 offset:152
	v_cmp_lt_u32_e64 s[4:5], 38, v0
	s_waitcnt vmcnt(0)
	ds_write_b32 v106, v127
	s_waitcnt lgkmcnt(0)
	; wave barrier
	s_waitcnt lgkmcnt(0)
	s_and_saveexec_b64 s[10:11], s[4:5]
	s_cbranch_execz .LBB115_126
; %bb.117:
	s_andn2_b64 vcc, exec, s[8:9]
	s_cbranch_vccnz .LBB115_119
; %bb.118:
	buffer_load_dword v127, v107, s[0:3], 0 offen
	ds_read_b32 v128, v106
	s_waitcnt vmcnt(0) lgkmcnt(0)
	v_mul_f32_e32 v127, v127, v128
	s_cbranch_execz .LBB115_120
	s_branch .LBB115_121
.LBB115_119:
                                        ; implicit-def: $vgpr127
.LBB115_120:
	ds_read_b32 v127, v106
.LBB115_121:
	s_and_saveexec_b64 s[12:13], s[6:7]
	s_cbranch_execz .LBB115_125
; %bb.122:
	v_mov_b32_e32 v128, 0
	v_add_u32_e32 v128, 0x9c, v128
	v_subrev_u32_e32 v129, 39, v0
	s_movk_i32 s14, 0x16c
	s_mov_b64 s[6:7], 0
.LBB115_123:                            ; =>This Inner Loop Header: Depth=1
	buffer_load_dword v130, v128, s[0:3], 0 offen
	v_mov_b32_e32 v131, s14
	ds_read_b32 v131, v131
	v_add_u32_e32 v129, -1, v129
	s_add_i32 s14, s14, 4
	v_cmp_eq_u32_e32 vcc, 0, v129
	v_add_u32_e32 v128, 4, v128
	s_or_b64 s[6:7], vcc, s[6:7]
	s_waitcnt vmcnt(0) lgkmcnt(0)
	v_fmac_f32_e32 v127, v130, v131
	s_andn2_b64 exec, exec, s[6:7]
	s_cbranch_execnz .LBB115_123
; %bb.124:
	s_or_b64 exec, exec, s[6:7]
.LBB115_125:
	s_or_b64 exec, exec, s[12:13]
	v_mov_b32_e32 v128, 0
	ds_read_b32 v128, v128 offset:152
	s_waitcnt lgkmcnt(0)
	v_mul_f32_e32 v127, v127, v128
	buffer_store_dword v127, off, s[0:3], 0 offset:152
.LBB115_126:
	s_or_b64 exec, exec, s[10:11]
	buffer_load_dword v127, off, s[0:3], 0 offset:148
	v_cmp_lt_u32_e64 s[6:7], 37, v0
	s_waitcnt vmcnt(0)
	ds_write_b32 v106, v127
	s_waitcnt lgkmcnt(0)
	; wave barrier
	s_waitcnt lgkmcnt(0)
	s_and_saveexec_b64 s[10:11], s[6:7]
	s_cbranch_execz .LBB115_136
; %bb.127:
	s_andn2_b64 vcc, exec, s[8:9]
	s_cbranch_vccnz .LBB115_129
; %bb.128:
	buffer_load_dword v127, v107, s[0:3], 0 offen
	ds_read_b32 v128, v106
	s_waitcnt vmcnt(0) lgkmcnt(0)
	v_mul_f32_e32 v127, v127, v128
	s_cbranch_execz .LBB115_130
	s_branch .LBB115_131
.LBB115_129:
                                        ; implicit-def: $vgpr127
.LBB115_130:
	ds_read_b32 v127, v106
.LBB115_131:
	s_and_saveexec_b64 s[12:13], s[4:5]
	s_cbranch_execz .LBB115_135
; %bb.132:
	v_subrev_u32_e32 v128, 38, v0
	s_movk_i32 s14, 0x168
	s_mov_b64 s[4:5], 0
.LBB115_133:                            ; =>This Inner Loop Header: Depth=1
	buffer_load_dword v129, v126, s[0:3], 0 offen
	v_mov_b32_e32 v130, s14
	ds_read_b32 v130, v130
	v_add_u32_e32 v128, -1, v128
	s_add_i32 s14, s14, 4
	v_cmp_eq_u32_e32 vcc, 0, v128
	v_add_u32_e32 v126, 4, v126
	s_or_b64 s[4:5], vcc, s[4:5]
	s_waitcnt vmcnt(0) lgkmcnt(0)
	v_fmac_f32_e32 v127, v129, v130
	s_andn2_b64 exec, exec, s[4:5]
	s_cbranch_execnz .LBB115_133
; %bb.134:
	s_or_b64 exec, exec, s[4:5]
.LBB115_135:
	s_or_b64 exec, exec, s[12:13]
	v_mov_b32_e32 v126, 0
	ds_read_b32 v126, v126 offset:148
	s_waitcnt lgkmcnt(0)
	v_mul_f32_e32 v126, v127, v126
	buffer_store_dword v126, off, s[0:3], 0 offset:148
.LBB115_136:
	s_or_b64 exec, exec, s[10:11]
	buffer_load_dword v126, off, s[0:3], 0 offset:144
	v_cmp_lt_u32_e64 s[4:5], 36, v0
	s_waitcnt vmcnt(0)
	ds_write_b32 v106, v126
	s_waitcnt lgkmcnt(0)
	; wave barrier
	s_waitcnt lgkmcnt(0)
	s_and_saveexec_b64 s[10:11], s[4:5]
	s_cbranch_execz .LBB115_146
; %bb.137:
	s_andn2_b64 vcc, exec, s[8:9]
	s_cbranch_vccnz .LBB115_139
; %bb.138:
	buffer_load_dword v126, v107, s[0:3], 0 offen
	ds_read_b32 v127, v106
	s_waitcnt vmcnt(0) lgkmcnt(0)
	v_mul_f32_e32 v126, v126, v127
	s_cbranch_execz .LBB115_140
	s_branch .LBB115_141
.LBB115_139:
                                        ; implicit-def: $vgpr126
.LBB115_140:
	ds_read_b32 v126, v106
.LBB115_141:
	s_and_saveexec_b64 s[12:13], s[6:7]
	s_cbranch_execz .LBB115_145
; %bb.142:
	v_mov_b32_e32 v127, 0
	v_add_u32_e32 v127, 0x94, v127
	v_subrev_u32_e32 v128, 37, v0
	s_movk_i32 s14, 0x164
	s_mov_b64 s[6:7], 0
.LBB115_143:                            ; =>This Inner Loop Header: Depth=1
	buffer_load_dword v129, v127, s[0:3], 0 offen
	v_mov_b32_e32 v130, s14
	ds_read_b32 v130, v130
	v_add_u32_e32 v128, -1, v128
	s_add_i32 s14, s14, 4
	v_cmp_eq_u32_e32 vcc, 0, v128
	v_add_u32_e32 v127, 4, v127
	s_or_b64 s[6:7], vcc, s[6:7]
	s_waitcnt vmcnt(0) lgkmcnt(0)
	v_fmac_f32_e32 v126, v129, v130
	s_andn2_b64 exec, exec, s[6:7]
	s_cbranch_execnz .LBB115_143
; %bb.144:
	s_or_b64 exec, exec, s[6:7]
.LBB115_145:
	s_or_b64 exec, exec, s[12:13]
	v_mov_b32_e32 v127, 0
	ds_read_b32 v127, v127 offset:144
	s_waitcnt lgkmcnt(0)
	v_mul_f32_e32 v126, v126, v127
	buffer_store_dword v126, off, s[0:3], 0 offset:144
.LBB115_146:
	s_or_b64 exec, exec, s[10:11]
	buffer_load_dword v126, off, s[0:3], 0 offset:140
	v_cmp_lt_u32_e64 s[6:7], 35, v0
	s_waitcnt vmcnt(0)
	ds_write_b32 v106, v126
	s_waitcnt lgkmcnt(0)
	; wave barrier
	s_waitcnt lgkmcnt(0)
	s_and_saveexec_b64 s[10:11], s[6:7]
	s_cbranch_execz .LBB115_156
; %bb.147:
	s_andn2_b64 vcc, exec, s[8:9]
	s_cbranch_vccnz .LBB115_149
; %bb.148:
	buffer_load_dword v126, v107, s[0:3], 0 offen
	ds_read_b32 v127, v106
	s_waitcnt vmcnt(0) lgkmcnt(0)
	v_mul_f32_e32 v126, v126, v127
	s_cbranch_execz .LBB115_150
	s_branch .LBB115_151
.LBB115_149:
                                        ; implicit-def: $vgpr126
.LBB115_150:
	ds_read_b32 v126, v106
.LBB115_151:
	s_and_saveexec_b64 s[12:13], s[4:5]
	s_cbranch_execz .LBB115_155
; %bb.152:
	v_subrev_u32_e32 v127, 36, v0
	s_movk_i32 s14, 0x160
	s_mov_b64 s[4:5], 0
.LBB115_153:                            ; =>This Inner Loop Header: Depth=1
	buffer_load_dword v128, v125, s[0:3], 0 offen
	v_mov_b32_e32 v129, s14
	ds_read_b32 v129, v129
	v_add_u32_e32 v127, -1, v127
	s_add_i32 s14, s14, 4
	v_cmp_eq_u32_e32 vcc, 0, v127
	v_add_u32_e32 v125, 4, v125
	s_or_b64 s[4:5], vcc, s[4:5]
	s_waitcnt vmcnt(0) lgkmcnt(0)
	v_fmac_f32_e32 v126, v128, v129
	s_andn2_b64 exec, exec, s[4:5]
	s_cbranch_execnz .LBB115_153
; %bb.154:
	s_or_b64 exec, exec, s[4:5]
.LBB115_155:
	s_or_b64 exec, exec, s[12:13]
	v_mov_b32_e32 v125, 0
	ds_read_b32 v125, v125 offset:140
	s_waitcnt lgkmcnt(0)
	v_mul_f32_e32 v125, v126, v125
	buffer_store_dword v125, off, s[0:3], 0 offset:140
.LBB115_156:
	s_or_b64 exec, exec, s[10:11]
	buffer_load_dword v125, off, s[0:3], 0 offset:136
	v_cmp_lt_u32_e64 s[4:5], 34, v0
	s_waitcnt vmcnt(0)
	ds_write_b32 v106, v125
	s_waitcnt lgkmcnt(0)
	; wave barrier
	s_waitcnt lgkmcnt(0)
	s_and_saveexec_b64 s[10:11], s[4:5]
	s_cbranch_execz .LBB115_166
; %bb.157:
	s_andn2_b64 vcc, exec, s[8:9]
	s_cbranch_vccnz .LBB115_159
; %bb.158:
	buffer_load_dword v125, v107, s[0:3], 0 offen
	ds_read_b32 v126, v106
	s_waitcnt vmcnt(0) lgkmcnt(0)
	v_mul_f32_e32 v125, v125, v126
	s_cbranch_execz .LBB115_160
	s_branch .LBB115_161
.LBB115_159:
                                        ; implicit-def: $vgpr125
.LBB115_160:
	ds_read_b32 v125, v106
.LBB115_161:
	s_and_saveexec_b64 s[12:13], s[6:7]
	s_cbranch_execz .LBB115_165
; %bb.162:
	v_mov_b32_e32 v126, 0
	v_add_u32_e32 v126, 0x8c, v126
	v_subrev_u32_e32 v127, 35, v0
	s_movk_i32 s14, 0x15c
	s_mov_b64 s[6:7], 0
.LBB115_163:                            ; =>This Inner Loop Header: Depth=1
	buffer_load_dword v128, v126, s[0:3], 0 offen
	v_mov_b32_e32 v129, s14
	ds_read_b32 v129, v129
	v_add_u32_e32 v127, -1, v127
	s_add_i32 s14, s14, 4
	v_cmp_eq_u32_e32 vcc, 0, v127
	v_add_u32_e32 v126, 4, v126
	s_or_b64 s[6:7], vcc, s[6:7]
	s_waitcnt vmcnt(0) lgkmcnt(0)
	v_fmac_f32_e32 v125, v128, v129
	s_andn2_b64 exec, exec, s[6:7]
	s_cbranch_execnz .LBB115_163
; %bb.164:
	s_or_b64 exec, exec, s[6:7]
.LBB115_165:
	s_or_b64 exec, exec, s[12:13]
	v_mov_b32_e32 v126, 0
	ds_read_b32 v126, v126 offset:136
	s_waitcnt lgkmcnt(0)
	v_mul_f32_e32 v125, v125, v126
	buffer_store_dword v125, off, s[0:3], 0 offset:136
.LBB115_166:
	s_or_b64 exec, exec, s[10:11]
	buffer_load_dword v125, off, s[0:3], 0 offset:132
	v_cmp_lt_u32_e64 s[6:7], 33, v0
	s_waitcnt vmcnt(0)
	ds_write_b32 v106, v125
	s_waitcnt lgkmcnt(0)
	; wave barrier
	s_waitcnt lgkmcnt(0)
	s_and_saveexec_b64 s[10:11], s[6:7]
	s_cbranch_execz .LBB115_176
; %bb.167:
	s_andn2_b64 vcc, exec, s[8:9]
	s_cbranch_vccnz .LBB115_169
; %bb.168:
	buffer_load_dword v125, v107, s[0:3], 0 offen
	ds_read_b32 v126, v106
	s_waitcnt vmcnt(0) lgkmcnt(0)
	v_mul_f32_e32 v125, v125, v126
	s_cbranch_execz .LBB115_170
	s_branch .LBB115_171
.LBB115_169:
                                        ; implicit-def: $vgpr125
.LBB115_170:
	ds_read_b32 v125, v106
.LBB115_171:
	s_and_saveexec_b64 s[12:13], s[4:5]
	s_cbranch_execz .LBB115_175
; %bb.172:
	v_subrev_u32_e32 v126, 34, v0
	s_movk_i32 s14, 0x158
	s_mov_b64 s[4:5], 0
.LBB115_173:                            ; =>This Inner Loop Header: Depth=1
	buffer_load_dword v127, v124, s[0:3], 0 offen
	v_mov_b32_e32 v128, s14
	ds_read_b32 v128, v128
	v_add_u32_e32 v126, -1, v126
	s_add_i32 s14, s14, 4
	v_cmp_eq_u32_e32 vcc, 0, v126
	v_add_u32_e32 v124, 4, v124
	s_or_b64 s[4:5], vcc, s[4:5]
	s_waitcnt vmcnt(0) lgkmcnt(0)
	v_fmac_f32_e32 v125, v127, v128
	s_andn2_b64 exec, exec, s[4:5]
	s_cbranch_execnz .LBB115_173
; %bb.174:
	s_or_b64 exec, exec, s[4:5]
.LBB115_175:
	s_or_b64 exec, exec, s[12:13]
	v_mov_b32_e32 v124, 0
	ds_read_b32 v124, v124 offset:132
	s_waitcnt lgkmcnt(0)
	v_mul_f32_e32 v124, v125, v124
	buffer_store_dword v124, off, s[0:3], 0 offset:132
.LBB115_176:
	s_or_b64 exec, exec, s[10:11]
	buffer_load_dword v124, off, s[0:3], 0 offset:128
	v_cmp_lt_u32_e64 s[4:5], 32, v0
	s_waitcnt vmcnt(0)
	ds_write_b32 v106, v124
	s_waitcnt lgkmcnt(0)
	; wave barrier
	s_waitcnt lgkmcnt(0)
	s_and_saveexec_b64 s[10:11], s[4:5]
	s_cbranch_execz .LBB115_186
; %bb.177:
	s_andn2_b64 vcc, exec, s[8:9]
	s_cbranch_vccnz .LBB115_179
; %bb.178:
	buffer_load_dword v124, v107, s[0:3], 0 offen
	ds_read_b32 v125, v106
	s_waitcnt vmcnt(0) lgkmcnt(0)
	v_mul_f32_e32 v124, v124, v125
	s_cbranch_execz .LBB115_180
	s_branch .LBB115_181
.LBB115_179:
                                        ; implicit-def: $vgpr124
.LBB115_180:
	ds_read_b32 v124, v106
.LBB115_181:
	s_and_saveexec_b64 s[12:13], s[6:7]
	s_cbranch_execz .LBB115_185
; %bb.182:
	v_mov_b32_e32 v125, 0
	v_add_u32_e32 v125, 0x84, v125
	v_subrev_u32_e32 v126, 33, v0
	s_movk_i32 s14, 0x154
	s_mov_b64 s[6:7], 0
.LBB115_183:                            ; =>This Inner Loop Header: Depth=1
	buffer_load_dword v127, v125, s[0:3], 0 offen
	v_mov_b32_e32 v128, s14
	ds_read_b32 v128, v128
	v_add_u32_e32 v126, -1, v126
	s_add_i32 s14, s14, 4
	v_cmp_eq_u32_e32 vcc, 0, v126
	v_add_u32_e32 v125, 4, v125
	s_or_b64 s[6:7], vcc, s[6:7]
	s_waitcnt vmcnt(0) lgkmcnt(0)
	v_fmac_f32_e32 v124, v127, v128
	s_andn2_b64 exec, exec, s[6:7]
	s_cbranch_execnz .LBB115_183
; %bb.184:
	s_or_b64 exec, exec, s[6:7]
.LBB115_185:
	s_or_b64 exec, exec, s[12:13]
	v_mov_b32_e32 v125, 0
	ds_read_b32 v125, v125 offset:128
	s_waitcnt lgkmcnt(0)
	v_mul_f32_e32 v124, v124, v125
	buffer_store_dword v124, off, s[0:3], 0 offset:128
.LBB115_186:
	s_or_b64 exec, exec, s[10:11]
	buffer_load_dword v124, off, s[0:3], 0 offset:124
	v_cmp_lt_u32_e64 s[6:7], 31, v0
	s_waitcnt vmcnt(0)
	ds_write_b32 v106, v124
	s_waitcnt lgkmcnt(0)
	; wave barrier
	s_waitcnt lgkmcnt(0)
	s_and_saveexec_b64 s[10:11], s[6:7]
	s_cbranch_execz .LBB115_196
; %bb.187:
	s_andn2_b64 vcc, exec, s[8:9]
	s_cbranch_vccnz .LBB115_189
; %bb.188:
	buffer_load_dword v124, v107, s[0:3], 0 offen
	ds_read_b32 v125, v106
	s_waitcnt vmcnt(0) lgkmcnt(0)
	v_mul_f32_e32 v124, v124, v125
	s_cbranch_execz .LBB115_190
	s_branch .LBB115_191
.LBB115_189:
                                        ; implicit-def: $vgpr124
.LBB115_190:
	ds_read_b32 v124, v106
.LBB115_191:
	s_and_saveexec_b64 s[12:13], s[4:5]
	s_cbranch_execz .LBB115_195
; %bb.192:
	v_subrev_u32_e32 v125, 32, v0
	s_movk_i32 s14, 0x150
	s_mov_b64 s[4:5], 0
.LBB115_193:                            ; =>This Inner Loop Header: Depth=1
	buffer_load_dword v126, v123, s[0:3], 0 offen
	v_mov_b32_e32 v127, s14
	ds_read_b32 v127, v127
	v_add_u32_e32 v125, -1, v125
	s_add_i32 s14, s14, 4
	v_cmp_eq_u32_e32 vcc, 0, v125
	v_add_u32_e32 v123, 4, v123
	s_or_b64 s[4:5], vcc, s[4:5]
	s_waitcnt vmcnt(0) lgkmcnt(0)
	v_fmac_f32_e32 v124, v126, v127
	s_andn2_b64 exec, exec, s[4:5]
	s_cbranch_execnz .LBB115_193
; %bb.194:
	s_or_b64 exec, exec, s[4:5]
.LBB115_195:
	s_or_b64 exec, exec, s[12:13]
	v_mov_b32_e32 v123, 0
	ds_read_b32 v123, v123 offset:124
	s_waitcnt lgkmcnt(0)
	v_mul_f32_e32 v123, v124, v123
	buffer_store_dword v123, off, s[0:3], 0 offset:124
.LBB115_196:
	s_or_b64 exec, exec, s[10:11]
	buffer_load_dword v123, off, s[0:3], 0 offset:120
	v_cmp_lt_u32_e64 s[4:5], 30, v0
	s_waitcnt vmcnt(0)
	ds_write_b32 v106, v123
	s_waitcnt lgkmcnt(0)
	; wave barrier
	s_waitcnt lgkmcnt(0)
	s_and_saveexec_b64 s[10:11], s[4:5]
	s_cbranch_execz .LBB115_206
; %bb.197:
	s_andn2_b64 vcc, exec, s[8:9]
	s_cbranch_vccnz .LBB115_199
; %bb.198:
	buffer_load_dword v123, v107, s[0:3], 0 offen
	ds_read_b32 v124, v106
	s_waitcnt vmcnt(0) lgkmcnt(0)
	v_mul_f32_e32 v123, v123, v124
	s_cbranch_execz .LBB115_200
	s_branch .LBB115_201
.LBB115_199:
                                        ; implicit-def: $vgpr123
.LBB115_200:
	ds_read_b32 v123, v106
.LBB115_201:
	s_and_saveexec_b64 s[12:13], s[6:7]
	s_cbranch_execz .LBB115_205
; %bb.202:
	v_mov_b32_e32 v124, 0
	v_add_u32_e32 v124, 0x7c, v124
	v_subrev_u32_e32 v125, 31, v0
	s_movk_i32 s14, 0x14c
	s_mov_b64 s[6:7], 0
.LBB115_203:                            ; =>This Inner Loop Header: Depth=1
	buffer_load_dword v126, v124, s[0:3], 0 offen
	v_mov_b32_e32 v127, s14
	ds_read_b32 v127, v127
	v_add_u32_e32 v125, -1, v125
	s_add_i32 s14, s14, 4
	v_cmp_eq_u32_e32 vcc, 0, v125
	v_add_u32_e32 v124, 4, v124
	s_or_b64 s[6:7], vcc, s[6:7]
	s_waitcnt vmcnt(0) lgkmcnt(0)
	v_fmac_f32_e32 v123, v126, v127
	s_andn2_b64 exec, exec, s[6:7]
	s_cbranch_execnz .LBB115_203
; %bb.204:
	s_or_b64 exec, exec, s[6:7]
.LBB115_205:
	s_or_b64 exec, exec, s[12:13]
	v_mov_b32_e32 v124, 0
	ds_read_b32 v124, v124 offset:120
	s_waitcnt lgkmcnt(0)
	v_mul_f32_e32 v123, v123, v124
	buffer_store_dword v123, off, s[0:3], 0 offset:120
.LBB115_206:
	s_or_b64 exec, exec, s[10:11]
	buffer_load_dword v123, off, s[0:3], 0 offset:116
	v_cmp_lt_u32_e64 s[6:7], 29, v0
	s_waitcnt vmcnt(0)
	ds_write_b32 v106, v123
	s_waitcnt lgkmcnt(0)
	; wave barrier
	s_waitcnt lgkmcnt(0)
	s_and_saveexec_b64 s[10:11], s[6:7]
	s_cbranch_execz .LBB115_216
; %bb.207:
	s_andn2_b64 vcc, exec, s[8:9]
	s_cbranch_vccnz .LBB115_209
; %bb.208:
	buffer_load_dword v123, v107, s[0:3], 0 offen
	ds_read_b32 v124, v106
	s_waitcnt vmcnt(0) lgkmcnt(0)
	v_mul_f32_e32 v123, v123, v124
	s_cbranch_execz .LBB115_210
	s_branch .LBB115_211
.LBB115_209:
                                        ; implicit-def: $vgpr123
.LBB115_210:
	ds_read_b32 v123, v106
.LBB115_211:
	s_and_saveexec_b64 s[12:13], s[4:5]
	s_cbranch_execz .LBB115_215
; %bb.212:
	v_subrev_u32_e32 v124, 30, v0
	s_movk_i32 s14, 0x148
	s_mov_b64 s[4:5], 0
.LBB115_213:                            ; =>This Inner Loop Header: Depth=1
	buffer_load_dword v125, v122, s[0:3], 0 offen
	v_mov_b32_e32 v126, s14
	ds_read_b32 v126, v126
	v_add_u32_e32 v124, -1, v124
	s_add_i32 s14, s14, 4
	v_cmp_eq_u32_e32 vcc, 0, v124
	v_add_u32_e32 v122, 4, v122
	s_or_b64 s[4:5], vcc, s[4:5]
	s_waitcnt vmcnt(0) lgkmcnt(0)
	v_fmac_f32_e32 v123, v125, v126
	s_andn2_b64 exec, exec, s[4:5]
	s_cbranch_execnz .LBB115_213
; %bb.214:
	s_or_b64 exec, exec, s[4:5]
.LBB115_215:
	s_or_b64 exec, exec, s[12:13]
	v_mov_b32_e32 v122, 0
	ds_read_b32 v122, v122 offset:116
	s_waitcnt lgkmcnt(0)
	v_mul_f32_e32 v122, v123, v122
	buffer_store_dword v122, off, s[0:3], 0 offset:116
.LBB115_216:
	s_or_b64 exec, exec, s[10:11]
	buffer_load_dword v122, off, s[0:3], 0 offset:112
	v_cmp_lt_u32_e64 s[4:5], 28, v0
	s_waitcnt vmcnt(0)
	ds_write_b32 v106, v122
	s_waitcnt lgkmcnt(0)
	; wave barrier
	s_waitcnt lgkmcnt(0)
	s_and_saveexec_b64 s[10:11], s[4:5]
	s_cbranch_execz .LBB115_226
; %bb.217:
	s_andn2_b64 vcc, exec, s[8:9]
	s_cbranch_vccnz .LBB115_219
; %bb.218:
	buffer_load_dword v122, v107, s[0:3], 0 offen
	ds_read_b32 v123, v106
	s_waitcnt vmcnt(0) lgkmcnt(0)
	v_mul_f32_e32 v122, v122, v123
	s_cbranch_execz .LBB115_220
	s_branch .LBB115_221
.LBB115_219:
                                        ; implicit-def: $vgpr122
.LBB115_220:
	ds_read_b32 v122, v106
.LBB115_221:
	s_and_saveexec_b64 s[12:13], s[6:7]
	s_cbranch_execz .LBB115_225
; %bb.222:
	v_mov_b32_e32 v123, 0
	v_add_u32_e32 v123, 0x74, v123
	v_subrev_u32_e32 v124, 29, v0
	s_movk_i32 s14, 0x144
	s_mov_b64 s[6:7], 0
.LBB115_223:                            ; =>This Inner Loop Header: Depth=1
	buffer_load_dword v125, v123, s[0:3], 0 offen
	v_mov_b32_e32 v126, s14
	ds_read_b32 v126, v126
	v_add_u32_e32 v124, -1, v124
	s_add_i32 s14, s14, 4
	v_cmp_eq_u32_e32 vcc, 0, v124
	v_add_u32_e32 v123, 4, v123
	s_or_b64 s[6:7], vcc, s[6:7]
	s_waitcnt vmcnt(0) lgkmcnt(0)
	v_fmac_f32_e32 v122, v125, v126
	s_andn2_b64 exec, exec, s[6:7]
	s_cbranch_execnz .LBB115_223
; %bb.224:
	s_or_b64 exec, exec, s[6:7]
.LBB115_225:
	s_or_b64 exec, exec, s[12:13]
	v_mov_b32_e32 v123, 0
	ds_read_b32 v123, v123 offset:112
	s_waitcnt lgkmcnt(0)
	v_mul_f32_e32 v122, v122, v123
	buffer_store_dword v122, off, s[0:3], 0 offset:112
.LBB115_226:
	s_or_b64 exec, exec, s[10:11]
	buffer_load_dword v122, off, s[0:3], 0 offset:108
	v_cmp_lt_u32_e64 s[6:7], 27, v0
	s_waitcnt vmcnt(0)
	ds_write_b32 v106, v122
	s_waitcnt lgkmcnt(0)
	; wave barrier
	s_waitcnt lgkmcnt(0)
	s_and_saveexec_b64 s[10:11], s[6:7]
	s_cbranch_execz .LBB115_236
; %bb.227:
	s_andn2_b64 vcc, exec, s[8:9]
	s_cbranch_vccnz .LBB115_229
; %bb.228:
	buffer_load_dword v122, v107, s[0:3], 0 offen
	ds_read_b32 v123, v106
	s_waitcnt vmcnt(0) lgkmcnt(0)
	v_mul_f32_e32 v122, v122, v123
	s_cbranch_execz .LBB115_230
	s_branch .LBB115_231
.LBB115_229:
                                        ; implicit-def: $vgpr122
.LBB115_230:
	ds_read_b32 v122, v106
.LBB115_231:
	s_and_saveexec_b64 s[12:13], s[4:5]
	s_cbranch_execz .LBB115_235
; %bb.232:
	v_subrev_u32_e32 v123, 28, v0
	s_movk_i32 s14, 0x140
	s_mov_b64 s[4:5], 0
.LBB115_233:                            ; =>This Inner Loop Header: Depth=1
	buffer_load_dword v124, v121, s[0:3], 0 offen
	v_mov_b32_e32 v125, s14
	ds_read_b32 v125, v125
	v_add_u32_e32 v123, -1, v123
	s_add_i32 s14, s14, 4
	v_cmp_eq_u32_e32 vcc, 0, v123
	v_add_u32_e32 v121, 4, v121
	s_or_b64 s[4:5], vcc, s[4:5]
	s_waitcnt vmcnt(0) lgkmcnt(0)
	v_fmac_f32_e32 v122, v124, v125
	s_andn2_b64 exec, exec, s[4:5]
	s_cbranch_execnz .LBB115_233
; %bb.234:
	s_or_b64 exec, exec, s[4:5]
.LBB115_235:
	s_or_b64 exec, exec, s[12:13]
	v_mov_b32_e32 v121, 0
	ds_read_b32 v121, v121 offset:108
	s_waitcnt lgkmcnt(0)
	v_mul_f32_e32 v121, v122, v121
	buffer_store_dword v121, off, s[0:3], 0 offset:108
.LBB115_236:
	s_or_b64 exec, exec, s[10:11]
	buffer_load_dword v121, off, s[0:3], 0 offset:104
	v_cmp_lt_u32_e64 s[4:5], 26, v0
	s_waitcnt vmcnt(0)
	ds_write_b32 v106, v121
	s_waitcnt lgkmcnt(0)
	; wave barrier
	s_waitcnt lgkmcnt(0)
	s_and_saveexec_b64 s[10:11], s[4:5]
	s_cbranch_execz .LBB115_246
; %bb.237:
	s_andn2_b64 vcc, exec, s[8:9]
	s_cbranch_vccnz .LBB115_239
; %bb.238:
	buffer_load_dword v121, v107, s[0:3], 0 offen
	ds_read_b32 v122, v106
	s_waitcnt vmcnt(0) lgkmcnt(0)
	v_mul_f32_e32 v121, v121, v122
	s_cbranch_execz .LBB115_240
	s_branch .LBB115_241
.LBB115_239:
                                        ; implicit-def: $vgpr121
.LBB115_240:
	ds_read_b32 v121, v106
.LBB115_241:
	s_and_saveexec_b64 s[12:13], s[6:7]
	s_cbranch_execz .LBB115_245
; %bb.242:
	v_mov_b32_e32 v122, 0
	v_add_u32_e32 v122, 0x6c, v122
	v_subrev_u32_e32 v123, 27, v0
	s_movk_i32 s14, 0x13c
	s_mov_b64 s[6:7], 0
.LBB115_243:                            ; =>This Inner Loop Header: Depth=1
	buffer_load_dword v124, v122, s[0:3], 0 offen
	v_mov_b32_e32 v125, s14
	ds_read_b32 v125, v125
	v_add_u32_e32 v123, -1, v123
	s_add_i32 s14, s14, 4
	v_cmp_eq_u32_e32 vcc, 0, v123
	v_add_u32_e32 v122, 4, v122
	s_or_b64 s[6:7], vcc, s[6:7]
	s_waitcnt vmcnt(0) lgkmcnt(0)
	v_fmac_f32_e32 v121, v124, v125
	s_andn2_b64 exec, exec, s[6:7]
	s_cbranch_execnz .LBB115_243
; %bb.244:
	s_or_b64 exec, exec, s[6:7]
.LBB115_245:
	s_or_b64 exec, exec, s[12:13]
	v_mov_b32_e32 v122, 0
	ds_read_b32 v122, v122 offset:104
	s_waitcnt lgkmcnt(0)
	v_mul_f32_e32 v121, v121, v122
	buffer_store_dword v121, off, s[0:3], 0 offset:104
.LBB115_246:
	s_or_b64 exec, exec, s[10:11]
	buffer_load_dword v121, off, s[0:3], 0 offset:100
	v_cmp_lt_u32_e64 s[6:7], 25, v0
	s_waitcnt vmcnt(0)
	ds_write_b32 v106, v121
	s_waitcnt lgkmcnt(0)
	; wave barrier
	s_waitcnt lgkmcnt(0)
	s_and_saveexec_b64 s[10:11], s[6:7]
	s_cbranch_execz .LBB115_256
; %bb.247:
	s_andn2_b64 vcc, exec, s[8:9]
	s_cbranch_vccnz .LBB115_249
; %bb.248:
	buffer_load_dword v121, v107, s[0:3], 0 offen
	ds_read_b32 v122, v106
	s_waitcnt vmcnt(0) lgkmcnt(0)
	v_mul_f32_e32 v121, v121, v122
	s_cbranch_execz .LBB115_250
	s_branch .LBB115_251
.LBB115_249:
                                        ; implicit-def: $vgpr121
.LBB115_250:
	ds_read_b32 v121, v106
.LBB115_251:
	s_and_saveexec_b64 s[12:13], s[4:5]
	s_cbranch_execz .LBB115_255
; %bb.252:
	v_subrev_u32_e32 v122, 26, v0
	s_movk_i32 s14, 0x138
	s_mov_b64 s[4:5], 0
.LBB115_253:                            ; =>This Inner Loop Header: Depth=1
	buffer_load_dword v123, v120, s[0:3], 0 offen
	v_mov_b32_e32 v124, s14
	ds_read_b32 v124, v124
	v_add_u32_e32 v122, -1, v122
	s_add_i32 s14, s14, 4
	v_cmp_eq_u32_e32 vcc, 0, v122
	v_add_u32_e32 v120, 4, v120
	s_or_b64 s[4:5], vcc, s[4:5]
	s_waitcnt vmcnt(0) lgkmcnt(0)
	v_fmac_f32_e32 v121, v123, v124
	s_andn2_b64 exec, exec, s[4:5]
	s_cbranch_execnz .LBB115_253
; %bb.254:
	s_or_b64 exec, exec, s[4:5]
.LBB115_255:
	s_or_b64 exec, exec, s[12:13]
	v_mov_b32_e32 v120, 0
	ds_read_b32 v120, v120 offset:100
	s_waitcnt lgkmcnt(0)
	v_mul_f32_e32 v120, v121, v120
	buffer_store_dword v120, off, s[0:3], 0 offset:100
.LBB115_256:
	s_or_b64 exec, exec, s[10:11]
	buffer_load_dword v120, off, s[0:3], 0 offset:96
	v_cmp_lt_u32_e64 s[4:5], 24, v0
	s_waitcnt vmcnt(0)
	ds_write_b32 v106, v120
	s_waitcnt lgkmcnt(0)
	; wave barrier
	s_waitcnt lgkmcnt(0)
	s_and_saveexec_b64 s[10:11], s[4:5]
	s_cbranch_execz .LBB115_266
; %bb.257:
	s_andn2_b64 vcc, exec, s[8:9]
	s_cbranch_vccnz .LBB115_259
; %bb.258:
	buffer_load_dword v120, v107, s[0:3], 0 offen
	ds_read_b32 v121, v106
	s_waitcnt vmcnt(0) lgkmcnt(0)
	v_mul_f32_e32 v120, v120, v121
	s_cbranch_execz .LBB115_260
	s_branch .LBB115_261
.LBB115_259:
                                        ; implicit-def: $vgpr120
.LBB115_260:
	ds_read_b32 v120, v106
.LBB115_261:
	s_and_saveexec_b64 s[12:13], s[6:7]
	s_cbranch_execz .LBB115_265
; %bb.262:
	v_mov_b32_e32 v121, 0
	v_add_u32_e32 v121, 0x64, v121
	v_subrev_u32_e32 v122, 25, v0
	s_movk_i32 s14, 0x134
	s_mov_b64 s[6:7], 0
.LBB115_263:                            ; =>This Inner Loop Header: Depth=1
	buffer_load_dword v123, v121, s[0:3], 0 offen
	v_mov_b32_e32 v124, s14
	ds_read_b32 v124, v124
	v_add_u32_e32 v122, -1, v122
	s_add_i32 s14, s14, 4
	v_cmp_eq_u32_e32 vcc, 0, v122
	v_add_u32_e32 v121, 4, v121
	s_or_b64 s[6:7], vcc, s[6:7]
	s_waitcnt vmcnt(0) lgkmcnt(0)
	v_fmac_f32_e32 v120, v123, v124
	s_andn2_b64 exec, exec, s[6:7]
	s_cbranch_execnz .LBB115_263
; %bb.264:
	s_or_b64 exec, exec, s[6:7]
.LBB115_265:
	s_or_b64 exec, exec, s[12:13]
	v_mov_b32_e32 v121, 0
	ds_read_b32 v121, v121 offset:96
	s_waitcnt lgkmcnt(0)
	v_mul_f32_e32 v120, v120, v121
	buffer_store_dword v120, off, s[0:3], 0 offset:96
.LBB115_266:
	s_or_b64 exec, exec, s[10:11]
	buffer_load_dword v120, off, s[0:3], 0 offset:92
	v_cmp_lt_u32_e64 s[6:7], 23, v0
	s_waitcnt vmcnt(0)
	ds_write_b32 v106, v120
	s_waitcnt lgkmcnt(0)
	; wave barrier
	s_waitcnt lgkmcnt(0)
	s_and_saveexec_b64 s[10:11], s[6:7]
	s_cbranch_execz .LBB115_276
; %bb.267:
	s_andn2_b64 vcc, exec, s[8:9]
	s_cbranch_vccnz .LBB115_269
; %bb.268:
	buffer_load_dword v120, v107, s[0:3], 0 offen
	ds_read_b32 v121, v106
	s_waitcnt vmcnt(0) lgkmcnt(0)
	v_mul_f32_e32 v120, v120, v121
	s_cbranch_execz .LBB115_270
	s_branch .LBB115_271
.LBB115_269:
                                        ; implicit-def: $vgpr120
.LBB115_270:
	ds_read_b32 v120, v106
.LBB115_271:
	s_and_saveexec_b64 s[12:13], s[4:5]
	s_cbranch_execz .LBB115_275
; %bb.272:
	v_subrev_u32_e32 v121, 24, v0
	s_movk_i32 s14, 0x130
	s_mov_b64 s[4:5], 0
.LBB115_273:                            ; =>This Inner Loop Header: Depth=1
	buffer_load_dword v122, v119, s[0:3], 0 offen
	v_mov_b32_e32 v123, s14
	ds_read_b32 v123, v123
	v_add_u32_e32 v121, -1, v121
	s_add_i32 s14, s14, 4
	v_cmp_eq_u32_e32 vcc, 0, v121
	v_add_u32_e32 v119, 4, v119
	s_or_b64 s[4:5], vcc, s[4:5]
	s_waitcnt vmcnt(0) lgkmcnt(0)
	v_fmac_f32_e32 v120, v122, v123
	s_andn2_b64 exec, exec, s[4:5]
	s_cbranch_execnz .LBB115_273
; %bb.274:
	s_or_b64 exec, exec, s[4:5]
.LBB115_275:
	s_or_b64 exec, exec, s[12:13]
	v_mov_b32_e32 v119, 0
	ds_read_b32 v119, v119 offset:92
	s_waitcnt lgkmcnt(0)
	v_mul_f32_e32 v119, v120, v119
	buffer_store_dword v119, off, s[0:3], 0 offset:92
.LBB115_276:
	s_or_b64 exec, exec, s[10:11]
	buffer_load_dword v119, off, s[0:3], 0 offset:88
	v_cmp_lt_u32_e64 s[4:5], 22, v0
	s_waitcnt vmcnt(0)
	ds_write_b32 v106, v119
	s_waitcnt lgkmcnt(0)
	; wave barrier
	s_waitcnt lgkmcnt(0)
	s_and_saveexec_b64 s[10:11], s[4:5]
	s_cbranch_execz .LBB115_286
; %bb.277:
	s_andn2_b64 vcc, exec, s[8:9]
	s_cbranch_vccnz .LBB115_279
; %bb.278:
	buffer_load_dword v119, v107, s[0:3], 0 offen
	ds_read_b32 v120, v106
	s_waitcnt vmcnt(0) lgkmcnt(0)
	v_mul_f32_e32 v119, v119, v120
	s_cbranch_execz .LBB115_280
	s_branch .LBB115_281
.LBB115_279:
                                        ; implicit-def: $vgpr119
.LBB115_280:
	ds_read_b32 v119, v106
.LBB115_281:
	s_and_saveexec_b64 s[12:13], s[6:7]
	s_cbranch_execz .LBB115_285
; %bb.282:
	v_mov_b32_e32 v120, 0
	v_add_u32_e32 v120, 0x5c, v120
	v_subrev_u32_e32 v121, 23, v0
	s_movk_i32 s14, 0x12c
	s_mov_b64 s[6:7], 0
.LBB115_283:                            ; =>This Inner Loop Header: Depth=1
	buffer_load_dword v122, v120, s[0:3], 0 offen
	v_mov_b32_e32 v123, s14
	ds_read_b32 v123, v123
	v_add_u32_e32 v121, -1, v121
	s_add_i32 s14, s14, 4
	v_cmp_eq_u32_e32 vcc, 0, v121
	v_add_u32_e32 v120, 4, v120
	s_or_b64 s[6:7], vcc, s[6:7]
	s_waitcnt vmcnt(0) lgkmcnt(0)
	v_fmac_f32_e32 v119, v122, v123
	s_andn2_b64 exec, exec, s[6:7]
	s_cbranch_execnz .LBB115_283
; %bb.284:
	s_or_b64 exec, exec, s[6:7]
.LBB115_285:
	s_or_b64 exec, exec, s[12:13]
	v_mov_b32_e32 v120, 0
	ds_read_b32 v120, v120 offset:88
	s_waitcnt lgkmcnt(0)
	v_mul_f32_e32 v119, v119, v120
	buffer_store_dword v119, off, s[0:3], 0 offset:88
.LBB115_286:
	s_or_b64 exec, exec, s[10:11]
	buffer_load_dword v119, off, s[0:3], 0 offset:84
	v_cmp_lt_u32_e64 s[6:7], 21, v0
	s_waitcnt vmcnt(0)
	ds_write_b32 v106, v119
	s_waitcnt lgkmcnt(0)
	; wave barrier
	s_waitcnt lgkmcnt(0)
	s_and_saveexec_b64 s[10:11], s[6:7]
	s_cbranch_execz .LBB115_296
; %bb.287:
	s_andn2_b64 vcc, exec, s[8:9]
	s_cbranch_vccnz .LBB115_289
; %bb.288:
	buffer_load_dword v119, v107, s[0:3], 0 offen
	ds_read_b32 v120, v106
	s_waitcnt vmcnt(0) lgkmcnt(0)
	v_mul_f32_e32 v119, v119, v120
	s_cbranch_execz .LBB115_290
	s_branch .LBB115_291
.LBB115_289:
                                        ; implicit-def: $vgpr119
.LBB115_290:
	ds_read_b32 v119, v106
.LBB115_291:
	s_and_saveexec_b64 s[12:13], s[4:5]
	s_cbranch_execz .LBB115_295
; %bb.292:
	v_subrev_u32_e32 v120, 22, v0
	s_movk_i32 s14, 0x128
	s_mov_b64 s[4:5], 0
.LBB115_293:                            ; =>This Inner Loop Header: Depth=1
	buffer_load_dword v121, v118, s[0:3], 0 offen
	v_mov_b32_e32 v122, s14
	ds_read_b32 v122, v122
	v_add_u32_e32 v120, -1, v120
	s_add_i32 s14, s14, 4
	v_cmp_eq_u32_e32 vcc, 0, v120
	v_add_u32_e32 v118, 4, v118
	s_or_b64 s[4:5], vcc, s[4:5]
	s_waitcnt vmcnt(0) lgkmcnt(0)
	v_fmac_f32_e32 v119, v121, v122
	s_andn2_b64 exec, exec, s[4:5]
	s_cbranch_execnz .LBB115_293
; %bb.294:
	s_or_b64 exec, exec, s[4:5]
.LBB115_295:
	s_or_b64 exec, exec, s[12:13]
	v_mov_b32_e32 v118, 0
	ds_read_b32 v118, v118 offset:84
	s_waitcnt lgkmcnt(0)
	v_mul_f32_e32 v118, v119, v118
	buffer_store_dword v118, off, s[0:3], 0 offset:84
.LBB115_296:
	s_or_b64 exec, exec, s[10:11]
	buffer_load_dword v118, off, s[0:3], 0 offset:80
	v_cmp_lt_u32_e64 s[4:5], 20, v0
	s_waitcnt vmcnt(0)
	ds_write_b32 v106, v118
	s_waitcnt lgkmcnt(0)
	; wave barrier
	s_waitcnt lgkmcnt(0)
	s_and_saveexec_b64 s[10:11], s[4:5]
	s_cbranch_execz .LBB115_306
; %bb.297:
	s_andn2_b64 vcc, exec, s[8:9]
	s_cbranch_vccnz .LBB115_299
; %bb.298:
	buffer_load_dword v118, v107, s[0:3], 0 offen
	ds_read_b32 v119, v106
	s_waitcnt vmcnt(0) lgkmcnt(0)
	v_mul_f32_e32 v118, v118, v119
	s_cbranch_execz .LBB115_300
	s_branch .LBB115_301
.LBB115_299:
                                        ; implicit-def: $vgpr118
.LBB115_300:
	ds_read_b32 v118, v106
.LBB115_301:
	s_and_saveexec_b64 s[12:13], s[6:7]
	s_cbranch_execz .LBB115_305
; %bb.302:
	v_mov_b32_e32 v119, 0
	v_add_u32_e32 v119, 0x54, v119
	v_subrev_u32_e32 v120, 21, v0
	s_movk_i32 s14, 0x124
	s_mov_b64 s[6:7], 0
.LBB115_303:                            ; =>This Inner Loop Header: Depth=1
	buffer_load_dword v121, v119, s[0:3], 0 offen
	v_mov_b32_e32 v122, s14
	ds_read_b32 v122, v122
	v_add_u32_e32 v120, -1, v120
	s_add_i32 s14, s14, 4
	v_cmp_eq_u32_e32 vcc, 0, v120
	v_add_u32_e32 v119, 4, v119
	s_or_b64 s[6:7], vcc, s[6:7]
	s_waitcnt vmcnt(0) lgkmcnt(0)
	v_fmac_f32_e32 v118, v121, v122
	s_andn2_b64 exec, exec, s[6:7]
	s_cbranch_execnz .LBB115_303
; %bb.304:
	s_or_b64 exec, exec, s[6:7]
.LBB115_305:
	s_or_b64 exec, exec, s[12:13]
	v_mov_b32_e32 v119, 0
	ds_read_b32 v119, v119 offset:80
	s_waitcnt lgkmcnt(0)
	v_mul_f32_e32 v118, v118, v119
	buffer_store_dword v118, off, s[0:3], 0 offset:80
.LBB115_306:
	s_or_b64 exec, exec, s[10:11]
	buffer_load_dword v118, off, s[0:3], 0 offset:76
	v_cmp_lt_u32_e64 s[6:7], 19, v0
	s_waitcnt vmcnt(0)
	ds_write_b32 v106, v118
	s_waitcnt lgkmcnt(0)
	; wave barrier
	s_waitcnt lgkmcnt(0)
	s_and_saveexec_b64 s[10:11], s[6:7]
	s_cbranch_execz .LBB115_316
; %bb.307:
	s_andn2_b64 vcc, exec, s[8:9]
	s_cbranch_vccnz .LBB115_309
; %bb.308:
	buffer_load_dword v118, v107, s[0:3], 0 offen
	ds_read_b32 v119, v106
	s_waitcnt vmcnt(0) lgkmcnt(0)
	v_mul_f32_e32 v118, v118, v119
	s_cbranch_execz .LBB115_310
	s_branch .LBB115_311
.LBB115_309:
                                        ; implicit-def: $vgpr118
.LBB115_310:
	ds_read_b32 v118, v106
.LBB115_311:
	s_and_saveexec_b64 s[12:13], s[4:5]
	s_cbranch_execz .LBB115_315
; %bb.312:
	v_subrev_u32_e32 v119, 20, v0
	s_movk_i32 s14, 0x120
	s_mov_b64 s[4:5], 0
.LBB115_313:                            ; =>This Inner Loop Header: Depth=1
	buffer_load_dword v120, v117, s[0:3], 0 offen
	v_mov_b32_e32 v121, s14
	ds_read_b32 v121, v121
	v_add_u32_e32 v119, -1, v119
	s_add_i32 s14, s14, 4
	v_cmp_eq_u32_e32 vcc, 0, v119
	v_add_u32_e32 v117, 4, v117
	s_or_b64 s[4:5], vcc, s[4:5]
	s_waitcnt vmcnt(0) lgkmcnt(0)
	v_fmac_f32_e32 v118, v120, v121
	s_andn2_b64 exec, exec, s[4:5]
	s_cbranch_execnz .LBB115_313
; %bb.314:
	s_or_b64 exec, exec, s[4:5]
.LBB115_315:
	s_or_b64 exec, exec, s[12:13]
	v_mov_b32_e32 v117, 0
	ds_read_b32 v117, v117 offset:76
	s_waitcnt lgkmcnt(0)
	v_mul_f32_e32 v117, v118, v117
	buffer_store_dword v117, off, s[0:3], 0 offset:76
.LBB115_316:
	s_or_b64 exec, exec, s[10:11]
	buffer_load_dword v117, off, s[0:3], 0 offset:72
	v_cmp_lt_u32_e64 s[4:5], 18, v0
	s_waitcnt vmcnt(0)
	ds_write_b32 v106, v117
	s_waitcnt lgkmcnt(0)
	; wave barrier
	s_waitcnt lgkmcnt(0)
	s_and_saveexec_b64 s[10:11], s[4:5]
	s_cbranch_execz .LBB115_326
; %bb.317:
	s_andn2_b64 vcc, exec, s[8:9]
	s_cbranch_vccnz .LBB115_319
; %bb.318:
	buffer_load_dword v117, v107, s[0:3], 0 offen
	ds_read_b32 v118, v106
	s_waitcnt vmcnt(0) lgkmcnt(0)
	v_mul_f32_e32 v117, v117, v118
	s_cbranch_execz .LBB115_320
	s_branch .LBB115_321
.LBB115_319:
                                        ; implicit-def: $vgpr117
.LBB115_320:
	ds_read_b32 v117, v106
.LBB115_321:
	s_and_saveexec_b64 s[12:13], s[6:7]
	s_cbranch_execz .LBB115_325
; %bb.322:
	v_mov_b32_e32 v118, 0
	v_add_u32_e32 v118, 0x4c, v118
	v_subrev_u32_e32 v119, 19, v0
	s_movk_i32 s14, 0x11c
	s_mov_b64 s[6:7], 0
.LBB115_323:                            ; =>This Inner Loop Header: Depth=1
	buffer_load_dword v120, v118, s[0:3], 0 offen
	v_mov_b32_e32 v121, s14
	ds_read_b32 v121, v121
	v_add_u32_e32 v119, -1, v119
	s_add_i32 s14, s14, 4
	v_cmp_eq_u32_e32 vcc, 0, v119
	v_add_u32_e32 v118, 4, v118
	s_or_b64 s[6:7], vcc, s[6:7]
	s_waitcnt vmcnt(0) lgkmcnt(0)
	v_fmac_f32_e32 v117, v120, v121
	s_andn2_b64 exec, exec, s[6:7]
	s_cbranch_execnz .LBB115_323
; %bb.324:
	s_or_b64 exec, exec, s[6:7]
.LBB115_325:
	s_or_b64 exec, exec, s[12:13]
	v_mov_b32_e32 v118, 0
	ds_read_b32 v118, v118 offset:72
	s_waitcnt lgkmcnt(0)
	v_mul_f32_e32 v117, v117, v118
	buffer_store_dword v117, off, s[0:3], 0 offset:72
.LBB115_326:
	s_or_b64 exec, exec, s[10:11]
	buffer_load_dword v117, off, s[0:3], 0 offset:68
	v_cmp_lt_u32_e64 s[6:7], 17, v0
	s_waitcnt vmcnt(0)
	ds_write_b32 v106, v117
	s_waitcnt lgkmcnt(0)
	; wave barrier
	s_waitcnt lgkmcnt(0)
	s_and_saveexec_b64 s[10:11], s[6:7]
	s_cbranch_execz .LBB115_336
; %bb.327:
	s_andn2_b64 vcc, exec, s[8:9]
	s_cbranch_vccnz .LBB115_329
; %bb.328:
	buffer_load_dword v117, v107, s[0:3], 0 offen
	ds_read_b32 v118, v106
	s_waitcnt vmcnt(0) lgkmcnt(0)
	v_mul_f32_e32 v117, v117, v118
	s_cbranch_execz .LBB115_330
	s_branch .LBB115_331
.LBB115_329:
                                        ; implicit-def: $vgpr117
.LBB115_330:
	ds_read_b32 v117, v106
.LBB115_331:
	s_and_saveexec_b64 s[12:13], s[4:5]
	s_cbranch_execz .LBB115_335
; %bb.332:
	v_subrev_u32_e32 v118, 18, v0
	s_movk_i32 s14, 0x118
	s_mov_b64 s[4:5], 0
.LBB115_333:                            ; =>This Inner Loop Header: Depth=1
	buffer_load_dword v119, v116, s[0:3], 0 offen
	v_mov_b32_e32 v120, s14
	ds_read_b32 v120, v120
	v_add_u32_e32 v118, -1, v118
	s_add_i32 s14, s14, 4
	v_cmp_eq_u32_e32 vcc, 0, v118
	v_add_u32_e32 v116, 4, v116
	s_or_b64 s[4:5], vcc, s[4:5]
	s_waitcnt vmcnt(0) lgkmcnt(0)
	v_fmac_f32_e32 v117, v119, v120
	s_andn2_b64 exec, exec, s[4:5]
	s_cbranch_execnz .LBB115_333
; %bb.334:
	s_or_b64 exec, exec, s[4:5]
.LBB115_335:
	s_or_b64 exec, exec, s[12:13]
	v_mov_b32_e32 v116, 0
	ds_read_b32 v116, v116 offset:68
	s_waitcnt lgkmcnt(0)
	v_mul_f32_e32 v116, v117, v116
	buffer_store_dword v116, off, s[0:3], 0 offset:68
.LBB115_336:
	s_or_b64 exec, exec, s[10:11]
	buffer_load_dword v116, off, s[0:3], 0 offset:64
	v_cmp_lt_u32_e64 s[4:5], 16, v0
	s_waitcnt vmcnt(0)
	ds_write_b32 v106, v116
	s_waitcnt lgkmcnt(0)
	; wave barrier
	s_waitcnt lgkmcnt(0)
	s_and_saveexec_b64 s[10:11], s[4:5]
	s_cbranch_execz .LBB115_346
; %bb.337:
	s_andn2_b64 vcc, exec, s[8:9]
	s_cbranch_vccnz .LBB115_339
; %bb.338:
	buffer_load_dword v116, v107, s[0:3], 0 offen
	ds_read_b32 v117, v106
	s_waitcnt vmcnt(0) lgkmcnt(0)
	v_mul_f32_e32 v116, v116, v117
	s_cbranch_execz .LBB115_340
	s_branch .LBB115_341
.LBB115_339:
                                        ; implicit-def: $vgpr116
.LBB115_340:
	ds_read_b32 v116, v106
.LBB115_341:
	s_and_saveexec_b64 s[12:13], s[6:7]
	s_cbranch_execz .LBB115_345
; %bb.342:
	v_mov_b32_e32 v117, 0
	v_add_u32_e32 v117, 0x44, v117
	v_subrev_u32_e32 v118, 17, v0
	s_movk_i32 s14, 0x114
	s_mov_b64 s[6:7], 0
.LBB115_343:                            ; =>This Inner Loop Header: Depth=1
	buffer_load_dword v119, v117, s[0:3], 0 offen
	v_mov_b32_e32 v120, s14
	ds_read_b32 v120, v120
	v_add_u32_e32 v118, -1, v118
	s_add_i32 s14, s14, 4
	v_cmp_eq_u32_e32 vcc, 0, v118
	v_add_u32_e32 v117, 4, v117
	s_or_b64 s[6:7], vcc, s[6:7]
	s_waitcnt vmcnt(0) lgkmcnt(0)
	v_fmac_f32_e32 v116, v119, v120
	s_andn2_b64 exec, exec, s[6:7]
	s_cbranch_execnz .LBB115_343
; %bb.344:
	s_or_b64 exec, exec, s[6:7]
.LBB115_345:
	s_or_b64 exec, exec, s[12:13]
	v_mov_b32_e32 v117, 0
	ds_read_b32 v117, v117 offset:64
	s_waitcnt lgkmcnt(0)
	v_mul_f32_e32 v116, v116, v117
	buffer_store_dword v116, off, s[0:3], 0 offset:64
.LBB115_346:
	s_or_b64 exec, exec, s[10:11]
	buffer_load_dword v116, off, s[0:3], 0 offset:60
	v_cmp_lt_u32_e64 s[6:7], 15, v0
	s_waitcnt vmcnt(0)
	ds_write_b32 v106, v116
	s_waitcnt lgkmcnt(0)
	; wave barrier
	s_waitcnt lgkmcnt(0)
	s_and_saveexec_b64 s[10:11], s[6:7]
	s_cbranch_execz .LBB115_356
; %bb.347:
	s_andn2_b64 vcc, exec, s[8:9]
	s_cbranch_vccnz .LBB115_349
; %bb.348:
	buffer_load_dword v116, v107, s[0:3], 0 offen
	ds_read_b32 v117, v106
	s_waitcnt vmcnt(0) lgkmcnt(0)
	v_mul_f32_e32 v116, v116, v117
	s_cbranch_execz .LBB115_350
	s_branch .LBB115_351
.LBB115_349:
                                        ; implicit-def: $vgpr116
.LBB115_350:
	ds_read_b32 v116, v106
.LBB115_351:
	s_and_saveexec_b64 s[12:13], s[4:5]
	s_cbranch_execz .LBB115_355
; %bb.352:
	v_add_u32_e32 v117, -16, v0
	s_movk_i32 s14, 0x110
	s_mov_b64 s[4:5], 0
.LBB115_353:                            ; =>This Inner Loop Header: Depth=1
	buffer_load_dword v118, v115, s[0:3], 0 offen
	v_mov_b32_e32 v119, s14
	ds_read_b32 v119, v119
	v_add_u32_e32 v117, -1, v117
	s_add_i32 s14, s14, 4
	v_cmp_eq_u32_e32 vcc, 0, v117
	v_add_u32_e32 v115, 4, v115
	s_or_b64 s[4:5], vcc, s[4:5]
	s_waitcnt vmcnt(0) lgkmcnt(0)
	v_fmac_f32_e32 v116, v118, v119
	s_andn2_b64 exec, exec, s[4:5]
	s_cbranch_execnz .LBB115_353
; %bb.354:
	s_or_b64 exec, exec, s[4:5]
.LBB115_355:
	s_or_b64 exec, exec, s[12:13]
	v_mov_b32_e32 v115, 0
	ds_read_b32 v115, v115 offset:60
	s_waitcnt lgkmcnt(0)
	v_mul_f32_e32 v115, v116, v115
	buffer_store_dword v115, off, s[0:3], 0 offset:60
.LBB115_356:
	s_or_b64 exec, exec, s[10:11]
	buffer_load_dword v115, off, s[0:3], 0 offset:56
	v_cmp_lt_u32_e64 s[4:5], 14, v0
	s_waitcnt vmcnt(0)
	ds_write_b32 v106, v115
	s_waitcnt lgkmcnt(0)
	; wave barrier
	s_waitcnt lgkmcnt(0)
	s_and_saveexec_b64 s[10:11], s[4:5]
	s_cbranch_execz .LBB115_366
; %bb.357:
	s_andn2_b64 vcc, exec, s[8:9]
	s_cbranch_vccnz .LBB115_359
; %bb.358:
	buffer_load_dword v115, v107, s[0:3], 0 offen
	ds_read_b32 v116, v106
	s_waitcnt vmcnt(0) lgkmcnt(0)
	v_mul_f32_e32 v115, v115, v116
	s_cbranch_execz .LBB115_360
	s_branch .LBB115_361
.LBB115_359:
                                        ; implicit-def: $vgpr115
.LBB115_360:
	ds_read_b32 v115, v106
.LBB115_361:
	s_and_saveexec_b64 s[12:13], s[6:7]
	s_cbranch_execz .LBB115_365
; %bb.362:
	v_mov_b32_e32 v116, 0
	v_add_u32_e32 v116, 60, v116
	v_add_u32_e32 v117, -15, v0
	s_movk_i32 s14, 0x10c
	s_mov_b64 s[6:7], 0
.LBB115_363:                            ; =>This Inner Loop Header: Depth=1
	buffer_load_dword v118, v116, s[0:3], 0 offen
	v_mov_b32_e32 v119, s14
	ds_read_b32 v119, v119
	v_add_u32_e32 v117, -1, v117
	s_add_i32 s14, s14, 4
	v_cmp_eq_u32_e32 vcc, 0, v117
	v_add_u32_e32 v116, 4, v116
	s_or_b64 s[6:7], vcc, s[6:7]
	s_waitcnt vmcnt(0) lgkmcnt(0)
	v_fmac_f32_e32 v115, v118, v119
	s_andn2_b64 exec, exec, s[6:7]
	s_cbranch_execnz .LBB115_363
; %bb.364:
	s_or_b64 exec, exec, s[6:7]
.LBB115_365:
	s_or_b64 exec, exec, s[12:13]
	v_mov_b32_e32 v116, 0
	ds_read_b32 v116, v116 offset:56
	s_waitcnt lgkmcnt(0)
	v_mul_f32_e32 v115, v115, v116
	buffer_store_dword v115, off, s[0:3], 0 offset:56
.LBB115_366:
	s_or_b64 exec, exec, s[10:11]
	buffer_load_dword v115, off, s[0:3], 0 offset:52
	v_cmp_lt_u32_e64 s[6:7], 13, v0
	s_waitcnt vmcnt(0)
	ds_write_b32 v106, v115
	s_waitcnt lgkmcnt(0)
	; wave barrier
	s_waitcnt lgkmcnt(0)
	s_and_saveexec_b64 s[10:11], s[6:7]
	s_cbranch_execz .LBB115_376
; %bb.367:
	s_andn2_b64 vcc, exec, s[8:9]
	s_cbranch_vccnz .LBB115_369
; %bb.368:
	buffer_load_dword v115, v107, s[0:3], 0 offen
	ds_read_b32 v116, v106
	s_waitcnt vmcnt(0) lgkmcnt(0)
	v_mul_f32_e32 v115, v115, v116
	s_cbranch_execz .LBB115_370
	s_branch .LBB115_371
.LBB115_369:
                                        ; implicit-def: $vgpr115
.LBB115_370:
	ds_read_b32 v115, v106
.LBB115_371:
	s_and_saveexec_b64 s[12:13], s[4:5]
	s_cbranch_execz .LBB115_375
; %bb.372:
	v_add_u32_e32 v116, -14, v0
	s_movk_i32 s14, 0x108
	s_mov_b64 s[4:5], 0
.LBB115_373:                            ; =>This Inner Loop Header: Depth=1
	buffer_load_dword v117, v114, s[0:3], 0 offen
	v_mov_b32_e32 v118, s14
	ds_read_b32 v118, v118
	v_add_u32_e32 v116, -1, v116
	s_add_i32 s14, s14, 4
	v_cmp_eq_u32_e32 vcc, 0, v116
	v_add_u32_e32 v114, 4, v114
	s_or_b64 s[4:5], vcc, s[4:5]
	s_waitcnt vmcnt(0) lgkmcnt(0)
	v_fmac_f32_e32 v115, v117, v118
	s_andn2_b64 exec, exec, s[4:5]
	s_cbranch_execnz .LBB115_373
; %bb.374:
	s_or_b64 exec, exec, s[4:5]
.LBB115_375:
	s_or_b64 exec, exec, s[12:13]
	v_mov_b32_e32 v114, 0
	ds_read_b32 v114, v114 offset:52
	s_waitcnt lgkmcnt(0)
	v_mul_f32_e32 v114, v115, v114
	buffer_store_dword v114, off, s[0:3], 0 offset:52
.LBB115_376:
	s_or_b64 exec, exec, s[10:11]
	buffer_load_dword v114, off, s[0:3], 0 offset:48
	v_cmp_lt_u32_e64 s[4:5], 12, v0
	s_waitcnt vmcnt(0)
	ds_write_b32 v106, v114
	s_waitcnt lgkmcnt(0)
	; wave barrier
	s_waitcnt lgkmcnt(0)
	s_and_saveexec_b64 s[10:11], s[4:5]
	s_cbranch_execz .LBB115_386
; %bb.377:
	s_andn2_b64 vcc, exec, s[8:9]
	s_cbranch_vccnz .LBB115_379
; %bb.378:
	buffer_load_dword v114, v107, s[0:3], 0 offen
	ds_read_b32 v115, v106
	s_waitcnt vmcnt(0) lgkmcnt(0)
	v_mul_f32_e32 v114, v114, v115
	s_cbranch_execz .LBB115_380
	s_branch .LBB115_381
.LBB115_379:
                                        ; implicit-def: $vgpr114
.LBB115_380:
	ds_read_b32 v114, v106
.LBB115_381:
	s_and_saveexec_b64 s[12:13], s[6:7]
	s_cbranch_execz .LBB115_385
; %bb.382:
	v_mov_b32_e32 v115, 0
	v_add_u32_e32 v115, 52, v115
	v_add_u32_e32 v116, -13, v0
	s_movk_i32 s14, 0x104
	s_mov_b64 s[6:7], 0
.LBB115_383:                            ; =>This Inner Loop Header: Depth=1
	buffer_load_dword v117, v115, s[0:3], 0 offen
	v_mov_b32_e32 v118, s14
	ds_read_b32 v118, v118
	v_add_u32_e32 v116, -1, v116
	s_add_i32 s14, s14, 4
	v_cmp_eq_u32_e32 vcc, 0, v116
	v_add_u32_e32 v115, 4, v115
	s_or_b64 s[6:7], vcc, s[6:7]
	s_waitcnt vmcnt(0) lgkmcnt(0)
	v_fmac_f32_e32 v114, v117, v118
	s_andn2_b64 exec, exec, s[6:7]
	s_cbranch_execnz .LBB115_383
; %bb.384:
	s_or_b64 exec, exec, s[6:7]
.LBB115_385:
	s_or_b64 exec, exec, s[12:13]
	v_mov_b32_e32 v115, 0
	ds_read_b32 v115, v115 offset:48
	s_waitcnt lgkmcnt(0)
	v_mul_f32_e32 v114, v114, v115
	buffer_store_dword v114, off, s[0:3], 0 offset:48
.LBB115_386:
	s_or_b64 exec, exec, s[10:11]
	buffer_load_dword v114, off, s[0:3], 0 offset:44
	v_cmp_lt_u32_e64 s[6:7], 11, v0
	s_waitcnt vmcnt(0)
	ds_write_b32 v106, v114
	s_waitcnt lgkmcnt(0)
	; wave barrier
	s_waitcnt lgkmcnt(0)
	s_and_saveexec_b64 s[10:11], s[6:7]
	s_cbranch_execz .LBB115_396
; %bb.387:
	s_andn2_b64 vcc, exec, s[8:9]
	s_cbranch_vccnz .LBB115_389
; %bb.388:
	buffer_load_dword v114, v107, s[0:3], 0 offen
	ds_read_b32 v115, v106
	s_waitcnt vmcnt(0) lgkmcnt(0)
	v_mul_f32_e32 v114, v114, v115
	s_cbranch_execz .LBB115_390
	s_branch .LBB115_391
.LBB115_389:
                                        ; implicit-def: $vgpr114
.LBB115_390:
	ds_read_b32 v114, v106
.LBB115_391:
	s_and_saveexec_b64 s[12:13], s[4:5]
	s_cbranch_execz .LBB115_395
; %bb.392:
	v_add_u32_e32 v115, -12, v0
	s_movk_i32 s14, 0x100
	s_mov_b64 s[4:5], 0
.LBB115_393:                            ; =>This Inner Loop Header: Depth=1
	buffer_load_dword v116, v113, s[0:3], 0 offen
	v_mov_b32_e32 v117, s14
	ds_read_b32 v117, v117
	v_add_u32_e32 v115, -1, v115
	s_add_i32 s14, s14, 4
	v_cmp_eq_u32_e32 vcc, 0, v115
	v_add_u32_e32 v113, 4, v113
	s_or_b64 s[4:5], vcc, s[4:5]
	s_waitcnt vmcnt(0) lgkmcnt(0)
	v_fmac_f32_e32 v114, v116, v117
	s_andn2_b64 exec, exec, s[4:5]
	s_cbranch_execnz .LBB115_393
; %bb.394:
	s_or_b64 exec, exec, s[4:5]
.LBB115_395:
	s_or_b64 exec, exec, s[12:13]
	v_mov_b32_e32 v113, 0
	ds_read_b32 v113, v113 offset:44
	s_waitcnt lgkmcnt(0)
	v_mul_f32_e32 v113, v114, v113
	buffer_store_dword v113, off, s[0:3], 0 offset:44
.LBB115_396:
	s_or_b64 exec, exec, s[10:11]
	buffer_load_dword v113, off, s[0:3], 0 offset:40
	v_cmp_lt_u32_e64 s[4:5], 10, v0
	s_waitcnt vmcnt(0)
	ds_write_b32 v106, v113
	s_waitcnt lgkmcnt(0)
	; wave barrier
	s_waitcnt lgkmcnt(0)
	s_and_saveexec_b64 s[10:11], s[4:5]
	s_cbranch_execz .LBB115_406
; %bb.397:
	s_andn2_b64 vcc, exec, s[8:9]
	s_cbranch_vccnz .LBB115_399
; %bb.398:
	buffer_load_dword v113, v107, s[0:3], 0 offen
	ds_read_b32 v114, v106
	s_waitcnt vmcnt(0) lgkmcnt(0)
	v_mul_f32_e32 v113, v113, v114
	s_cbranch_execz .LBB115_400
	s_branch .LBB115_401
.LBB115_399:
                                        ; implicit-def: $vgpr113
.LBB115_400:
	ds_read_b32 v113, v106
.LBB115_401:
	s_and_saveexec_b64 s[12:13], s[6:7]
	s_cbranch_execz .LBB115_405
; %bb.402:
	v_mov_b32_e32 v114, 0
	v_add_u32_e32 v114, 44, v114
	v_add_u32_e32 v115, -11, v0
	s_movk_i32 s14, 0xfc
	s_mov_b64 s[6:7], 0
.LBB115_403:                            ; =>This Inner Loop Header: Depth=1
	buffer_load_dword v116, v114, s[0:3], 0 offen
	v_mov_b32_e32 v117, s14
	ds_read_b32 v117, v117
	v_add_u32_e32 v115, -1, v115
	s_add_i32 s14, s14, 4
	v_cmp_eq_u32_e32 vcc, 0, v115
	v_add_u32_e32 v114, 4, v114
	s_or_b64 s[6:7], vcc, s[6:7]
	s_waitcnt vmcnt(0) lgkmcnt(0)
	v_fmac_f32_e32 v113, v116, v117
	s_andn2_b64 exec, exec, s[6:7]
	s_cbranch_execnz .LBB115_403
; %bb.404:
	s_or_b64 exec, exec, s[6:7]
.LBB115_405:
	s_or_b64 exec, exec, s[12:13]
	v_mov_b32_e32 v114, 0
	ds_read_b32 v114, v114 offset:40
	s_waitcnt lgkmcnt(0)
	v_mul_f32_e32 v113, v113, v114
	buffer_store_dword v113, off, s[0:3], 0 offset:40
.LBB115_406:
	s_or_b64 exec, exec, s[10:11]
	buffer_load_dword v113, off, s[0:3], 0 offset:36
	v_cmp_lt_u32_e64 s[6:7], 9, v0
	s_waitcnt vmcnt(0)
	ds_write_b32 v106, v113
	s_waitcnt lgkmcnt(0)
	; wave barrier
	s_waitcnt lgkmcnt(0)
	s_and_saveexec_b64 s[10:11], s[6:7]
	s_cbranch_execz .LBB115_416
; %bb.407:
	s_andn2_b64 vcc, exec, s[8:9]
	s_cbranch_vccnz .LBB115_409
; %bb.408:
	buffer_load_dword v113, v107, s[0:3], 0 offen
	ds_read_b32 v114, v106
	s_waitcnt vmcnt(0) lgkmcnt(0)
	v_mul_f32_e32 v113, v113, v114
	s_cbranch_execz .LBB115_410
	s_branch .LBB115_411
.LBB115_409:
                                        ; implicit-def: $vgpr113
.LBB115_410:
	ds_read_b32 v113, v106
.LBB115_411:
	s_and_saveexec_b64 s[12:13], s[4:5]
	s_cbranch_execz .LBB115_415
; %bb.412:
	v_add_u32_e32 v114, -10, v0
	s_movk_i32 s14, 0xf8
	s_mov_b64 s[4:5], 0
.LBB115_413:                            ; =>This Inner Loop Header: Depth=1
	buffer_load_dword v115, v112, s[0:3], 0 offen
	v_mov_b32_e32 v116, s14
	ds_read_b32 v116, v116
	v_add_u32_e32 v114, -1, v114
	s_add_i32 s14, s14, 4
	v_cmp_eq_u32_e32 vcc, 0, v114
	v_add_u32_e32 v112, 4, v112
	s_or_b64 s[4:5], vcc, s[4:5]
	s_waitcnt vmcnt(0) lgkmcnt(0)
	v_fmac_f32_e32 v113, v115, v116
	s_andn2_b64 exec, exec, s[4:5]
	s_cbranch_execnz .LBB115_413
; %bb.414:
	s_or_b64 exec, exec, s[4:5]
.LBB115_415:
	s_or_b64 exec, exec, s[12:13]
	v_mov_b32_e32 v112, 0
	ds_read_b32 v112, v112 offset:36
	s_waitcnt lgkmcnt(0)
	v_mul_f32_e32 v112, v113, v112
	buffer_store_dword v112, off, s[0:3], 0 offset:36
.LBB115_416:
	s_or_b64 exec, exec, s[10:11]
	buffer_load_dword v112, off, s[0:3], 0 offset:32
	v_cmp_lt_u32_e64 s[4:5], 8, v0
	s_waitcnt vmcnt(0)
	ds_write_b32 v106, v112
	s_waitcnt lgkmcnt(0)
	; wave barrier
	s_waitcnt lgkmcnt(0)
	s_and_saveexec_b64 s[10:11], s[4:5]
	s_cbranch_execz .LBB115_426
; %bb.417:
	s_andn2_b64 vcc, exec, s[8:9]
	s_cbranch_vccnz .LBB115_419
; %bb.418:
	buffer_load_dword v112, v107, s[0:3], 0 offen
	ds_read_b32 v113, v106
	s_waitcnt vmcnt(0) lgkmcnt(0)
	v_mul_f32_e32 v112, v112, v113
	s_cbranch_execz .LBB115_420
	s_branch .LBB115_421
.LBB115_419:
                                        ; implicit-def: $vgpr112
.LBB115_420:
	ds_read_b32 v112, v106
.LBB115_421:
	s_and_saveexec_b64 s[12:13], s[6:7]
	s_cbranch_execz .LBB115_425
; %bb.422:
	v_mov_b32_e32 v113, 0
	v_add_u32_e32 v113, 36, v113
	v_add_u32_e32 v114, -9, v0
	s_movk_i32 s14, 0xf4
	s_mov_b64 s[6:7], 0
.LBB115_423:                            ; =>This Inner Loop Header: Depth=1
	buffer_load_dword v115, v113, s[0:3], 0 offen
	v_mov_b32_e32 v116, s14
	ds_read_b32 v116, v116
	v_add_u32_e32 v114, -1, v114
	s_add_i32 s14, s14, 4
	v_cmp_eq_u32_e32 vcc, 0, v114
	v_add_u32_e32 v113, 4, v113
	s_or_b64 s[6:7], vcc, s[6:7]
	s_waitcnt vmcnt(0) lgkmcnt(0)
	v_fmac_f32_e32 v112, v115, v116
	s_andn2_b64 exec, exec, s[6:7]
	s_cbranch_execnz .LBB115_423
; %bb.424:
	s_or_b64 exec, exec, s[6:7]
.LBB115_425:
	s_or_b64 exec, exec, s[12:13]
	v_mov_b32_e32 v113, 0
	ds_read_b32 v113, v113 offset:32
	s_waitcnt lgkmcnt(0)
	v_mul_f32_e32 v112, v112, v113
	buffer_store_dword v112, off, s[0:3], 0 offset:32
.LBB115_426:
	s_or_b64 exec, exec, s[10:11]
	buffer_load_dword v112, off, s[0:3], 0 offset:28
	v_cmp_lt_u32_e64 s[6:7], 7, v0
	s_waitcnt vmcnt(0)
	ds_write_b32 v106, v112
	s_waitcnt lgkmcnt(0)
	; wave barrier
	s_waitcnt lgkmcnt(0)
	s_and_saveexec_b64 s[10:11], s[6:7]
	s_cbranch_execz .LBB115_436
; %bb.427:
	s_andn2_b64 vcc, exec, s[8:9]
	s_cbranch_vccnz .LBB115_429
; %bb.428:
	buffer_load_dword v112, v107, s[0:3], 0 offen
	ds_read_b32 v113, v106
	s_waitcnt vmcnt(0) lgkmcnt(0)
	v_mul_f32_e32 v112, v112, v113
	s_cbranch_execz .LBB115_430
	s_branch .LBB115_431
.LBB115_429:
                                        ; implicit-def: $vgpr112
.LBB115_430:
	ds_read_b32 v112, v106
.LBB115_431:
	s_and_saveexec_b64 s[12:13], s[4:5]
	s_cbranch_execz .LBB115_435
; %bb.432:
	v_add_u32_e32 v113, -8, v0
	s_movk_i32 s14, 0xf0
	s_mov_b64 s[4:5], 0
.LBB115_433:                            ; =>This Inner Loop Header: Depth=1
	buffer_load_dword v114, v111, s[0:3], 0 offen
	v_mov_b32_e32 v115, s14
	ds_read_b32 v115, v115
	v_add_u32_e32 v113, -1, v113
	s_add_i32 s14, s14, 4
	v_cmp_eq_u32_e32 vcc, 0, v113
	v_add_u32_e32 v111, 4, v111
	s_or_b64 s[4:5], vcc, s[4:5]
	s_waitcnt vmcnt(0) lgkmcnt(0)
	v_fmac_f32_e32 v112, v114, v115
	s_andn2_b64 exec, exec, s[4:5]
	s_cbranch_execnz .LBB115_433
; %bb.434:
	s_or_b64 exec, exec, s[4:5]
.LBB115_435:
	s_or_b64 exec, exec, s[12:13]
	v_mov_b32_e32 v111, 0
	ds_read_b32 v111, v111 offset:28
	s_waitcnt lgkmcnt(0)
	v_mul_f32_e32 v111, v112, v111
	buffer_store_dword v111, off, s[0:3], 0 offset:28
.LBB115_436:
	s_or_b64 exec, exec, s[10:11]
	buffer_load_dword v111, off, s[0:3], 0 offset:24
	v_cmp_lt_u32_e64 s[4:5], 6, v0
	s_waitcnt vmcnt(0)
	ds_write_b32 v106, v111
	s_waitcnt lgkmcnt(0)
	; wave barrier
	s_waitcnt lgkmcnt(0)
	s_and_saveexec_b64 s[10:11], s[4:5]
	s_cbranch_execz .LBB115_446
; %bb.437:
	s_andn2_b64 vcc, exec, s[8:9]
	s_cbranch_vccnz .LBB115_439
; %bb.438:
	buffer_load_dword v111, v107, s[0:3], 0 offen
	ds_read_b32 v112, v106
	s_waitcnt vmcnt(0) lgkmcnt(0)
	v_mul_f32_e32 v111, v111, v112
	s_cbranch_execz .LBB115_440
	s_branch .LBB115_441
.LBB115_439:
                                        ; implicit-def: $vgpr111
.LBB115_440:
	ds_read_b32 v111, v106
.LBB115_441:
	s_and_saveexec_b64 s[12:13], s[6:7]
	s_cbranch_execz .LBB115_445
; %bb.442:
	v_mov_b32_e32 v112, 0
	v_add_u32_e32 v112, 28, v112
	v_add_u32_e32 v113, -7, v0
	s_movk_i32 s14, 0xec
	s_mov_b64 s[6:7], 0
.LBB115_443:                            ; =>This Inner Loop Header: Depth=1
	buffer_load_dword v114, v112, s[0:3], 0 offen
	v_mov_b32_e32 v115, s14
	ds_read_b32 v115, v115
	v_add_u32_e32 v113, -1, v113
	s_add_i32 s14, s14, 4
	v_cmp_eq_u32_e32 vcc, 0, v113
	v_add_u32_e32 v112, 4, v112
	s_or_b64 s[6:7], vcc, s[6:7]
	s_waitcnt vmcnt(0) lgkmcnt(0)
	v_fmac_f32_e32 v111, v114, v115
	s_andn2_b64 exec, exec, s[6:7]
	s_cbranch_execnz .LBB115_443
; %bb.444:
	s_or_b64 exec, exec, s[6:7]
.LBB115_445:
	s_or_b64 exec, exec, s[12:13]
	v_mov_b32_e32 v112, 0
	ds_read_b32 v112, v112 offset:24
	s_waitcnt lgkmcnt(0)
	v_mul_f32_e32 v111, v111, v112
	buffer_store_dword v111, off, s[0:3], 0 offset:24
.LBB115_446:
	s_or_b64 exec, exec, s[10:11]
	buffer_load_dword v111, off, s[0:3], 0 offset:20
	v_cmp_lt_u32_e64 s[6:7], 5, v0
	s_waitcnt vmcnt(0)
	ds_write_b32 v106, v111
	s_waitcnt lgkmcnt(0)
	; wave barrier
	s_waitcnt lgkmcnt(0)
	s_and_saveexec_b64 s[10:11], s[6:7]
	s_cbranch_execz .LBB115_456
; %bb.447:
	s_andn2_b64 vcc, exec, s[8:9]
	s_cbranch_vccnz .LBB115_449
; %bb.448:
	buffer_load_dword v111, v107, s[0:3], 0 offen
	ds_read_b32 v112, v106
	s_waitcnt vmcnt(0) lgkmcnt(0)
	v_mul_f32_e32 v111, v111, v112
	s_cbranch_execz .LBB115_450
	s_branch .LBB115_451
.LBB115_449:
                                        ; implicit-def: $vgpr111
.LBB115_450:
	ds_read_b32 v111, v106
.LBB115_451:
	s_and_saveexec_b64 s[12:13], s[4:5]
	s_cbranch_execz .LBB115_455
; %bb.452:
	v_add_u32_e32 v112, -6, v0
	s_movk_i32 s14, 0xe8
	s_mov_b64 s[4:5], 0
.LBB115_453:                            ; =>This Inner Loop Header: Depth=1
	buffer_load_dword v113, v110, s[0:3], 0 offen
	v_mov_b32_e32 v114, s14
	ds_read_b32 v114, v114
	v_add_u32_e32 v112, -1, v112
	s_add_i32 s14, s14, 4
	v_cmp_eq_u32_e32 vcc, 0, v112
	v_add_u32_e32 v110, 4, v110
	s_or_b64 s[4:5], vcc, s[4:5]
	s_waitcnt vmcnt(0) lgkmcnt(0)
	v_fmac_f32_e32 v111, v113, v114
	s_andn2_b64 exec, exec, s[4:5]
	s_cbranch_execnz .LBB115_453
; %bb.454:
	s_or_b64 exec, exec, s[4:5]
.LBB115_455:
	s_or_b64 exec, exec, s[12:13]
	v_mov_b32_e32 v110, 0
	ds_read_b32 v110, v110 offset:20
	s_waitcnt lgkmcnt(0)
	v_mul_f32_e32 v110, v111, v110
	buffer_store_dword v110, off, s[0:3], 0 offset:20
.LBB115_456:
	s_or_b64 exec, exec, s[10:11]
	buffer_load_dword v110, off, s[0:3], 0 offset:16
	v_cmp_lt_u32_e64 s[4:5], 4, v0
	s_waitcnt vmcnt(0)
	ds_write_b32 v106, v110
	s_waitcnt lgkmcnt(0)
	; wave barrier
	s_waitcnt lgkmcnt(0)
	s_and_saveexec_b64 s[10:11], s[4:5]
	s_cbranch_execz .LBB115_466
; %bb.457:
	s_andn2_b64 vcc, exec, s[8:9]
	s_cbranch_vccnz .LBB115_459
; %bb.458:
	buffer_load_dword v110, v107, s[0:3], 0 offen
	ds_read_b32 v111, v106
	s_waitcnt vmcnt(0) lgkmcnt(0)
	v_mul_f32_e32 v110, v110, v111
	s_cbranch_execz .LBB115_460
	s_branch .LBB115_461
.LBB115_459:
                                        ; implicit-def: $vgpr110
.LBB115_460:
	ds_read_b32 v110, v106
.LBB115_461:
	s_and_saveexec_b64 s[12:13], s[6:7]
	s_cbranch_execz .LBB115_465
; %bb.462:
	v_mov_b32_e32 v111, 0
	v_add_u32_e32 v111, 20, v111
	v_add_u32_e32 v112, -5, v0
	s_movk_i32 s14, 0xe4
	s_mov_b64 s[6:7], 0
.LBB115_463:                            ; =>This Inner Loop Header: Depth=1
	buffer_load_dword v113, v111, s[0:3], 0 offen
	v_mov_b32_e32 v114, s14
	ds_read_b32 v114, v114
	v_add_u32_e32 v112, -1, v112
	s_add_i32 s14, s14, 4
	v_cmp_eq_u32_e32 vcc, 0, v112
	v_add_u32_e32 v111, 4, v111
	s_or_b64 s[6:7], vcc, s[6:7]
	s_waitcnt vmcnt(0) lgkmcnt(0)
	v_fmac_f32_e32 v110, v113, v114
	s_andn2_b64 exec, exec, s[6:7]
	s_cbranch_execnz .LBB115_463
; %bb.464:
	s_or_b64 exec, exec, s[6:7]
.LBB115_465:
	s_or_b64 exec, exec, s[12:13]
	v_mov_b32_e32 v111, 0
	ds_read_b32 v111, v111 offset:16
	s_waitcnt lgkmcnt(0)
	v_mul_f32_e32 v110, v110, v111
	buffer_store_dword v110, off, s[0:3], 0 offset:16
.LBB115_466:
	s_or_b64 exec, exec, s[10:11]
	buffer_load_dword v110, off, s[0:3], 0 offset:12
	v_cmp_lt_u32_e64 s[6:7], 3, v0
	s_waitcnt vmcnt(0)
	ds_write_b32 v106, v110
	s_waitcnt lgkmcnt(0)
	; wave barrier
	s_waitcnt lgkmcnt(0)
	s_and_saveexec_b64 s[10:11], s[6:7]
	s_cbranch_execz .LBB115_476
; %bb.467:
	s_andn2_b64 vcc, exec, s[8:9]
	s_cbranch_vccnz .LBB115_469
; %bb.468:
	buffer_load_dword v110, v107, s[0:3], 0 offen
	ds_read_b32 v111, v106
	s_waitcnt vmcnt(0) lgkmcnt(0)
	v_mul_f32_e32 v110, v110, v111
	s_cbranch_execz .LBB115_470
	s_branch .LBB115_471
.LBB115_469:
                                        ; implicit-def: $vgpr110
.LBB115_470:
	ds_read_b32 v110, v106
.LBB115_471:
	s_and_saveexec_b64 s[12:13], s[4:5]
	s_cbranch_execz .LBB115_475
; %bb.472:
	v_add_u32_e32 v111, -4, v0
	s_movk_i32 s14, 0xe0
	s_mov_b64 s[4:5], 0
.LBB115_473:                            ; =>This Inner Loop Header: Depth=1
	buffer_load_dword v112, v109, s[0:3], 0 offen
	v_mov_b32_e32 v113, s14
	ds_read_b32 v113, v113
	v_add_u32_e32 v111, -1, v111
	s_add_i32 s14, s14, 4
	v_cmp_eq_u32_e32 vcc, 0, v111
	v_add_u32_e32 v109, 4, v109
	s_or_b64 s[4:5], vcc, s[4:5]
	s_waitcnt vmcnt(0) lgkmcnt(0)
	v_fmac_f32_e32 v110, v112, v113
	s_andn2_b64 exec, exec, s[4:5]
	s_cbranch_execnz .LBB115_473
; %bb.474:
	s_or_b64 exec, exec, s[4:5]
.LBB115_475:
	s_or_b64 exec, exec, s[12:13]
	v_mov_b32_e32 v109, 0
	ds_read_b32 v109, v109 offset:12
	s_waitcnt lgkmcnt(0)
	v_mul_f32_e32 v109, v110, v109
	buffer_store_dword v109, off, s[0:3], 0 offset:12
.LBB115_476:
	s_or_b64 exec, exec, s[10:11]
	buffer_load_dword v109, off, s[0:3], 0 offset:8
	v_cmp_lt_u32_e64 s[4:5], 2, v0
	s_waitcnt vmcnt(0)
	ds_write_b32 v106, v109
	s_waitcnt lgkmcnt(0)
	; wave barrier
	s_waitcnt lgkmcnt(0)
	s_and_saveexec_b64 s[10:11], s[4:5]
	s_cbranch_execz .LBB115_486
; %bb.477:
	s_andn2_b64 vcc, exec, s[8:9]
	s_cbranch_vccnz .LBB115_479
; %bb.478:
	buffer_load_dword v109, v107, s[0:3], 0 offen
	ds_read_b32 v110, v106
	s_waitcnt vmcnt(0) lgkmcnt(0)
	v_mul_f32_e32 v109, v109, v110
	s_cbranch_execz .LBB115_480
	s_branch .LBB115_481
.LBB115_479:
                                        ; implicit-def: $vgpr109
.LBB115_480:
	ds_read_b32 v109, v106
.LBB115_481:
	s_and_saveexec_b64 s[12:13], s[6:7]
	s_cbranch_execz .LBB115_485
; %bb.482:
	v_mov_b32_e32 v110, 0
	v_or_b32_e32 v110, 12, v110
	v_add_u32_e32 v111, -3, v0
	s_movk_i32 s14, 0xdc
	s_mov_b64 s[6:7], 0
.LBB115_483:                            ; =>This Inner Loop Header: Depth=1
	buffer_load_dword v112, v110, s[0:3], 0 offen
	v_mov_b32_e32 v113, s14
	ds_read_b32 v113, v113
	v_add_u32_e32 v111, -1, v111
	s_add_i32 s14, s14, 4
	v_cmp_eq_u32_e32 vcc, 0, v111
	v_add_u32_e32 v110, 4, v110
	s_or_b64 s[6:7], vcc, s[6:7]
	s_waitcnt vmcnt(0) lgkmcnt(0)
	v_fmac_f32_e32 v109, v112, v113
	s_andn2_b64 exec, exec, s[6:7]
	s_cbranch_execnz .LBB115_483
; %bb.484:
	s_or_b64 exec, exec, s[6:7]
.LBB115_485:
	s_or_b64 exec, exec, s[12:13]
	v_mov_b32_e32 v110, 0
	ds_read_b32 v110, v110 offset:8
	s_waitcnt lgkmcnt(0)
	v_mul_f32_e32 v109, v109, v110
	buffer_store_dword v109, off, s[0:3], 0 offset:8
.LBB115_486:
	s_or_b64 exec, exec, s[10:11]
	buffer_load_dword v109, off, s[0:3], 0 offset:4
	v_cmp_lt_u32_e64 s[6:7], 1, v0
	s_waitcnt vmcnt(0)
	ds_write_b32 v106, v109
	s_waitcnt lgkmcnt(0)
	; wave barrier
	s_waitcnt lgkmcnt(0)
	s_and_saveexec_b64 s[10:11], s[6:7]
	s_cbranch_execz .LBB115_496
; %bb.487:
	s_andn2_b64 vcc, exec, s[8:9]
	s_cbranch_vccnz .LBB115_489
; %bb.488:
	buffer_load_dword v109, v107, s[0:3], 0 offen
	ds_read_b32 v110, v106
	s_waitcnt vmcnt(0) lgkmcnt(0)
	v_mul_f32_e32 v109, v109, v110
	s_cbranch_execz .LBB115_490
	s_branch .LBB115_491
.LBB115_489:
                                        ; implicit-def: $vgpr109
.LBB115_490:
	ds_read_b32 v109, v106
.LBB115_491:
	s_and_saveexec_b64 s[12:13], s[4:5]
	s_cbranch_execz .LBB115_495
; %bb.492:
	v_add_u32_e32 v110, -2, v0
	s_movk_i32 s14, 0xd8
	s_mov_b64 s[4:5], 0
.LBB115_493:                            ; =>This Inner Loop Header: Depth=1
	buffer_load_dword v111, v108, s[0:3], 0 offen
	v_mov_b32_e32 v112, s14
	ds_read_b32 v112, v112
	v_add_u32_e32 v110, -1, v110
	s_add_i32 s14, s14, 4
	v_cmp_eq_u32_e32 vcc, 0, v110
	v_add_u32_e32 v108, 4, v108
	s_or_b64 s[4:5], vcc, s[4:5]
	s_waitcnt vmcnt(0) lgkmcnt(0)
	v_fmac_f32_e32 v109, v111, v112
	s_andn2_b64 exec, exec, s[4:5]
	s_cbranch_execnz .LBB115_493
; %bb.494:
	s_or_b64 exec, exec, s[4:5]
.LBB115_495:
	s_or_b64 exec, exec, s[12:13]
	v_mov_b32_e32 v108, 0
	ds_read_b32 v108, v108 offset:4
	s_waitcnt lgkmcnt(0)
	v_mul_f32_e32 v108, v109, v108
	buffer_store_dword v108, off, s[0:3], 0 offset:4
.LBB115_496:
	s_or_b64 exec, exec, s[10:11]
	buffer_load_dword v108, off, s[0:3], 0
	v_cmp_ne_u32_e32 vcc, 0, v0
	s_waitcnt vmcnt(0)
	ds_write_b32 v106, v108
	s_waitcnt lgkmcnt(0)
	; wave barrier
	s_waitcnt lgkmcnt(0)
	s_and_saveexec_b64 s[4:5], vcc
	s_cbranch_execz .LBB115_506
; %bb.497:
	s_andn2_b64 vcc, exec, s[8:9]
	s_cbranch_vccnz .LBB115_499
; %bb.498:
	buffer_load_dword v108, v107, s[0:3], 0 offen
	ds_read_b32 v109, v106
	s_waitcnt vmcnt(0) lgkmcnt(0)
	v_mul_f32_e32 v108, v108, v109
	s_cbranch_execz .LBB115_500
	s_branch .LBB115_501
.LBB115_499:
                                        ; implicit-def: $vgpr108
.LBB115_500:
	ds_read_b32 v108, v106
.LBB115_501:
	s_and_saveexec_b64 s[10:11], s[6:7]
	s_cbranch_execz .LBB115_505
; %bb.502:
	v_mov_b32_e32 v109, 0
	v_or_b32_e32 v109, 4, v109
	v_add_u32_e32 v110, -1, v0
	s_movk_i32 s12, 0xd4
	s_mov_b64 s[6:7], 0
.LBB115_503:                            ; =>This Inner Loop Header: Depth=1
	buffer_load_dword v111, v109, s[0:3], 0 offen
	v_mov_b32_e32 v112, s12
	ds_read_b32 v112, v112
	v_add_u32_e32 v110, -1, v110
	s_add_i32 s12, s12, 4
	v_cmp_eq_u32_e32 vcc, 0, v110
	v_add_u32_e32 v109, 4, v109
	s_or_b64 s[6:7], vcc, s[6:7]
	s_waitcnt vmcnt(0) lgkmcnt(0)
	v_fmac_f32_e32 v108, v111, v112
	s_andn2_b64 exec, exec, s[6:7]
	s_cbranch_execnz .LBB115_503
; %bb.504:
	s_or_b64 exec, exec, s[6:7]
.LBB115_505:
	s_or_b64 exec, exec, s[10:11]
	v_mov_b32_e32 v109, 0
	ds_read_b32 v109, v109
	s_waitcnt lgkmcnt(0)
	v_mul_f32_e32 v108, v108, v109
	buffer_store_dword v108, off, s[0:3], 0
.LBB115_506:
	s_or_b64 exec, exec, s[4:5]
	s_mov_b64 s[4:5], 0
.LBB115_507:
	s_and_b64 vcc, exec, s[4:5]
	s_cbranch_vccz .LBB115_1011
; %bb.508:
	buffer_load_dword v108, off, s[0:3], 0 offset:4
	v_cmp_eq_u32_e64 s[6:7], 0, v0
	s_waitcnt vmcnt(0)
	ds_write_b32 v106, v108
	s_waitcnt lgkmcnt(0)
	; wave barrier
	s_waitcnt lgkmcnt(0)
	s_and_saveexec_b64 s[4:5], s[6:7]
	s_cbranch_execz .LBB115_514
; %bb.509:
	s_and_b64 vcc, exec, s[8:9]
	s_cbranch_vccz .LBB115_511
; %bb.510:
	buffer_load_dword v108, v107, s[0:3], 0 offen
	ds_read_b32 v109, v106
	s_waitcnt vmcnt(0) lgkmcnt(0)
	v_mul_f32_e32 v108, v108, v109
	s_cbranch_execz .LBB115_512
	s_branch .LBB115_513
.LBB115_511:
                                        ; implicit-def: $vgpr108
.LBB115_512:
	ds_read_b32 v108, v106
.LBB115_513:
	v_mov_b32_e32 v109, 0
	ds_read_b32 v109, v109 offset:4
	s_waitcnt lgkmcnt(0)
	v_mul_f32_e32 v108, v108, v109
	buffer_store_dword v108, off, s[0:3], 0 offset:4
.LBB115_514:
	s_or_b64 exec, exec, s[4:5]
	buffer_load_dword v108, off, s[0:3], 0 offset:8
	v_cndmask_b32_e64 v109, 0, 1, s[8:9]
	v_cmp_gt_u32_e32 vcc, 2, v0
	v_cmp_ne_u32_e64 s[4:5], 1, v109
	s_waitcnt vmcnt(0)
	ds_write_b32 v106, v108
	s_waitcnt lgkmcnt(0)
	; wave barrier
	s_waitcnt lgkmcnt(0)
	s_and_saveexec_b64 s[8:9], vcc
	s_cbranch_execz .LBB115_522
; %bb.515:
	s_and_b64 vcc, exec, s[4:5]
	s_cbranch_vccnz .LBB115_517
; %bb.516:
	buffer_load_dword v108, v107, s[0:3], 0 offen
	ds_read_b32 v109, v106
	s_waitcnt vmcnt(0) lgkmcnt(0)
	v_mul_f32_e32 v108, v108, v109
	s_cbranch_execz .LBB115_518
	s_branch .LBB115_519
.LBB115_517:
                                        ; implicit-def: $vgpr108
.LBB115_518:
	ds_read_b32 v108, v106
.LBB115_519:
	s_and_saveexec_b64 s[10:11], s[6:7]
	s_cbranch_execz .LBB115_521
; %bb.520:
	buffer_load_dword v109, v107, s[0:3], 0 offen offset:4
	ds_read_b32 v110, v106 offset:4
	s_waitcnt vmcnt(0) lgkmcnt(0)
	v_fmac_f32_e32 v108, v109, v110
.LBB115_521:
	s_or_b64 exec, exec, s[10:11]
	v_mov_b32_e32 v109, 0
	ds_read_b32 v109, v109 offset:8
	s_waitcnt lgkmcnt(0)
	v_mul_f32_e32 v108, v108, v109
	buffer_store_dword v108, off, s[0:3], 0 offset:8
.LBB115_522:
	s_or_b64 exec, exec, s[8:9]
	buffer_load_dword v108, off, s[0:3], 0 offset:12
	v_cmp_gt_u32_e32 vcc, 3, v0
	s_waitcnt vmcnt(0)
	ds_write_b32 v106, v108
	s_waitcnt lgkmcnt(0)
	; wave barrier
	s_waitcnt lgkmcnt(0)
	s_and_saveexec_b64 s[8:9], vcc
	s_cbranch_execz .LBB115_530
; %bb.523:
	s_and_b64 vcc, exec, s[4:5]
	s_cbranch_vccnz .LBB115_525
; %bb.524:
	buffer_load_dword v108, v107, s[0:3], 0 offen
	ds_read_b32 v109, v106
	s_waitcnt vmcnt(0) lgkmcnt(0)
	v_mul_f32_e32 v108, v108, v109
	s_cbranch_execz .LBB115_526
	s_branch .LBB115_527
.LBB115_525:
                                        ; implicit-def: $vgpr108
.LBB115_526:
	ds_read_b32 v108, v106
.LBB115_527:
	v_cmp_ne_u32_e32 vcc, 2, v0
	s_and_saveexec_b64 s[10:11], vcc
	s_cbranch_execz .LBB115_529
; %bb.528:
	buffer_load_dword v109, v107, s[0:3], 0 offen offset:4
	buffer_load_dword v110, off, s[0:3], 0 offset:8
	v_mov_b32_e32 v111, 0
	ds_read_b32 v112, v106 offset:4
	ds_read_b32 v111, v111 offset:216
	s_waitcnt vmcnt(1) lgkmcnt(1)
	v_fmac_f32_e32 v108, v109, v112
	s_waitcnt vmcnt(0) lgkmcnt(0)
	v_fma_f32 v109, v110, v111, v108
	v_cndmask_b32_e64 v108, v108, v109, s[6:7]
.LBB115_529:
	s_or_b64 exec, exec, s[10:11]
	v_mov_b32_e32 v109, 0
	ds_read_b32 v109, v109 offset:12
	s_waitcnt lgkmcnt(0)
	v_mul_f32_e32 v108, v108, v109
	buffer_store_dword v108, off, s[0:3], 0 offset:12
.LBB115_530:
	s_or_b64 exec, exec, s[8:9]
	buffer_load_dword v108, off, s[0:3], 0 offset:16
	v_cmp_gt_u32_e32 vcc, 4, v0
	s_waitcnt vmcnt(0)
	ds_write_b32 v106, v108
	s_waitcnt lgkmcnt(0)
	; wave barrier
	s_waitcnt lgkmcnt(0)
	s_and_saveexec_b64 s[6:7], vcc
	s_cbranch_execz .LBB115_540
; %bb.531:
	s_and_b64 vcc, exec, s[4:5]
	s_cbranch_vccnz .LBB115_533
; %bb.532:
	buffer_load_dword v108, v107, s[0:3], 0 offen
	ds_read_b32 v109, v106
	s_waitcnt vmcnt(0) lgkmcnt(0)
	v_mul_f32_e32 v108, v108, v109
	s_cbranch_execz .LBB115_534
	s_branch .LBB115_535
.LBB115_533:
                                        ; implicit-def: $vgpr108
.LBB115_534:
	ds_read_b32 v108, v106
.LBB115_535:
	v_cmp_ne_u32_e32 vcc, 3, v0
	s_and_saveexec_b64 s[8:9], vcc
	s_cbranch_execz .LBB115_539
; %bb.536:
	v_mov_b32_e32 v110, 0
	v_add_u32_e32 v109, 0xd4, v1
	v_add3_u32 v110, v1, v110, 4
	s_mov_b64 s[10:11], 0
	v_mov_b32_e32 v111, v0
.LBB115_537:                            ; =>This Inner Loop Header: Depth=1
	buffer_load_dword v112, v110, s[0:3], 0 offen
	ds_read_b32 v113, v109
	v_add_u32_e32 v111, 1, v111
	v_cmp_lt_u32_e32 vcc, 2, v111
	v_add_u32_e32 v109, 4, v109
	v_add_u32_e32 v110, 4, v110
	s_or_b64 s[10:11], vcc, s[10:11]
	s_waitcnt vmcnt(0) lgkmcnt(0)
	v_fmac_f32_e32 v108, v112, v113
	s_andn2_b64 exec, exec, s[10:11]
	s_cbranch_execnz .LBB115_537
; %bb.538:
	s_or_b64 exec, exec, s[10:11]
.LBB115_539:
	s_or_b64 exec, exec, s[8:9]
	v_mov_b32_e32 v109, 0
	ds_read_b32 v109, v109 offset:16
	s_waitcnt lgkmcnt(0)
	v_mul_f32_e32 v108, v108, v109
	buffer_store_dword v108, off, s[0:3], 0 offset:16
.LBB115_540:
	s_or_b64 exec, exec, s[6:7]
	buffer_load_dword v108, off, s[0:3], 0 offset:20
	v_cmp_gt_u32_e32 vcc, 5, v0
	s_waitcnt vmcnt(0)
	ds_write_b32 v106, v108
	s_waitcnt lgkmcnt(0)
	; wave barrier
	s_waitcnt lgkmcnt(0)
	s_and_saveexec_b64 s[6:7], vcc
	s_cbranch_execz .LBB115_550
; %bb.541:
	s_and_b64 vcc, exec, s[4:5]
	s_cbranch_vccnz .LBB115_543
; %bb.542:
	buffer_load_dword v108, v107, s[0:3], 0 offen
	ds_read_b32 v109, v106
	s_waitcnt vmcnt(0) lgkmcnt(0)
	v_mul_f32_e32 v108, v108, v109
	s_cbranch_execz .LBB115_544
	s_branch .LBB115_545
.LBB115_543:
                                        ; implicit-def: $vgpr108
.LBB115_544:
	ds_read_b32 v108, v106
.LBB115_545:
	v_cmp_ne_u32_e32 vcc, 4, v0
	s_and_saveexec_b64 s[8:9], vcc
	s_cbranch_execz .LBB115_549
; %bb.546:
	v_mov_b32_e32 v110, 0
	v_add_u32_e32 v109, 0xd4, v1
	v_add3_u32 v110, v1, v110, 4
	s_mov_b64 s[10:11], 0
	v_mov_b32_e32 v111, v0
.LBB115_547:                            ; =>This Inner Loop Header: Depth=1
	buffer_load_dword v112, v110, s[0:3], 0 offen
	ds_read_b32 v113, v109
	v_add_u32_e32 v111, 1, v111
	v_cmp_lt_u32_e32 vcc, 3, v111
	v_add_u32_e32 v109, 4, v109
	v_add_u32_e32 v110, 4, v110
	s_or_b64 s[10:11], vcc, s[10:11]
	s_waitcnt vmcnt(0) lgkmcnt(0)
	v_fmac_f32_e32 v108, v112, v113
	s_andn2_b64 exec, exec, s[10:11]
	s_cbranch_execnz .LBB115_547
; %bb.548:
	s_or_b64 exec, exec, s[10:11]
.LBB115_549:
	s_or_b64 exec, exec, s[8:9]
	v_mov_b32_e32 v109, 0
	ds_read_b32 v109, v109 offset:20
	s_waitcnt lgkmcnt(0)
	v_mul_f32_e32 v108, v108, v109
	buffer_store_dword v108, off, s[0:3], 0 offset:20
.LBB115_550:
	;; [unrolled: 56-line block ×46, first 2 shown]
	s_or_b64 exec, exec, s[6:7]
	buffer_load_dword v108, off, s[0:3], 0 offset:200
	v_cmp_gt_u32_e64 s[6:7], 50, v0
	s_waitcnt vmcnt(0)
	ds_write_b32 v106, v108
	s_waitcnt lgkmcnt(0)
	; wave barrier
	s_waitcnt lgkmcnt(0)
	s_and_saveexec_b64 s[8:9], s[6:7]
	s_cbranch_execz .LBB115_1000
; %bb.991:
	s_and_b64 vcc, exec, s[4:5]
	s_cbranch_vccnz .LBB115_993
; %bb.992:
	buffer_load_dword v108, v107, s[0:3], 0 offen
	ds_read_b32 v109, v106
	s_waitcnt vmcnt(0) lgkmcnt(0)
	v_mul_f32_e32 v108, v108, v109
	s_cbranch_execz .LBB115_994
	s_branch .LBB115_995
.LBB115_993:
                                        ; implicit-def: $vgpr108
.LBB115_994:
	ds_read_b32 v108, v106
.LBB115_995:
	v_cmp_ne_u32_e32 vcc, 49, v0
	s_and_saveexec_b64 s[10:11], vcc
	s_cbranch_execz .LBB115_999
; %bb.996:
	v_mov_b32_e32 v110, 0
	v_add_u32_e32 v109, 0xd4, v1
	v_add3_u32 v110, v1, v110, 4
	s_mov_b64 s[12:13], 0
	v_mov_b32_e32 v111, v0
.LBB115_997:                            ; =>This Inner Loop Header: Depth=1
	buffer_load_dword v112, v110, s[0:3], 0 offen
	ds_read_b32 v113, v109
	v_add_u32_e32 v111, 1, v111
	v_cmp_lt_u32_e32 vcc, 48, v111
	v_add_u32_e32 v109, 4, v109
	v_add_u32_e32 v110, 4, v110
	s_or_b64 s[12:13], vcc, s[12:13]
	s_waitcnt vmcnt(0) lgkmcnt(0)
	v_fmac_f32_e32 v108, v112, v113
	s_andn2_b64 exec, exec, s[12:13]
	s_cbranch_execnz .LBB115_997
; %bb.998:
	s_or_b64 exec, exec, s[12:13]
.LBB115_999:
	s_or_b64 exec, exec, s[10:11]
	v_mov_b32_e32 v109, 0
	ds_read_b32 v109, v109 offset:200
	s_waitcnt lgkmcnt(0)
	v_mul_f32_e32 v108, v108, v109
	buffer_store_dword v108, off, s[0:3], 0 offset:200
.LBB115_1000:
	s_or_b64 exec, exec, s[8:9]
	buffer_load_dword v108, off, s[0:3], 0 offset:204
	v_cmp_ne_u32_e32 vcc, 51, v0
	s_waitcnt vmcnt(0)
	ds_write_b32 v106, v108
	s_waitcnt lgkmcnt(0)
	; wave barrier
	s_waitcnt lgkmcnt(0)
	s_and_saveexec_b64 s[8:9], vcc
	s_cbranch_execz .LBB115_1010
; %bb.1001:
	s_and_b64 vcc, exec, s[4:5]
	s_cbranch_vccnz .LBB115_1003
; %bb.1002:
	buffer_load_dword v107, v107, s[0:3], 0 offen
	ds_read_b32 v108, v106
	s_waitcnt vmcnt(0) lgkmcnt(0)
	v_mul_f32_e32 v107, v107, v108
	s_cbranch_execz .LBB115_1004
	s_branch .LBB115_1005
.LBB115_1003:
                                        ; implicit-def: $vgpr107
.LBB115_1004:
	ds_read_b32 v107, v106
.LBB115_1005:
	s_and_saveexec_b64 s[4:5], s[6:7]
	s_cbranch_execz .LBB115_1009
; %bb.1006:
	v_mov_b32_e32 v108, 0
	v_add_u32_e32 v106, 0xd4, v1
	v_add3_u32 v1, v1, v108, 4
	s_mov_b64 s[6:7], 0
.LBB115_1007:                           ; =>This Inner Loop Header: Depth=1
	buffer_load_dword v108, v1, s[0:3], 0 offen
	ds_read_b32 v109, v106
	v_add_u32_e32 v0, 1, v0
	v_cmp_lt_u32_e32 vcc, 49, v0
	v_add_u32_e32 v106, 4, v106
	v_add_u32_e32 v1, 4, v1
	s_or_b64 s[6:7], vcc, s[6:7]
	s_waitcnt vmcnt(0) lgkmcnt(0)
	v_fmac_f32_e32 v107, v108, v109
	s_andn2_b64 exec, exec, s[6:7]
	s_cbranch_execnz .LBB115_1007
; %bb.1008:
	s_or_b64 exec, exec, s[6:7]
.LBB115_1009:
	s_or_b64 exec, exec, s[4:5]
	v_mov_b32_e32 v0, 0
	ds_read_b32 v0, v0 offset:204
	s_waitcnt lgkmcnt(0)
	v_mul_f32_e32 v0, v107, v0
	buffer_store_dword v0, off, s[0:3], 0 offset:204
.LBB115_1010:
	s_or_b64 exec, exec, s[8:9]
.LBB115_1011:
	buffer_load_dword v0, off, s[0:3], 0
	buffer_load_dword v1, off, s[0:3], 0 offset:4
	buffer_load_dword v106, off, s[0:3], 0 offset:8
	;; [unrolled: 1-line block ×51, first 2 shown]
	s_waitcnt vmcnt(51)
	global_store_dword v[100:101], v0, off
	s_waitcnt vmcnt(51)
	global_store_dword v[102:103], v1, off
	;; [unrolled: 2-line block ×52, first 2 shown]
.LBB115_1012:
	s_endpgm
	.section	.rodata,"a",@progbits
	.p2align	6, 0x0
	.amdhsa_kernel _ZN9rocsolver6v33100L18trti2_kernel_smallILi52EfPKPfEEv13rocblas_fill_17rocblas_diagonal_T1_iil
		.amdhsa_group_segment_fixed_size 416
		.amdhsa_private_segment_fixed_size 224
		.amdhsa_kernarg_size 32
		.amdhsa_user_sgpr_count 8
		.amdhsa_user_sgpr_private_segment_buffer 1
		.amdhsa_user_sgpr_dispatch_ptr 0
		.amdhsa_user_sgpr_queue_ptr 0
		.amdhsa_user_sgpr_kernarg_segment_ptr 1
		.amdhsa_user_sgpr_dispatch_id 0
		.amdhsa_user_sgpr_flat_scratch_init 1
		.amdhsa_user_sgpr_kernarg_preload_length 0
		.amdhsa_user_sgpr_kernarg_preload_offset 0
		.amdhsa_user_sgpr_private_segment_size 0
		.amdhsa_uses_dynamic_stack 0
		.amdhsa_system_sgpr_private_segment_wavefront_offset 1
		.amdhsa_system_sgpr_workgroup_id_x 1
		.amdhsa_system_sgpr_workgroup_id_y 0
		.amdhsa_system_sgpr_workgroup_id_z 0
		.amdhsa_system_sgpr_workgroup_info 0
		.amdhsa_system_vgpr_workitem_id 0
		.amdhsa_next_free_vgpr 158
		.amdhsa_next_free_sgpr 16
		.amdhsa_accum_offset 160
		.amdhsa_reserve_vcc 1
		.amdhsa_reserve_flat_scratch 0
		.amdhsa_float_round_mode_32 0
		.amdhsa_float_round_mode_16_64 0
		.amdhsa_float_denorm_mode_32 3
		.amdhsa_float_denorm_mode_16_64 3
		.amdhsa_dx10_clamp 1
		.amdhsa_ieee_mode 1
		.amdhsa_fp16_overflow 0
		.amdhsa_tg_split 0
		.amdhsa_exception_fp_ieee_invalid_op 0
		.amdhsa_exception_fp_denorm_src 0
		.amdhsa_exception_fp_ieee_div_zero 0
		.amdhsa_exception_fp_ieee_overflow 0
		.amdhsa_exception_fp_ieee_underflow 0
		.amdhsa_exception_fp_ieee_inexact 0
		.amdhsa_exception_int_div_zero 0
	.end_amdhsa_kernel
	.section	.text._ZN9rocsolver6v33100L18trti2_kernel_smallILi52EfPKPfEEv13rocblas_fill_17rocblas_diagonal_T1_iil,"axG",@progbits,_ZN9rocsolver6v33100L18trti2_kernel_smallILi52EfPKPfEEv13rocblas_fill_17rocblas_diagonal_T1_iil,comdat
.Lfunc_end115:
	.size	_ZN9rocsolver6v33100L18trti2_kernel_smallILi52EfPKPfEEv13rocblas_fill_17rocblas_diagonal_T1_iil, .Lfunc_end115-_ZN9rocsolver6v33100L18trti2_kernel_smallILi52EfPKPfEEv13rocblas_fill_17rocblas_diagonal_T1_iil
                                        ; -- End function
	.section	.AMDGPU.csdata,"",@progbits
; Kernel info:
; codeLenInByte = 25448
; NumSgprs: 20
; NumVgprs: 158
; NumAgprs: 0
; TotalNumVgprs: 158
; ScratchSize: 224
; MemoryBound: 0
; FloatMode: 240
; IeeeMode: 1
; LDSByteSize: 416 bytes/workgroup (compile time only)
; SGPRBlocks: 2
; VGPRBlocks: 19
; NumSGPRsForWavesPerEU: 20
; NumVGPRsForWavesPerEU: 158
; AccumOffset: 160
; Occupancy: 3
; WaveLimiterHint : 1
; COMPUTE_PGM_RSRC2:SCRATCH_EN: 1
; COMPUTE_PGM_RSRC2:USER_SGPR: 8
; COMPUTE_PGM_RSRC2:TRAP_HANDLER: 0
; COMPUTE_PGM_RSRC2:TGID_X_EN: 1
; COMPUTE_PGM_RSRC2:TGID_Y_EN: 0
; COMPUTE_PGM_RSRC2:TGID_Z_EN: 0
; COMPUTE_PGM_RSRC2:TIDIG_COMP_CNT: 0
; COMPUTE_PGM_RSRC3_GFX90A:ACCUM_OFFSET: 39
; COMPUTE_PGM_RSRC3_GFX90A:TG_SPLIT: 0
	.section	.text._ZN9rocsolver6v33100L18trti2_kernel_smallILi53EfPKPfEEv13rocblas_fill_17rocblas_diagonal_T1_iil,"axG",@progbits,_ZN9rocsolver6v33100L18trti2_kernel_smallILi53EfPKPfEEv13rocblas_fill_17rocblas_diagonal_T1_iil,comdat
	.globl	_ZN9rocsolver6v33100L18trti2_kernel_smallILi53EfPKPfEEv13rocblas_fill_17rocblas_diagonal_T1_iil ; -- Begin function _ZN9rocsolver6v33100L18trti2_kernel_smallILi53EfPKPfEEv13rocblas_fill_17rocblas_diagonal_T1_iil
	.p2align	8
	.type	_ZN9rocsolver6v33100L18trti2_kernel_smallILi53EfPKPfEEv13rocblas_fill_17rocblas_diagonal_T1_iil,@function
_ZN9rocsolver6v33100L18trti2_kernel_smallILi53EfPKPfEEv13rocblas_fill_17rocblas_diagonal_T1_iil: ; @_ZN9rocsolver6v33100L18trti2_kernel_smallILi53EfPKPfEEv13rocblas_fill_17rocblas_diagonal_T1_iil
; %bb.0:
	s_add_u32 s0, s0, s9
	s_addc_u32 s1, s1, 0
	v_cmp_gt_u32_e32 vcc, 53, v0
	s_and_saveexec_b64 s[6:7], vcc
	s_cbranch_execz .LBB116_1032
; %bb.1:
	s_load_dwordx2 s[6:7], s[4:5], 0x10
	s_load_dwordx4 s[12:15], s[4:5], 0x0
	s_ashr_i32 s9, s8, 31
	s_lshl_b64 s[4:5], s[8:9], 3
	s_waitcnt lgkmcnt(0)
	s_ashr_i32 s9, s6, 31
	s_add_u32 s4, s14, s4
	s_addc_u32 s5, s15, s5
	s_load_dwordx2 s[4:5], s[4:5], 0x0
	s_mov_b32 s8, s6
	s_lshl_b64 s[8:9], s[8:9], 2
	s_waitcnt lgkmcnt(0)
	s_add_u32 s4, s4, s8
	s_addc_u32 s5, s5, s9
	s_add_i32 s6, s7, s7
	v_add_u32_e32 v4, s6, v0
	v_ashrrev_i32_e32 v5, 31, v4
	v_lshlrev_b64 v[2:3], 2, v[4:5]
	v_add_u32_e32 v6, s7, v4
	v_mov_b32_e32 v1, s5
	v_add_co_u32_e32 v2, vcc, s4, v2
	v_ashrrev_i32_e32 v7, 31, v6
	v_addc_co_u32_e32 v3, vcc, v1, v3, vcc
	v_lshlrev_b64 v[4:5], 2, v[6:7]
	v_add_u32_e32 v8, s7, v6
	v_add_co_u32_e32 v4, vcc, s4, v4
	v_ashrrev_i32_e32 v9, 31, v8
	v_addc_co_u32_e32 v5, vcc, v1, v5, vcc
	v_lshlrev_b64 v[6:7], 2, v[8:9]
	v_add_u32_e32 v10, s7, v8
	;; [unrolled: 5-line block ×48, first 2 shown]
	v_add_co_u32_e32 v98, vcc, s4, v98
	v_ashrrev_i32_e32 v103, 31, v102
	v_addc_co_u32_e32 v99, vcc, v1, v99, vcc
	v_lshlrev_b64 v[100:101], 2, v[102:103]
	v_add_co_u32_e32 v100, vcc, s4, v100
	v_add_u32_e32 v102, s7, v102
	v_addc_co_u32_e32 v101, vcc, v1, v101, vcc
	v_ashrrev_i32_e32 v103, 31, v102
	v_lshlrev_b32_e32 v1, 2, v0
	v_lshlrev_b64 v[106:107], 2, v[102:103]
	v_mov_b32_e32 v103, s5
	v_add_co_u32_e32 v102, vcc, s4, v1
	s_ashr_i32 s9, s7, 31
	s_mov_b32 s8, s7
	v_addc_co_u32_e32 v103, vcc, 0, v103, vcc
	s_lshl_b64 s[6:7], s[8:9], 2
	v_mov_b32_e32 v105, s7
	v_add_co_u32_e32 v104, vcc, s6, v102
	v_addc_co_u32_e32 v105, vcc, v103, v105, vcc
	v_mov_b32_e32 v157, s5
	v_add_co_u32_e32 v106, vcc, s4, v106
	global_load_dword v108, v1, s[4:5]
	global_load_dword v109, v[104:105], off
	global_load_dword v110, v[2:3], off
	;; [unrolled: 1-line block ×49, first 2 shown]
	v_addc_co_u32_e32 v107, vcc, v157, v107, vcc
	global_load_dword v157, v[100:101], off
	global_load_dword v159, v[98:99], off
	;; [unrolled: 1-line block ×3, first 2 shown]
	s_cmpk_lg_i32 s13, 0x84
	s_waitcnt vmcnt(52)
	buffer_store_dword v108, off, s[0:3], 0
	s_waitcnt vmcnt(52)
	buffer_store_dword v109, off, s[0:3], 0 offset:4
	s_waitcnt vmcnt(52)
	buffer_store_dword v110, off, s[0:3], 0 offset:8
	s_waitcnt vmcnt(52)
	buffer_store_dword v111, off, s[0:3], 0 offset:12
	s_waitcnt vmcnt(52)
	buffer_store_dword v112, off, s[0:3], 0 offset:16
	s_waitcnt vmcnt(52)
	buffer_store_dword v113, off, s[0:3], 0 offset:20
	s_waitcnt vmcnt(52)
	buffer_store_dword v114, off, s[0:3], 0 offset:24
	s_waitcnt vmcnt(52)
	buffer_store_dword v115, off, s[0:3], 0 offset:28
	s_waitcnt vmcnt(52)
	buffer_store_dword v116, off, s[0:3], 0 offset:32
	s_waitcnt vmcnt(52)
	buffer_store_dword v117, off, s[0:3], 0 offset:36
	s_waitcnt vmcnt(47)
	buffer_store_dword v123, off, s[0:3], 0 offset:44
	s_waitcnt vmcnt(47)
	buffer_store_dword v124, off, s[0:3], 0 offset:40
	buffer_store_dword v118, off, s[0:3], 0 offset:48
	buffer_store_dword v119, off, s[0:3], 0 offset:52
	;; [unrolled: 1-line block ×5, first 2 shown]
	s_waitcnt vmcnt(52)
	buffer_store_dword v125, off, s[0:3], 0 offset:68
	s_waitcnt vmcnt(52)
	buffer_store_dword v126, off, s[0:3], 0 offset:72
	;; [unrolled: 2-line block ×5, first 2 shown]
	buffer_store_dword v129, off, s[0:3], 0 offset:92
	buffer_store_dword v130, off, s[0:3], 0 offset:88
	s_waitcnt vmcnt(51)
	buffer_store_dword v133, off, s[0:3], 0 offset:100
	buffer_store_dword v128, off, s[0:3], 0 offset:96
	s_waitcnt vmcnt(47)
	buffer_store_dword v139, off, s[0:3], 0 offset:108
	s_waitcnt vmcnt(47)
	buffer_store_dword v140, off, s[0:3], 0 offset:104
	buffer_store_dword v137, off, s[0:3], 0 offset:116
	buffer_store_dword v138, off, s[0:3], 0 offset:112
	buffer_store_dword v135, off, s[0:3], 0 offset:124
	buffer_store_dword v136, off, s[0:3], 0 offset:120
	s_waitcnt vmcnt(51)
	buffer_store_dword v141, off, s[0:3], 0 offset:132
	buffer_store_dword v134, off, s[0:3], 0 offset:128
	s_waitcnt vmcnt(47)
	buffer_store_dword v147, off, s[0:3], 0 offset:140
	s_waitcnt vmcnt(47)
	buffer_store_dword v148, off, s[0:3], 0 offset:136
	buffer_store_dword v145, off, s[0:3], 0 offset:148
	buffer_store_dword v146, off, s[0:3], 0 offset:144
	;; [unrolled: 11-line block ×3, first 2 shown]
	buffer_store_dword v151, off, s[0:3], 0 offset:188
	buffer_store_dword v152, off, s[0:3], 0 offset:184
	s_waitcnt vmcnt(51)
	buffer_store_dword v158, off, s[0:3], 0 offset:196
	buffer_store_dword v150, off, s[0:3], 0 offset:192
	s_waitcnt vmcnt(52)
	buffer_store_dword v157, off, s[0:3], 0 offset:204
	s_waitcnt vmcnt(52)
	;; [unrolled: 2-line block ×3, first 2 shown]
	buffer_store_dword v160, off, s[0:3], 0 offset:208
	s_cselect_b64 s[10:11], -1, 0
	s_cmpk_eq_i32 s13, 0x84
	v_mov_b32_e32 v134, 0
	v_mov_b32_e32 v108, -1.0
	s_cbranch_scc1 .LBB116_3
; %bb.2:
	v_lshl_add_u32 v108, v0, 2, v134
	buffer_load_dword v109, v108, s[0:3], 0 offen
	s_waitcnt vmcnt(0)
	v_div_scale_f32 v110, s[4:5], v109, v109, 1.0
	v_rcp_f32_e32 v111, v110
	v_div_scale_f32 v112, vcc, 1.0, v109, 1.0
	v_fma_f32 v113, -v110, v111, 1.0
	v_fmac_f32_e32 v111, v113, v111
	v_mul_f32_e32 v113, v112, v111
	v_fma_f32 v114, -v110, v113, v112
	v_fmac_f32_e32 v113, v114, v111
	v_fma_f32 v110, -v110, v113, v112
	v_div_fmas_f32 v110, v110, v111, v113
	v_div_fixup_f32 v109, v110, v109, 1.0
	buffer_store_dword v109, v108, s[0:3], 0 offen
	v_xor_b32_e32 v108, 0x80000000, v109
.LBB116_3:
	ds_write_b32 v1, v108
	s_cmpk_eq_i32 s12, 0x79
	v_add_u32_e32 v108, 0xe0, v1
	v_add_u32_e32 v109, 0, v1
	s_mov_b64 s[4:5], -1
	s_cbranch_scc1 .LBB116_517
; %bb.4:
	buffer_load_dword v110, off, s[0:3], 0 offset:204
	v_cmp_eq_u32_e64 s[4:5], 52, v0
	s_waitcnt vmcnt(0)
	ds_write_b32 v108, v110
	s_waitcnt lgkmcnt(0)
	; wave barrier
	s_waitcnt lgkmcnt(0)
	s_and_saveexec_b64 s[6:7], s[4:5]
	s_cbranch_execz .LBB116_10
; %bb.5:
	s_and_b64 vcc, exec, s[10:11]
	s_cbranch_vccz .LBB116_7
; %bb.6:
	buffer_load_dword v110, v109, s[0:3], 0 offen
	ds_read_b32 v111, v108
	s_waitcnt vmcnt(0) lgkmcnt(0)
	v_mul_f32_e32 v110, v110, v111
	s_cbranch_execz .LBB116_8
	s_branch .LBB116_9
.LBB116_7:
                                        ; implicit-def: $vgpr110
.LBB116_8:
	ds_read_b32 v110, v108
.LBB116_9:
	v_mov_b32_e32 v111, 0
	ds_read_b32 v111, v111 offset:204
	s_waitcnt lgkmcnt(0)
	v_mul_f32_e32 v110, v110, v111
	buffer_store_dword v110, off, s[0:3], 0 offset:204
.LBB116_10:
	s_or_b64 exec, exec, s[6:7]
	buffer_load_dword v135, off, s[0:3], 0 offset:200
	v_or_b32_e32 v110, 8, v134
	v_add_u32_e32 v111, 16, v134
	v_add_u32_e32 v112, 24, v134
	;; [unrolled: 1-line block ×24, first 2 shown]
	v_cmp_lt_u32_e64 s[8:9], 50, v0
	s_waitcnt vmcnt(0)
	ds_write_b32 v108, v135
	s_waitcnt lgkmcnt(0)
	; wave barrier
	s_waitcnt lgkmcnt(0)
	s_and_saveexec_b64 s[6:7], s[8:9]
	s_cbranch_execz .LBB116_16
; %bb.11:
	s_andn2_b64 vcc, exec, s[10:11]
	s_cbranch_vccnz .LBB116_13
; %bb.12:
	buffer_load_dword v135, v109, s[0:3], 0 offen
	ds_read_b32 v136, v108
	s_waitcnt vmcnt(0) lgkmcnt(0)
	v_mul_f32_e32 v135, v135, v136
	s_cbranch_execz .LBB116_14
	s_branch .LBB116_15
.LBB116_13:
                                        ; implicit-def: $vgpr135
.LBB116_14:
	ds_read_b32 v135, v108
.LBB116_15:
	buffer_load_dword v138, off, s[0:3], 0 offset:204
	v_mov_b32_e32 v136, 0
	ds_read2_b32 v[136:137], v136 offset0:50 offset1:107
	s_waitcnt vmcnt(0) lgkmcnt(0)
	v_fma_f32 v137, v138, v137, v135
	v_cndmask_b32_e64 v135, v135, v137, s[4:5]
	v_mul_f32_e32 v135, v135, v136
	buffer_store_dword v135, off, s[0:3], 0 offset:200
.LBB116_16:
	s_or_b64 exec, exec, s[6:7]
	buffer_load_dword v135, off, s[0:3], 0 offset:196
	v_cmp_lt_u32_e64 s[6:7], 49, v0
	s_waitcnt vmcnt(0)
	ds_write_b32 v108, v135
	s_waitcnt lgkmcnt(0)
	; wave barrier
	s_waitcnt lgkmcnt(0)
	s_and_saveexec_b64 s[4:5], s[6:7]
	s_cbranch_execz .LBB116_26
; %bb.17:
	s_andn2_b64 vcc, exec, s[10:11]
	s_cbranch_vccnz .LBB116_19
; %bb.18:
	buffer_load_dword v135, v109, s[0:3], 0 offen
	ds_read_b32 v136, v108
	s_waitcnt vmcnt(0) lgkmcnt(0)
	v_mul_f32_e32 v135, v135, v136
	s_cbranch_execz .LBB116_20
	s_branch .LBB116_21
.LBB116_19:
                                        ; implicit-def: $vgpr135
.LBB116_20:
	ds_read_b32 v135, v108
.LBB116_21:
	s_and_saveexec_b64 s[12:13], s[8:9]
	s_cbranch_execz .LBB116_25
; %bb.22:
	v_subrev_u32_e32 v136, 50, v0
	s_movk_i32 s14, 0x1a8
	s_mov_b64 s[8:9], 0
.LBB116_23:                             ; =>This Inner Loop Header: Depth=1
	buffer_load_dword v137, v134, s[0:3], 0 offen
	v_mov_b32_e32 v138, s14
	ds_read_b32 v138, v138
	v_add_u32_e32 v136, -1, v136
	s_add_i32 s14, s14, 4
	v_cmp_eq_u32_e32 vcc, 0, v136
	v_add_u32_e32 v134, 4, v134
	s_or_b64 s[8:9], vcc, s[8:9]
	s_waitcnt vmcnt(0) lgkmcnt(0)
	v_fmac_f32_e32 v135, v137, v138
	s_andn2_b64 exec, exec, s[8:9]
	s_cbranch_execnz .LBB116_23
; %bb.24:
	s_or_b64 exec, exec, s[8:9]
.LBB116_25:
	s_or_b64 exec, exec, s[12:13]
	v_mov_b32_e32 v134, 0
	ds_read_b32 v134, v134 offset:196
	s_waitcnt lgkmcnt(0)
	v_mul_f32_e32 v134, v135, v134
	buffer_store_dword v134, off, s[0:3], 0 offset:196
.LBB116_26:
	s_or_b64 exec, exec, s[4:5]
	buffer_load_dword v134, off, s[0:3], 0 offset:192
	v_cmp_lt_u32_e64 s[4:5], 48, v0
	s_waitcnt vmcnt(0)
	ds_write_b32 v108, v134
	s_waitcnt lgkmcnt(0)
	; wave barrier
	s_waitcnt lgkmcnt(0)
	s_and_saveexec_b64 s[8:9], s[4:5]
	s_cbranch_execz .LBB116_36
; %bb.27:
	s_andn2_b64 vcc, exec, s[10:11]
	s_cbranch_vccnz .LBB116_29
; %bb.28:
	buffer_load_dword v134, v109, s[0:3], 0 offen
	ds_read_b32 v135, v108
	s_waitcnt vmcnt(0) lgkmcnt(0)
	v_mul_f32_e32 v134, v134, v135
	s_cbranch_execz .LBB116_30
	s_branch .LBB116_31
.LBB116_29:
                                        ; implicit-def: $vgpr134
.LBB116_30:
	ds_read_b32 v134, v108
.LBB116_31:
	s_and_saveexec_b64 s[12:13], s[6:7]
	s_cbranch_execz .LBB116_35
; %bb.32:
	v_mov_b32_e32 v135, 0
	v_add_u32_e32 v135, 0xc4, v135
	v_subrev_u32_e32 v136, 49, v0
	s_movk_i32 s14, 0x1a4
	s_mov_b64 s[6:7], 0
.LBB116_33:                             ; =>This Inner Loop Header: Depth=1
	buffer_load_dword v137, v135, s[0:3], 0 offen
	v_mov_b32_e32 v138, s14
	ds_read_b32 v138, v138
	v_add_u32_e32 v136, -1, v136
	s_add_i32 s14, s14, 4
	v_cmp_eq_u32_e32 vcc, 0, v136
	v_add_u32_e32 v135, 4, v135
	s_or_b64 s[6:7], vcc, s[6:7]
	s_waitcnt vmcnt(0) lgkmcnt(0)
	v_fmac_f32_e32 v134, v137, v138
	s_andn2_b64 exec, exec, s[6:7]
	s_cbranch_execnz .LBB116_33
; %bb.34:
	s_or_b64 exec, exec, s[6:7]
.LBB116_35:
	s_or_b64 exec, exec, s[12:13]
	v_mov_b32_e32 v135, 0
	ds_read_b32 v135, v135 offset:192
	s_waitcnt lgkmcnt(0)
	v_mul_f32_e32 v134, v134, v135
	buffer_store_dword v134, off, s[0:3], 0 offset:192
.LBB116_36:
	s_or_b64 exec, exec, s[8:9]
	buffer_load_dword v134, off, s[0:3], 0 offset:188
	v_cmp_lt_u32_e64 s[6:7], 47, v0
	s_waitcnt vmcnt(0)
	ds_write_b32 v108, v134
	s_waitcnt lgkmcnt(0)
	; wave barrier
	s_waitcnt lgkmcnt(0)
	s_and_saveexec_b64 s[8:9], s[6:7]
	s_cbranch_execz .LBB116_46
; %bb.37:
	s_andn2_b64 vcc, exec, s[10:11]
	s_cbranch_vccnz .LBB116_39
; %bb.38:
	buffer_load_dword v134, v109, s[0:3], 0 offen
	ds_read_b32 v135, v108
	s_waitcnt vmcnt(0) lgkmcnt(0)
	v_mul_f32_e32 v134, v134, v135
	s_cbranch_execz .LBB116_40
	s_branch .LBB116_41
.LBB116_39:
                                        ; implicit-def: $vgpr134
.LBB116_40:
	ds_read_b32 v134, v108
.LBB116_41:
	s_and_saveexec_b64 s[12:13], s[4:5]
	s_cbranch_execz .LBB116_45
; %bb.42:
	v_subrev_u32_e32 v135, 48, v0
	s_movk_i32 s14, 0x1a0
	s_mov_b64 s[4:5], 0
.LBB116_43:                             ; =>This Inner Loop Header: Depth=1
	buffer_load_dword v136, v133, s[0:3], 0 offen
	v_mov_b32_e32 v137, s14
	ds_read_b32 v137, v137
	v_add_u32_e32 v135, -1, v135
	s_add_i32 s14, s14, 4
	v_cmp_eq_u32_e32 vcc, 0, v135
	v_add_u32_e32 v133, 4, v133
	s_or_b64 s[4:5], vcc, s[4:5]
	s_waitcnt vmcnt(0) lgkmcnt(0)
	v_fmac_f32_e32 v134, v136, v137
	s_andn2_b64 exec, exec, s[4:5]
	s_cbranch_execnz .LBB116_43
; %bb.44:
	s_or_b64 exec, exec, s[4:5]
.LBB116_45:
	s_or_b64 exec, exec, s[12:13]
	v_mov_b32_e32 v133, 0
	ds_read_b32 v133, v133 offset:188
	s_waitcnt lgkmcnt(0)
	v_mul_f32_e32 v133, v134, v133
	buffer_store_dword v133, off, s[0:3], 0 offset:188
.LBB116_46:
	s_or_b64 exec, exec, s[8:9]
	buffer_load_dword v133, off, s[0:3], 0 offset:184
	v_cmp_lt_u32_e64 s[4:5], 46, v0
	s_waitcnt vmcnt(0)
	ds_write_b32 v108, v133
	s_waitcnt lgkmcnt(0)
	; wave barrier
	s_waitcnt lgkmcnt(0)
	s_and_saveexec_b64 s[8:9], s[4:5]
	s_cbranch_execz .LBB116_56
; %bb.47:
	s_andn2_b64 vcc, exec, s[10:11]
	s_cbranch_vccnz .LBB116_49
; %bb.48:
	buffer_load_dword v133, v109, s[0:3], 0 offen
	ds_read_b32 v134, v108
	s_waitcnt vmcnt(0) lgkmcnt(0)
	v_mul_f32_e32 v133, v133, v134
	s_cbranch_execz .LBB116_50
	s_branch .LBB116_51
.LBB116_49:
                                        ; implicit-def: $vgpr133
.LBB116_50:
	ds_read_b32 v133, v108
.LBB116_51:
	s_and_saveexec_b64 s[12:13], s[6:7]
	s_cbranch_execz .LBB116_55
; %bb.52:
	v_mov_b32_e32 v134, 0
	v_add_u32_e32 v134, 0xbc, v134
	v_subrev_u32_e32 v135, 47, v0
	s_movk_i32 s14, 0x19c
	s_mov_b64 s[6:7], 0
.LBB116_53:                             ; =>This Inner Loop Header: Depth=1
	buffer_load_dword v136, v134, s[0:3], 0 offen
	v_mov_b32_e32 v137, s14
	ds_read_b32 v137, v137
	v_add_u32_e32 v135, -1, v135
	s_add_i32 s14, s14, 4
	v_cmp_eq_u32_e32 vcc, 0, v135
	v_add_u32_e32 v134, 4, v134
	s_or_b64 s[6:7], vcc, s[6:7]
	s_waitcnt vmcnt(0) lgkmcnt(0)
	v_fmac_f32_e32 v133, v136, v137
	s_andn2_b64 exec, exec, s[6:7]
	s_cbranch_execnz .LBB116_53
; %bb.54:
	s_or_b64 exec, exec, s[6:7]
.LBB116_55:
	s_or_b64 exec, exec, s[12:13]
	v_mov_b32_e32 v134, 0
	ds_read_b32 v134, v134 offset:184
	s_waitcnt lgkmcnt(0)
	v_mul_f32_e32 v133, v133, v134
	buffer_store_dword v133, off, s[0:3], 0 offset:184
.LBB116_56:
	s_or_b64 exec, exec, s[8:9]
	buffer_load_dword v133, off, s[0:3], 0 offset:180
	v_cmp_lt_u32_e64 s[6:7], 45, v0
	s_waitcnt vmcnt(0)
	ds_write_b32 v108, v133
	s_waitcnt lgkmcnt(0)
	; wave barrier
	s_waitcnt lgkmcnt(0)
	s_and_saveexec_b64 s[8:9], s[6:7]
	s_cbranch_execz .LBB116_66
; %bb.57:
	s_andn2_b64 vcc, exec, s[10:11]
	s_cbranch_vccnz .LBB116_59
; %bb.58:
	buffer_load_dword v133, v109, s[0:3], 0 offen
	ds_read_b32 v134, v108
	s_waitcnt vmcnt(0) lgkmcnt(0)
	v_mul_f32_e32 v133, v133, v134
	s_cbranch_execz .LBB116_60
	s_branch .LBB116_61
.LBB116_59:
                                        ; implicit-def: $vgpr133
.LBB116_60:
	ds_read_b32 v133, v108
.LBB116_61:
	s_and_saveexec_b64 s[12:13], s[4:5]
	s_cbranch_execz .LBB116_65
; %bb.62:
	v_subrev_u32_e32 v134, 46, v0
	s_movk_i32 s14, 0x198
	s_mov_b64 s[4:5], 0
.LBB116_63:                             ; =>This Inner Loop Header: Depth=1
	buffer_load_dword v135, v132, s[0:3], 0 offen
	v_mov_b32_e32 v136, s14
	ds_read_b32 v136, v136
	v_add_u32_e32 v134, -1, v134
	s_add_i32 s14, s14, 4
	v_cmp_eq_u32_e32 vcc, 0, v134
	v_add_u32_e32 v132, 4, v132
	s_or_b64 s[4:5], vcc, s[4:5]
	s_waitcnt vmcnt(0) lgkmcnt(0)
	v_fmac_f32_e32 v133, v135, v136
	s_andn2_b64 exec, exec, s[4:5]
	s_cbranch_execnz .LBB116_63
; %bb.64:
	s_or_b64 exec, exec, s[4:5]
.LBB116_65:
	s_or_b64 exec, exec, s[12:13]
	v_mov_b32_e32 v132, 0
	ds_read_b32 v132, v132 offset:180
	s_waitcnt lgkmcnt(0)
	v_mul_f32_e32 v132, v133, v132
	buffer_store_dword v132, off, s[0:3], 0 offset:180
.LBB116_66:
	s_or_b64 exec, exec, s[8:9]
	buffer_load_dword v132, off, s[0:3], 0 offset:176
	v_cmp_lt_u32_e64 s[4:5], 44, v0
	s_waitcnt vmcnt(0)
	ds_write_b32 v108, v132
	s_waitcnt lgkmcnt(0)
	; wave barrier
	s_waitcnt lgkmcnt(0)
	s_and_saveexec_b64 s[8:9], s[4:5]
	s_cbranch_execz .LBB116_76
; %bb.67:
	s_andn2_b64 vcc, exec, s[10:11]
	s_cbranch_vccnz .LBB116_69
; %bb.68:
	buffer_load_dword v132, v109, s[0:3], 0 offen
	ds_read_b32 v133, v108
	s_waitcnt vmcnt(0) lgkmcnt(0)
	v_mul_f32_e32 v132, v132, v133
	s_cbranch_execz .LBB116_70
	s_branch .LBB116_71
.LBB116_69:
                                        ; implicit-def: $vgpr132
.LBB116_70:
	ds_read_b32 v132, v108
.LBB116_71:
	s_and_saveexec_b64 s[12:13], s[6:7]
	s_cbranch_execz .LBB116_75
; %bb.72:
	v_mov_b32_e32 v133, 0
	v_add_u32_e32 v133, 0xb4, v133
	v_subrev_u32_e32 v134, 45, v0
	s_movk_i32 s14, 0x194
	s_mov_b64 s[6:7], 0
.LBB116_73:                             ; =>This Inner Loop Header: Depth=1
	buffer_load_dword v135, v133, s[0:3], 0 offen
	v_mov_b32_e32 v136, s14
	ds_read_b32 v136, v136
	v_add_u32_e32 v134, -1, v134
	s_add_i32 s14, s14, 4
	v_cmp_eq_u32_e32 vcc, 0, v134
	v_add_u32_e32 v133, 4, v133
	s_or_b64 s[6:7], vcc, s[6:7]
	s_waitcnt vmcnt(0) lgkmcnt(0)
	v_fmac_f32_e32 v132, v135, v136
	s_andn2_b64 exec, exec, s[6:7]
	s_cbranch_execnz .LBB116_73
; %bb.74:
	s_or_b64 exec, exec, s[6:7]
.LBB116_75:
	s_or_b64 exec, exec, s[12:13]
	v_mov_b32_e32 v133, 0
	ds_read_b32 v133, v133 offset:176
	s_waitcnt lgkmcnt(0)
	v_mul_f32_e32 v132, v132, v133
	buffer_store_dword v132, off, s[0:3], 0 offset:176
.LBB116_76:
	s_or_b64 exec, exec, s[8:9]
	buffer_load_dword v132, off, s[0:3], 0 offset:172
	v_cmp_lt_u32_e64 s[6:7], 43, v0
	s_waitcnt vmcnt(0)
	ds_write_b32 v108, v132
	s_waitcnt lgkmcnt(0)
	; wave barrier
	s_waitcnt lgkmcnt(0)
	s_and_saveexec_b64 s[8:9], s[6:7]
	s_cbranch_execz .LBB116_86
; %bb.77:
	s_andn2_b64 vcc, exec, s[10:11]
	s_cbranch_vccnz .LBB116_79
; %bb.78:
	buffer_load_dword v132, v109, s[0:3], 0 offen
	ds_read_b32 v133, v108
	s_waitcnt vmcnt(0) lgkmcnt(0)
	v_mul_f32_e32 v132, v132, v133
	s_cbranch_execz .LBB116_80
	s_branch .LBB116_81
.LBB116_79:
                                        ; implicit-def: $vgpr132
.LBB116_80:
	ds_read_b32 v132, v108
.LBB116_81:
	s_and_saveexec_b64 s[12:13], s[4:5]
	s_cbranch_execz .LBB116_85
; %bb.82:
	v_subrev_u32_e32 v133, 44, v0
	s_movk_i32 s14, 0x190
	s_mov_b64 s[4:5], 0
.LBB116_83:                             ; =>This Inner Loop Header: Depth=1
	buffer_load_dword v134, v131, s[0:3], 0 offen
	v_mov_b32_e32 v135, s14
	ds_read_b32 v135, v135
	v_add_u32_e32 v133, -1, v133
	s_add_i32 s14, s14, 4
	v_cmp_eq_u32_e32 vcc, 0, v133
	v_add_u32_e32 v131, 4, v131
	s_or_b64 s[4:5], vcc, s[4:5]
	s_waitcnt vmcnt(0) lgkmcnt(0)
	v_fmac_f32_e32 v132, v134, v135
	s_andn2_b64 exec, exec, s[4:5]
	s_cbranch_execnz .LBB116_83
; %bb.84:
	s_or_b64 exec, exec, s[4:5]
.LBB116_85:
	s_or_b64 exec, exec, s[12:13]
	v_mov_b32_e32 v131, 0
	ds_read_b32 v131, v131 offset:172
	s_waitcnt lgkmcnt(0)
	v_mul_f32_e32 v131, v132, v131
	buffer_store_dword v131, off, s[0:3], 0 offset:172
.LBB116_86:
	s_or_b64 exec, exec, s[8:9]
	buffer_load_dword v131, off, s[0:3], 0 offset:168
	v_cmp_lt_u32_e64 s[4:5], 42, v0
	s_waitcnt vmcnt(0)
	ds_write_b32 v108, v131
	s_waitcnt lgkmcnt(0)
	; wave barrier
	s_waitcnt lgkmcnt(0)
	s_and_saveexec_b64 s[8:9], s[4:5]
	s_cbranch_execz .LBB116_96
; %bb.87:
	s_andn2_b64 vcc, exec, s[10:11]
	s_cbranch_vccnz .LBB116_89
; %bb.88:
	buffer_load_dword v131, v109, s[0:3], 0 offen
	ds_read_b32 v132, v108
	s_waitcnt vmcnt(0) lgkmcnt(0)
	v_mul_f32_e32 v131, v131, v132
	s_cbranch_execz .LBB116_90
	s_branch .LBB116_91
.LBB116_89:
                                        ; implicit-def: $vgpr131
.LBB116_90:
	ds_read_b32 v131, v108
.LBB116_91:
	s_and_saveexec_b64 s[12:13], s[6:7]
	s_cbranch_execz .LBB116_95
; %bb.92:
	v_mov_b32_e32 v132, 0
	v_add_u32_e32 v132, 0xac, v132
	v_subrev_u32_e32 v133, 43, v0
	s_movk_i32 s14, 0x18c
	s_mov_b64 s[6:7], 0
.LBB116_93:                             ; =>This Inner Loop Header: Depth=1
	buffer_load_dword v134, v132, s[0:3], 0 offen
	v_mov_b32_e32 v135, s14
	ds_read_b32 v135, v135
	v_add_u32_e32 v133, -1, v133
	s_add_i32 s14, s14, 4
	v_cmp_eq_u32_e32 vcc, 0, v133
	v_add_u32_e32 v132, 4, v132
	s_or_b64 s[6:7], vcc, s[6:7]
	s_waitcnt vmcnt(0) lgkmcnt(0)
	v_fmac_f32_e32 v131, v134, v135
	s_andn2_b64 exec, exec, s[6:7]
	s_cbranch_execnz .LBB116_93
; %bb.94:
	s_or_b64 exec, exec, s[6:7]
.LBB116_95:
	s_or_b64 exec, exec, s[12:13]
	v_mov_b32_e32 v132, 0
	ds_read_b32 v132, v132 offset:168
	s_waitcnt lgkmcnt(0)
	v_mul_f32_e32 v131, v131, v132
	buffer_store_dword v131, off, s[0:3], 0 offset:168
.LBB116_96:
	s_or_b64 exec, exec, s[8:9]
	buffer_load_dword v131, off, s[0:3], 0 offset:164
	v_cmp_lt_u32_e64 s[6:7], 41, v0
	s_waitcnt vmcnt(0)
	ds_write_b32 v108, v131
	s_waitcnt lgkmcnt(0)
	; wave barrier
	s_waitcnt lgkmcnt(0)
	s_and_saveexec_b64 s[8:9], s[6:7]
	s_cbranch_execz .LBB116_106
; %bb.97:
	s_andn2_b64 vcc, exec, s[10:11]
	s_cbranch_vccnz .LBB116_99
; %bb.98:
	buffer_load_dword v131, v109, s[0:3], 0 offen
	ds_read_b32 v132, v108
	s_waitcnt vmcnt(0) lgkmcnt(0)
	v_mul_f32_e32 v131, v131, v132
	s_cbranch_execz .LBB116_100
	s_branch .LBB116_101
.LBB116_99:
                                        ; implicit-def: $vgpr131
.LBB116_100:
	ds_read_b32 v131, v108
.LBB116_101:
	s_and_saveexec_b64 s[12:13], s[4:5]
	s_cbranch_execz .LBB116_105
; %bb.102:
	v_subrev_u32_e32 v132, 42, v0
	s_movk_i32 s14, 0x188
	s_mov_b64 s[4:5], 0
.LBB116_103:                            ; =>This Inner Loop Header: Depth=1
	buffer_load_dword v133, v130, s[0:3], 0 offen
	v_mov_b32_e32 v134, s14
	ds_read_b32 v134, v134
	v_add_u32_e32 v132, -1, v132
	s_add_i32 s14, s14, 4
	v_cmp_eq_u32_e32 vcc, 0, v132
	v_add_u32_e32 v130, 4, v130
	s_or_b64 s[4:5], vcc, s[4:5]
	s_waitcnt vmcnt(0) lgkmcnt(0)
	v_fmac_f32_e32 v131, v133, v134
	s_andn2_b64 exec, exec, s[4:5]
	s_cbranch_execnz .LBB116_103
; %bb.104:
	s_or_b64 exec, exec, s[4:5]
.LBB116_105:
	s_or_b64 exec, exec, s[12:13]
	v_mov_b32_e32 v130, 0
	ds_read_b32 v130, v130 offset:164
	s_waitcnt lgkmcnt(0)
	v_mul_f32_e32 v130, v131, v130
	buffer_store_dword v130, off, s[0:3], 0 offset:164
.LBB116_106:
	s_or_b64 exec, exec, s[8:9]
	buffer_load_dword v130, off, s[0:3], 0 offset:160
	v_cmp_lt_u32_e64 s[4:5], 40, v0
	s_waitcnt vmcnt(0)
	ds_write_b32 v108, v130
	s_waitcnt lgkmcnt(0)
	; wave barrier
	s_waitcnt lgkmcnt(0)
	s_and_saveexec_b64 s[8:9], s[4:5]
	s_cbranch_execz .LBB116_116
; %bb.107:
	s_andn2_b64 vcc, exec, s[10:11]
	s_cbranch_vccnz .LBB116_109
; %bb.108:
	buffer_load_dword v130, v109, s[0:3], 0 offen
	ds_read_b32 v131, v108
	s_waitcnt vmcnt(0) lgkmcnt(0)
	v_mul_f32_e32 v130, v130, v131
	s_cbranch_execz .LBB116_110
	s_branch .LBB116_111
.LBB116_109:
                                        ; implicit-def: $vgpr130
.LBB116_110:
	ds_read_b32 v130, v108
.LBB116_111:
	s_and_saveexec_b64 s[12:13], s[6:7]
	s_cbranch_execz .LBB116_115
; %bb.112:
	v_mov_b32_e32 v131, 0
	v_add_u32_e32 v131, 0xa4, v131
	v_subrev_u32_e32 v132, 41, v0
	s_movk_i32 s14, 0x184
	s_mov_b64 s[6:7], 0
.LBB116_113:                            ; =>This Inner Loop Header: Depth=1
	buffer_load_dword v133, v131, s[0:3], 0 offen
	v_mov_b32_e32 v134, s14
	ds_read_b32 v134, v134
	v_add_u32_e32 v132, -1, v132
	s_add_i32 s14, s14, 4
	v_cmp_eq_u32_e32 vcc, 0, v132
	v_add_u32_e32 v131, 4, v131
	s_or_b64 s[6:7], vcc, s[6:7]
	s_waitcnt vmcnt(0) lgkmcnt(0)
	v_fmac_f32_e32 v130, v133, v134
	s_andn2_b64 exec, exec, s[6:7]
	s_cbranch_execnz .LBB116_113
; %bb.114:
	s_or_b64 exec, exec, s[6:7]
.LBB116_115:
	s_or_b64 exec, exec, s[12:13]
	v_mov_b32_e32 v131, 0
	ds_read_b32 v131, v131 offset:160
	s_waitcnt lgkmcnt(0)
	v_mul_f32_e32 v130, v130, v131
	buffer_store_dword v130, off, s[0:3], 0 offset:160
.LBB116_116:
	s_or_b64 exec, exec, s[8:9]
	buffer_load_dword v130, off, s[0:3], 0 offset:156
	v_cmp_lt_u32_e64 s[6:7], 39, v0
	s_waitcnt vmcnt(0)
	ds_write_b32 v108, v130
	s_waitcnt lgkmcnt(0)
	; wave barrier
	s_waitcnt lgkmcnt(0)
	s_and_saveexec_b64 s[8:9], s[6:7]
	s_cbranch_execz .LBB116_126
; %bb.117:
	s_andn2_b64 vcc, exec, s[10:11]
	s_cbranch_vccnz .LBB116_119
; %bb.118:
	buffer_load_dword v130, v109, s[0:3], 0 offen
	ds_read_b32 v131, v108
	s_waitcnt vmcnt(0) lgkmcnt(0)
	v_mul_f32_e32 v130, v130, v131
	s_cbranch_execz .LBB116_120
	s_branch .LBB116_121
.LBB116_119:
                                        ; implicit-def: $vgpr130
.LBB116_120:
	ds_read_b32 v130, v108
.LBB116_121:
	s_and_saveexec_b64 s[12:13], s[4:5]
	s_cbranch_execz .LBB116_125
; %bb.122:
	v_subrev_u32_e32 v131, 40, v0
	s_movk_i32 s14, 0x180
	s_mov_b64 s[4:5], 0
.LBB116_123:                            ; =>This Inner Loop Header: Depth=1
	buffer_load_dword v132, v129, s[0:3], 0 offen
	v_mov_b32_e32 v133, s14
	ds_read_b32 v133, v133
	v_add_u32_e32 v131, -1, v131
	s_add_i32 s14, s14, 4
	v_cmp_eq_u32_e32 vcc, 0, v131
	v_add_u32_e32 v129, 4, v129
	s_or_b64 s[4:5], vcc, s[4:5]
	s_waitcnt vmcnt(0) lgkmcnt(0)
	v_fmac_f32_e32 v130, v132, v133
	s_andn2_b64 exec, exec, s[4:5]
	s_cbranch_execnz .LBB116_123
; %bb.124:
	s_or_b64 exec, exec, s[4:5]
.LBB116_125:
	s_or_b64 exec, exec, s[12:13]
	v_mov_b32_e32 v129, 0
	ds_read_b32 v129, v129 offset:156
	s_waitcnt lgkmcnt(0)
	v_mul_f32_e32 v129, v130, v129
	buffer_store_dword v129, off, s[0:3], 0 offset:156
.LBB116_126:
	s_or_b64 exec, exec, s[8:9]
	buffer_load_dword v129, off, s[0:3], 0 offset:152
	v_cmp_lt_u32_e64 s[4:5], 38, v0
	s_waitcnt vmcnt(0)
	ds_write_b32 v108, v129
	s_waitcnt lgkmcnt(0)
	; wave barrier
	s_waitcnt lgkmcnt(0)
	s_and_saveexec_b64 s[8:9], s[4:5]
	s_cbranch_execz .LBB116_136
; %bb.127:
	s_andn2_b64 vcc, exec, s[10:11]
	s_cbranch_vccnz .LBB116_129
; %bb.128:
	buffer_load_dword v129, v109, s[0:3], 0 offen
	ds_read_b32 v130, v108
	s_waitcnt vmcnt(0) lgkmcnt(0)
	v_mul_f32_e32 v129, v129, v130
	s_cbranch_execz .LBB116_130
	s_branch .LBB116_131
.LBB116_129:
                                        ; implicit-def: $vgpr129
.LBB116_130:
	ds_read_b32 v129, v108
.LBB116_131:
	s_and_saveexec_b64 s[12:13], s[6:7]
	s_cbranch_execz .LBB116_135
; %bb.132:
	v_mov_b32_e32 v130, 0
	v_add_u32_e32 v130, 0x9c, v130
	v_subrev_u32_e32 v131, 39, v0
	s_movk_i32 s14, 0x17c
	s_mov_b64 s[6:7], 0
.LBB116_133:                            ; =>This Inner Loop Header: Depth=1
	buffer_load_dword v132, v130, s[0:3], 0 offen
	v_mov_b32_e32 v133, s14
	ds_read_b32 v133, v133
	v_add_u32_e32 v131, -1, v131
	s_add_i32 s14, s14, 4
	v_cmp_eq_u32_e32 vcc, 0, v131
	v_add_u32_e32 v130, 4, v130
	s_or_b64 s[6:7], vcc, s[6:7]
	s_waitcnt vmcnt(0) lgkmcnt(0)
	v_fmac_f32_e32 v129, v132, v133
	s_andn2_b64 exec, exec, s[6:7]
	s_cbranch_execnz .LBB116_133
; %bb.134:
	s_or_b64 exec, exec, s[6:7]
.LBB116_135:
	s_or_b64 exec, exec, s[12:13]
	v_mov_b32_e32 v130, 0
	ds_read_b32 v130, v130 offset:152
	s_waitcnt lgkmcnt(0)
	v_mul_f32_e32 v129, v129, v130
	buffer_store_dword v129, off, s[0:3], 0 offset:152
.LBB116_136:
	s_or_b64 exec, exec, s[8:9]
	buffer_load_dword v129, off, s[0:3], 0 offset:148
	v_cmp_lt_u32_e64 s[6:7], 37, v0
	s_waitcnt vmcnt(0)
	ds_write_b32 v108, v129
	s_waitcnt lgkmcnt(0)
	; wave barrier
	s_waitcnt lgkmcnt(0)
	s_and_saveexec_b64 s[8:9], s[6:7]
	s_cbranch_execz .LBB116_146
; %bb.137:
	s_andn2_b64 vcc, exec, s[10:11]
	s_cbranch_vccnz .LBB116_139
; %bb.138:
	buffer_load_dword v129, v109, s[0:3], 0 offen
	ds_read_b32 v130, v108
	s_waitcnt vmcnt(0) lgkmcnt(0)
	v_mul_f32_e32 v129, v129, v130
	s_cbranch_execz .LBB116_140
	s_branch .LBB116_141
.LBB116_139:
                                        ; implicit-def: $vgpr129
.LBB116_140:
	ds_read_b32 v129, v108
.LBB116_141:
	s_and_saveexec_b64 s[12:13], s[4:5]
	s_cbranch_execz .LBB116_145
; %bb.142:
	v_subrev_u32_e32 v130, 38, v0
	s_movk_i32 s14, 0x178
	s_mov_b64 s[4:5], 0
.LBB116_143:                            ; =>This Inner Loop Header: Depth=1
	buffer_load_dword v131, v128, s[0:3], 0 offen
	v_mov_b32_e32 v132, s14
	ds_read_b32 v132, v132
	v_add_u32_e32 v130, -1, v130
	s_add_i32 s14, s14, 4
	v_cmp_eq_u32_e32 vcc, 0, v130
	v_add_u32_e32 v128, 4, v128
	s_or_b64 s[4:5], vcc, s[4:5]
	s_waitcnt vmcnt(0) lgkmcnt(0)
	v_fmac_f32_e32 v129, v131, v132
	s_andn2_b64 exec, exec, s[4:5]
	s_cbranch_execnz .LBB116_143
; %bb.144:
	s_or_b64 exec, exec, s[4:5]
.LBB116_145:
	s_or_b64 exec, exec, s[12:13]
	v_mov_b32_e32 v128, 0
	ds_read_b32 v128, v128 offset:148
	s_waitcnt lgkmcnt(0)
	v_mul_f32_e32 v128, v129, v128
	buffer_store_dword v128, off, s[0:3], 0 offset:148
.LBB116_146:
	s_or_b64 exec, exec, s[8:9]
	buffer_load_dword v128, off, s[0:3], 0 offset:144
	v_cmp_lt_u32_e64 s[4:5], 36, v0
	s_waitcnt vmcnt(0)
	ds_write_b32 v108, v128
	s_waitcnt lgkmcnt(0)
	; wave barrier
	s_waitcnt lgkmcnt(0)
	s_and_saveexec_b64 s[8:9], s[4:5]
	s_cbranch_execz .LBB116_156
; %bb.147:
	s_andn2_b64 vcc, exec, s[10:11]
	s_cbranch_vccnz .LBB116_149
; %bb.148:
	buffer_load_dword v128, v109, s[0:3], 0 offen
	ds_read_b32 v129, v108
	s_waitcnt vmcnt(0) lgkmcnt(0)
	v_mul_f32_e32 v128, v128, v129
	s_cbranch_execz .LBB116_150
	s_branch .LBB116_151
.LBB116_149:
                                        ; implicit-def: $vgpr128
.LBB116_150:
	ds_read_b32 v128, v108
.LBB116_151:
	s_and_saveexec_b64 s[12:13], s[6:7]
	s_cbranch_execz .LBB116_155
; %bb.152:
	v_mov_b32_e32 v129, 0
	v_add_u32_e32 v129, 0x94, v129
	v_subrev_u32_e32 v130, 37, v0
	s_movk_i32 s14, 0x174
	s_mov_b64 s[6:7], 0
.LBB116_153:                            ; =>This Inner Loop Header: Depth=1
	buffer_load_dword v131, v129, s[0:3], 0 offen
	v_mov_b32_e32 v132, s14
	ds_read_b32 v132, v132
	v_add_u32_e32 v130, -1, v130
	s_add_i32 s14, s14, 4
	v_cmp_eq_u32_e32 vcc, 0, v130
	v_add_u32_e32 v129, 4, v129
	s_or_b64 s[6:7], vcc, s[6:7]
	s_waitcnt vmcnt(0) lgkmcnt(0)
	v_fmac_f32_e32 v128, v131, v132
	s_andn2_b64 exec, exec, s[6:7]
	s_cbranch_execnz .LBB116_153
; %bb.154:
	s_or_b64 exec, exec, s[6:7]
.LBB116_155:
	s_or_b64 exec, exec, s[12:13]
	v_mov_b32_e32 v129, 0
	ds_read_b32 v129, v129 offset:144
	s_waitcnt lgkmcnt(0)
	v_mul_f32_e32 v128, v128, v129
	buffer_store_dword v128, off, s[0:3], 0 offset:144
.LBB116_156:
	s_or_b64 exec, exec, s[8:9]
	buffer_load_dword v128, off, s[0:3], 0 offset:140
	v_cmp_lt_u32_e64 s[6:7], 35, v0
	s_waitcnt vmcnt(0)
	ds_write_b32 v108, v128
	s_waitcnt lgkmcnt(0)
	; wave barrier
	s_waitcnt lgkmcnt(0)
	s_and_saveexec_b64 s[8:9], s[6:7]
	s_cbranch_execz .LBB116_166
; %bb.157:
	s_andn2_b64 vcc, exec, s[10:11]
	s_cbranch_vccnz .LBB116_159
; %bb.158:
	buffer_load_dword v128, v109, s[0:3], 0 offen
	ds_read_b32 v129, v108
	s_waitcnt vmcnt(0) lgkmcnt(0)
	v_mul_f32_e32 v128, v128, v129
	s_cbranch_execz .LBB116_160
	s_branch .LBB116_161
.LBB116_159:
                                        ; implicit-def: $vgpr128
.LBB116_160:
	ds_read_b32 v128, v108
.LBB116_161:
	s_and_saveexec_b64 s[12:13], s[4:5]
	s_cbranch_execz .LBB116_165
; %bb.162:
	v_subrev_u32_e32 v129, 36, v0
	s_movk_i32 s14, 0x170
	s_mov_b64 s[4:5], 0
.LBB116_163:                            ; =>This Inner Loop Header: Depth=1
	buffer_load_dword v130, v127, s[0:3], 0 offen
	v_mov_b32_e32 v131, s14
	ds_read_b32 v131, v131
	v_add_u32_e32 v129, -1, v129
	s_add_i32 s14, s14, 4
	v_cmp_eq_u32_e32 vcc, 0, v129
	v_add_u32_e32 v127, 4, v127
	s_or_b64 s[4:5], vcc, s[4:5]
	s_waitcnt vmcnt(0) lgkmcnt(0)
	v_fmac_f32_e32 v128, v130, v131
	s_andn2_b64 exec, exec, s[4:5]
	s_cbranch_execnz .LBB116_163
; %bb.164:
	s_or_b64 exec, exec, s[4:5]
.LBB116_165:
	s_or_b64 exec, exec, s[12:13]
	v_mov_b32_e32 v127, 0
	ds_read_b32 v127, v127 offset:140
	s_waitcnt lgkmcnt(0)
	v_mul_f32_e32 v127, v128, v127
	buffer_store_dword v127, off, s[0:3], 0 offset:140
.LBB116_166:
	s_or_b64 exec, exec, s[8:9]
	buffer_load_dword v127, off, s[0:3], 0 offset:136
	v_cmp_lt_u32_e64 s[4:5], 34, v0
	s_waitcnt vmcnt(0)
	ds_write_b32 v108, v127
	s_waitcnt lgkmcnt(0)
	; wave barrier
	s_waitcnt lgkmcnt(0)
	s_and_saveexec_b64 s[8:9], s[4:5]
	s_cbranch_execz .LBB116_176
; %bb.167:
	s_andn2_b64 vcc, exec, s[10:11]
	s_cbranch_vccnz .LBB116_169
; %bb.168:
	buffer_load_dword v127, v109, s[0:3], 0 offen
	ds_read_b32 v128, v108
	s_waitcnt vmcnt(0) lgkmcnt(0)
	v_mul_f32_e32 v127, v127, v128
	s_cbranch_execz .LBB116_170
	s_branch .LBB116_171
.LBB116_169:
                                        ; implicit-def: $vgpr127
.LBB116_170:
	ds_read_b32 v127, v108
.LBB116_171:
	s_and_saveexec_b64 s[12:13], s[6:7]
	s_cbranch_execz .LBB116_175
; %bb.172:
	v_mov_b32_e32 v128, 0
	v_add_u32_e32 v128, 0x8c, v128
	v_subrev_u32_e32 v129, 35, v0
	s_movk_i32 s14, 0x16c
	s_mov_b64 s[6:7], 0
.LBB116_173:                            ; =>This Inner Loop Header: Depth=1
	buffer_load_dword v130, v128, s[0:3], 0 offen
	v_mov_b32_e32 v131, s14
	ds_read_b32 v131, v131
	v_add_u32_e32 v129, -1, v129
	s_add_i32 s14, s14, 4
	v_cmp_eq_u32_e32 vcc, 0, v129
	v_add_u32_e32 v128, 4, v128
	s_or_b64 s[6:7], vcc, s[6:7]
	s_waitcnt vmcnt(0) lgkmcnt(0)
	v_fmac_f32_e32 v127, v130, v131
	s_andn2_b64 exec, exec, s[6:7]
	s_cbranch_execnz .LBB116_173
; %bb.174:
	s_or_b64 exec, exec, s[6:7]
.LBB116_175:
	s_or_b64 exec, exec, s[12:13]
	v_mov_b32_e32 v128, 0
	ds_read_b32 v128, v128 offset:136
	s_waitcnt lgkmcnt(0)
	v_mul_f32_e32 v127, v127, v128
	buffer_store_dword v127, off, s[0:3], 0 offset:136
.LBB116_176:
	s_or_b64 exec, exec, s[8:9]
	buffer_load_dword v127, off, s[0:3], 0 offset:132
	v_cmp_lt_u32_e64 s[6:7], 33, v0
	s_waitcnt vmcnt(0)
	ds_write_b32 v108, v127
	s_waitcnt lgkmcnt(0)
	; wave barrier
	s_waitcnt lgkmcnt(0)
	s_and_saveexec_b64 s[8:9], s[6:7]
	s_cbranch_execz .LBB116_186
; %bb.177:
	s_andn2_b64 vcc, exec, s[10:11]
	s_cbranch_vccnz .LBB116_179
; %bb.178:
	buffer_load_dword v127, v109, s[0:3], 0 offen
	ds_read_b32 v128, v108
	s_waitcnt vmcnt(0) lgkmcnt(0)
	v_mul_f32_e32 v127, v127, v128
	s_cbranch_execz .LBB116_180
	s_branch .LBB116_181
.LBB116_179:
                                        ; implicit-def: $vgpr127
.LBB116_180:
	ds_read_b32 v127, v108
.LBB116_181:
	s_and_saveexec_b64 s[12:13], s[4:5]
	s_cbranch_execz .LBB116_185
; %bb.182:
	v_subrev_u32_e32 v128, 34, v0
	s_movk_i32 s14, 0x168
	s_mov_b64 s[4:5], 0
.LBB116_183:                            ; =>This Inner Loop Header: Depth=1
	buffer_load_dword v129, v126, s[0:3], 0 offen
	v_mov_b32_e32 v130, s14
	ds_read_b32 v130, v130
	v_add_u32_e32 v128, -1, v128
	s_add_i32 s14, s14, 4
	v_cmp_eq_u32_e32 vcc, 0, v128
	v_add_u32_e32 v126, 4, v126
	s_or_b64 s[4:5], vcc, s[4:5]
	s_waitcnt vmcnt(0) lgkmcnt(0)
	v_fmac_f32_e32 v127, v129, v130
	s_andn2_b64 exec, exec, s[4:5]
	s_cbranch_execnz .LBB116_183
; %bb.184:
	s_or_b64 exec, exec, s[4:5]
.LBB116_185:
	s_or_b64 exec, exec, s[12:13]
	v_mov_b32_e32 v126, 0
	ds_read_b32 v126, v126 offset:132
	s_waitcnt lgkmcnt(0)
	v_mul_f32_e32 v126, v127, v126
	buffer_store_dword v126, off, s[0:3], 0 offset:132
.LBB116_186:
	s_or_b64 exec, exec, s[8:9]
	buffer_load_dword v126, off, s[0:3], 0 offset:128
	v_cmp_lt_u32_e64 s[4:5], 32, v0
	s_waitcnt vmcnt(0)
	ds_write_b32 v108, v126
	s_waitcnt lgkmcnt(0)
	; wave barrier
	s_waitcnt lgkmcnt(0)
	s_and_saveexec_b64 s[8:9], s[4:5]
	s_cbranch_execz .LBB116_196
; %bb.187:
	s_andn2_b64 vcc, exec, s[10:11]
	s_cbranch_vccnz .LBB116_189
; %bb.188:
	buffer_load_dword v126, v109, s[0:3], 0 offen
	ds_read_b32 v127, v108
	s_waitcnt vmcnt(0) lgkmcnt(0)
	v_mul_f32_e32 v126, v126, v127
	s_cbranch_execz .LBB116_190
	s_branch .LBB116_191
.LBB116_189:
                                        ; implicit-def: $vgpr126
.LBB116_190:
	ds_read_b32 v126, v108
.LBB116_191:
	s_and_saveexec_b64 s[12:13], s[6:7]
	s_cbranch_execz .LBB116_195
; %bb.192:
	v_mov_b32_e32 v127, 0
	v_add_u32_e32 v127, 0x84, v127
	v_subrev_u32_e32 v128, 33, v0
	s_movk_i32 s14, 0x164
	s_mov_b64 s[6:7], 0
.LBB116_193:                            ; =>This Inner Loop Header: Depth=1
	buffer_load_dword v129, v127, s[0:3], 0 offen
	v_mov_b32_e32 v130, s14
	ds_read_b32 v130, v130
	v_add_u32_e32 v128, -1, v128
	s_add_i32 s14, s14, 4
	v_cmp_eq_u32_e32 vcc, 0, v128
	v_add_u32_e32 v127, 4, v127
	s_or_b64 s[6:7], vcc, s[6:7]
	s_waitcnt vmcnt(0) lgkmcnt(0)
	v_fmac_f32_e32 v126, v129, v130
	s_andn2_b64 exec, exec, s[6:7]
	s_cbranch_execnz .LBB116_193
; %bb.194:
	s_or_b64 exec, exec, s[6:7]
.LBB116_195:
	s_or_b64 exec, exec, s[12:13]
	v_mov_b32_e32 v127, 0
	ds_read_b32 v127, v127 offset:128
	s_waitcnt lgkmcnt(0)
	v_mul_f32_e32 v126, v126, v127
	buffer_store_dword v126, off, s[0:3], 0 offset:128
.LBB116_196:
	s_or_b64 exec, exec, s[8:9]
	buffer_load_dword v126, off, s[0:3], 0 offset:124
	v_cmp_lt_u32_e64 s[6:7], 31, v0
	s_waitcnt vmcnt(0)
	ds_write_b32 v108, v126
	s_waitcnt lgkmcnt(0)
	; wave barrier
	s_waitcnt lgkmcnt(0)
	s_and_saveexec_b64 s[8:9], s[6:7]
	s_cbranch_execz .LBB116_206
; %bb.197:
	s_andn2_b64 vcc, exec, s[10:11]
	s_cbranch_vccnz .LBB116_199
; %bb.198:
	buffer_load_dword v126, v109, s[0:3], 0 offen
	ds_read_b32 v127, v108
	s_waitcnt vmcnt(0) lgkmcnt(0)
	v_mul_f32_e32 v126, v126, v127
	s_cbranch_execz .LBB116_200
	s_branch .LBB116_201
.LBB116_199:
                                        ; implicit-def: $vgpr126
.LBB116_200:
	ds_read_b32 v126, v108
.LBB116_201:
	s_and_saveexec_b64 s[12:13], s[4:5]
	s_cbranch_execz .LBB116_205
; %bb.202:
	v_subrev_u32_e32 v127, 32, v0
	s_movk_i32 s14, 0x160
	s_mov_b64 s[4:5], 0
.LBB116_203:                            ; =>This Inner Loop Header: Depth=1
	buffer_load_dword v128, v125, s[0:3], 0 offen
	v_mov_b32_e32 v129, s14
	ds_read_b32 v129, v129
	v_add_u32_e32 v127, -1, v127
	s_add_i32 s14, s14, 4
	v_cmp_eq_u32_e32 vcc, 0, v127
	v_add_u32_e32 v125, 4, v125
	s_or_b64 s[4:5], vcc, s[4:5]
	s_waitcnt vmcnt(0) lgkmcnt(0)
	v_fmac_f32_e32 v126, v128, v129
	s_andn2_b64 exec, exec, s[4:5]
	s_cbranch_execnz .LBB116_203
; %bb.204:
	s_or_b64 exec, exec, s[4:5]
.LBB116_205:
	s_or_b64 exec, exec, s[12:13]
	v_mov_b32_e32 v125, 0
	ds_read_b32 v125, v125 offset:124
	s_waitcnt lgkmcnt(0)
	v_mul_f32_e32 v125, v126, v125
	buffer_store_dword v125, off, s[0:3], 0 offset:124
.LBB116_206:
	s_or_b64 exec, exec, s[8:9]
	buffer_load_dword v125, off, s[0:3], 0 offset:120
	v_cmp_lt_u32_e64 s[4:5], 30, v0
	s_waitcnt vmcnt(0)
	ds_write_b32 v108, v125
	s_waitcnt lgkmcnt(0)
	; wave barrier
	s_waitcnt lgkmcnt(0)
	s_and_saveexec_b64 s[8:9], s[4:5]
	s_cbranch_execz .LBB116_216
; %bb.207:
	s_andn2_b64 vcc, exec, s[10:11]
	s_cbranch_vccnz .LBB116_209
; %bb.208:
	buffer_load_dword v125, v109, s[0:3], 0 offen
	ds_read_b32 v126, v108
	s_waitcnt vmcnt(0) lgkmcnt(0)
	v_mul_f32_e32 v125, v125, v126
	s_cbranch_execz .LBB116_210
	s_branch .LBB116_211
.LBB116_209:
                                        ; implicit-def: $vgpr125
.LBB116_210:
	ds_read_b32 v125, v108
.LBB116_211:
	s_and_saveexec_b64 s[12:13], s[6:7]
	s_cbranch_execz .LBB116_215
; %bb.212:
	v_mov_b32_e32 v126, 0
	v_add_u32_e32 v126, 0x7c, v126
	v_subrev_u32_e32 v127, 31, v0
	s_movk_i32 s14, 0x15c
	s_mov_b64 s[6:7], 0
.LBB116_213:                            ; =>This Inner Loop Header: Depth=1
	buffer_load_dword v128, v126, s[0:3], 0 offen
	v_mov_b32_e32 v129, s14
	ds_read_b32 v129, v129
	v_add_u32_e32 v127, -1, v127
	s_add_i32 s14, s14, 4
	v_cmp_eq_u32_e32 vcc, 0, v127
	v_add_u32_e32 v126, 4, v126
	s_or_b64 s[6:7], vcc, s[6:7]
	s_waitcnt vmcnt(0) lgkmcnt(0)
	v_fmac_f32_e32 v125, v128, v129
	s_andn2_b64 exec, exec, s[6:7]
	s_cbranch_execnz .LBB116_213
; %bb.214:
	s_or_b64 exec, exec, s[6:7]
.LBB116_215:
	s_or_b64 exec, exec, s[12:13]
	v_mov_b32_e32 v126, 0
	ds_read_b32 v126, v126 offset:120
	s_waitcnt lgkmcnt(0)
	v_mul_f32_e32 v125, v125, v126
	buffer_store_dword v125, off, s[0:3], 0 offset:120
.LBB116_216:
	s_or_b64 exec, exec, s[8:9]
	buffer_load_dword v125, off, s[0:3], 0 offset:116
	v_cmp_lt_u32_e64 s[6:7], 29, v0
	s_waitcnt vmcnt(0)
	ds_write_b32 v108, v125
	s_waitcnt lgkmcnt(0)
	; wave barrier
	s_waitcnt lgkmcnt(0)
	s_and_saveexec_b64 s[8:9], s[6:7]
	s_cbranch_execz .LBB116_226
; %bb.217:
	s_andn2_b64 vcc, exec, s[10:11]
	s_cbranch_vccnz .LBB116_219
; %bb.218:
	buffer_load_dword v125, v109, s[0:3], 0 offen
	ds_read_b32 v126, v108
	s_waitcnt vmcnt(0) lgkmcnt(0)
	v_mul_f32_e32 v125, v125, v126
	s_cbranch_execz .LBB116_220
	s_branch .LBB116_221
.LBB116_219:
                                        ; implicit-def: $vgpr125
.LBB116_220:
	ds_read_b32 v125, v108
.LBB116_221:
	s_and_saveexec_b64 s[12:13], s[4:5]
	s_cbranch_execz .LBB116_225
; %bb.222:
	v_subrev_u32_e32 v126, 30, v0
	s_movk_i32 s14, 0x158
	s_mov_b64 s[4:5], 0
.LBB116_223:                            ; =>This Inner Loop Header: Depth=1
	buffer_load_dword v127, v124, s[0:3], 0 offen
	v_mov_b32_e32 v128, s14
	ds_read_b32 v128, v128
	v_add_u32_e32 v126, -1, v126
	s_add_i32 s14, s14, 4
	v_cmp_eq_u32_e32 vcc, 0, v126
	v_add_u32_e32 v124, 4, v124
	s_or_b64 s[4:5], vcc, s[4:5]
	s_waitcnt vmcnt(0) lgkmcnt(0)
	v_fmac_f32_e32 v125, v127, v128
	s_andn2_b64 exec, exec, s[4:5]
	s_cbranch_execnz .LBB116_223
; %bb.224:
	s_or_b64 exec, exec, s[4:5]
.LBB116_225:
	s_or_b64 exec, exec, s[12:13]
	v_mov_b32_e32 v124, 0
	ds_read_b32 v124, v124 offset:116
	s_waitcnt lgkmcnt(0)
	v_mul_f32_e32 v124, v125, v124
	buffer_store_dword v124, off, s[0:3], 0 offset:116
.LBB116_226:
	s_or_b64 exec, exec, s[8:9]
	buffer_load_dword v124, off, s[0:3], 0 offset:112
	v_cmp_lt_u32_e64 s[4:5], 28, v0
	s_waitcnt vmcnt(0)
	ds_write_b32 v108, v124
	s_waitcnt lgkmcnt(0)
	; wave barrier
	s_waitcnt lgkmcnt(0)
	s_and_saveexec_b64 s[8:9], s[4:5]
	s_cbranch_execz .LBB116_236
; %bb.227:
	s_andn2_b64 vcc, exec, s[10:11]
	s_cbranch_vccnz .LBB116_229
; %bb.228:
	buffer_load_dword v124, v109, s[0:3], 0 offen
	ds_read_b32 v125, v108
	s_waitcnt vmcnt(0) lgkmcnt(0)
	v_mul_f32_e32 v124, v124, v125
	s_cbranch_execz .LBB116_230
	s_branch .LBB116_231
.LBB116_229:
                                        ; implicit-def: $vgpr124
.LBB116_230:
	ds_read_b32 v124, v108
.LBB116_231:
	s_and_saveexec_b64 s[12:13], s[6:7]
	s_cbranch_execz .LBB116_235
; %bb.232:
	v_mov_b32_e32 v125, 0
	v_add_u32_e32 v125, 0x74, v125
	v_subrev_u32_e32 v126, 29, v0
	s_movk_i32 s14, 0x154
	s_mov_b64 s[6:7], 0
.LBB116_233:                            ; =>This Inner Loop Header: Depth=1
	buffer_load_dword v127, v125, s[0:3], 0 offen
	v_mov_b32_e32 v128, s14
	ds_read_b32 v128, v128
	v_add_u32_e32 v126, -1, v126
	s_add_i32 s14, s14, 4
	v_cmp_eq_u32_e32 vcc, 0, v126
	v_add_u32_e32 v125, 4, v125
	s_or_b64 s[6:7], vcc, s[6:7]
	s_waitcnt vmcnt(0) lgkmcnt(0)
	v_fmac_f32_e32 v124, v127, v128
	s_andn2_b64 exec, exec, s[6:7]
	s_cbranch_execnz .LBB116_233
; %bb.234:
	s_or_b64 exec, exec, s[6:7]
.LBB116_235:
	s_or_b64 exec, exec, s[12:13]
	v_mov_b32_e32 v125, 0
	ds_read_b32 v125, v125 offset:112
	s_waitcnt lgkmcnt(0)
	v_mul_f32_e32 v124, v124, v125
	buffer_store_dword v124, off, s[0:3], 0 offset:112
.LBB116_236:
	s_or_b64 exec, exec, s[8:9]
	buffer_load_dword v124, off, s[0:3], 0 offset:108
	v_cmp_lt_u32_e64 s[6:7], 27, v0
	s_waitcnt vmcnt(0)
	ds_write_b32 v108, v124
	s_waitcnt lgkmcnt(0)
	; wave barrier
	s_waitcnt lgkmcnt(0)
	s_and_saveexec_b64 s[8:9], s[6:7]
	s_cbranch_execz .LBB116_246
; %bb.237:
	s_andn2_b64 vcc, exec, s[10:11]
	s_cbranch_vccnz .LBB116_239
; %bb.238:
	buffer_load_dword v124, v109, s[0:3], 0 offen
	ds_read_b32 v125, v108
	s_waitcnt vmcnt(0) lgkmcnt(0)
	v_mul_f32_e32 v124, v124, v125
	s_cbranch_execz .LBB116_240
	s_branch .LBB116_241
.LBB116_239:
                                        ; implicit-def: $vgpr124
.LBB116_240:
	ds_read_b32 v124, v108
.LBB116_241:
	s_and_saveexec_b64 s[12:13], s[4:5]
	s_cbranch_execz .LBB116_245
; %bb.242:
	v_subrev_u32_e32 v125, 28, v0
	s_movk_i32 s14, 0x150
	s_mov_b64 s[4:5], 0
.LBB116_243:                            ; =>This Inner Loop Header: Depth=1
	buffer_load_dword v126, v123, s[0:3], 0 offen
	v_mov_b32_e32 v127, s14
	ds_read_b32 v127, v127
	v_add_u32_e32 v125, -1, v125
	s_add_i32 s14, s14, 4
	v_cmp_eq_u32_e32 vcc, 0, v125
	v_add_u32_e32 v123, 4, v123
	s_or_b64 s[4:5], vcc, s[4:5]
	s_waitcnt vmcnt(0) lgkmcnt(0)
	v_fmac_f32_e32 v124, v126, v127
	s_andn2_b64 exec, exec, s[4:5]
	s_cbranch_execnz .LBB116_243
; %bb.244:
	s_or_b64 exec, exec, s[4:5]
.LBB116_245:
	s_or_b64 exec, exec, s[12:13]
	v_mov_b32_e32 v123, 0
	ds_read_b32 v123, v123 offset:108
	s_waitcnt lgkmcnt(0)
	v_mul_f32_e32 v123, v124, v123
	buffer_store_dword v123, off, s[0:3], 0 offset:108
.LBB116_246:
	s_or_b64 exec, exec, s[8:9]
	buffer_load_dword v123, off, s[0:3], 0 offset:104
	v_cmp_lt_u32_e64 s[4:5], 26, v0
	s_waitcnt vmcnt(0)
	ds_write_b32 v108, v123
	s_waitcnt lgkmcnt(0)
	; wave barrier
	s_waitcnt lgkmcnt(0)
	s_and_saveexec_b64 s[8:9], s[4:5]
	s_cbranch_execz .LBB116_256
; %bb.247:
	s_andn2_b64 vcc, exec, s[10:11]
	s_cbranch_vccnz .LBB116_249
; %bb.248:
	buffer_load_dword v123, v109, s[0:3], 0 offen
	ds_read_b32 v124, v108
	s_waitcnt vmcnt(0) lgkmcnt(0)
	v_mul_f32_e32 v123, v123, v124
	s_cbranch_execz .LBB116_250
	s_branch .LBB116_251
.LBB116_249:
                                        ; implicit-def: $vgpr123
.LBB116_250:
	ds_read_b32 v123, v108
.LBB116_251:
	s_and_saveexec_b64 s[12:13], s[6:7]
	s_cbranch_execz .LBB116_255
; %bb.252:
	v_mov_b32_e32 v124, 0
	v_add_u32_e32 v124, 0x6c, v124
	v_subrev_u32_e32 v125, 27, v0
	s_movk_i32 s14, 0x14c
	s_mov_b64 s[6:7], 0
.LBB116_253:                            ; =>This Inner Loop Header: Depth=1
	buffer_load_dword v126, v124, s[0:3], 0 offen
	v_mov_b32_e32 v127, s14
	ds_read_b32 v127, v127
	v_add_u32_e32 v125, -1, v125
	s_add_i32 s14, s14, 4
	v_cmp_eq_u32_e32 vcc, 0, v125
	v_add_u32_e32 v124, 4, v124
	s_or_b64 s[6:7], vcc, s[6:7]
	s_waitcnt vmcnt(0) lgkmcnt(0)
	v_fmac_f32_e32 v123, v126, v127
	s_andn2_b64 exec, exec, s[6:7]
	s_cbranch_execnz .LBB116_253
; %bb.254:
	s_or_b64 exec, exec, s[6:7]
.LBB116_255:
	s_or_b64 exec, exec, s[12:13]
	v_mov_b32_e32 v124, 0
	ds_read_b32 v124, v124 offset:104
	s_waitcnt lgkmcnt(0)
	v_mul_f32_e32 v123, v123, v124
	buffer_store_dword v123, off, s[0:3], 0 offset:104
.LBB116_256:
	s_or_b64 exec, exec, s[8:9]
	buffer_load_dword v123, off, s[0:3], 0 offset:100
	v_cmp_lt_u32_e64 s[6:7], 25, v0
	s_waitcnt vmcnt(0)
	ds_write_b32 v108, v123
	s_waitcnt lgkmcnt(0)
	; wave barrier
	s_waitcnt lgkmcnt(0)
	s_and_saveexec_b64 s[8:9], s[6:7]
	s_cbranch_execz .LBB116_266
; %bb.257:
	s_andn2_b64 vcc, exec, s[10:11]
	s_cbranch_vccnz .LBB116_259
; %bb.258:
	buffer_load_dword v123, v109, s[0:3], 0 offen
	ds_read_b32 v124, v108
	s_waitcnt vmcnt(0) lgkmcnt(0)
	v_mul_f32_e32 v123, v123, v124
	s_cbranch_execz .LBB116_260
	s_branch .LBB116_261
.LBB116_259:
                                        ; implicit-def: $vgpr123
.LBB116_260:
	ds_read_b32 v123, v108
.LBB116_261:
	s_and_saveexec_b64 s[12:13], s[4:5]
	s_cbranch_execz .LBB116_265
; %bb.262:
	v_subrev_u32_e32 v124, 26, v0
	s_movk_i32 s14, 0x148
	s_mov_b64 s[4:5], 0
.LBB116_263:                            ; =>This Inner Loop Header: Depth=1
	buffer_load_dword v125, v122, s[0:3], 0 offen
	v_mov_b32_e32 v126, s14
	ds_read_b32 v126, v126
	v_add_u32_e32 v124, -1, v124
	s_add_i32 s14, s14, 4
	v_cmp_eq_u32_e32 vcc, 0, v124
	v_add_u32_e32 v122, 4, v122
	s_or_b64 s[4:5], vcc, s[4:5]
	s_waitcnt vmcnt(0) lgkmcnt(0)
	v_fmac_f32_e32 v123, v125, v126
	s_andn2_b64 exec, exec, s[4:5]
	s_cbranch_execnz .LBB116_263
; %bb.264:
	s_or_b64 exec, exec, s[4:5]
.LBB116_265:
	s_or_b64 exec, exec, s[12:13]
	v_mov_b32_e32 v122, 0
	ds_read_b32 v122, v122 offset:100
	s_waitcnt lgkmcnt(0)
	v_mul_f32_e32 v122, v123, v122
	buffer_store_dword v122, off, s[0:3], 0 offset:100
.LBB116_266:
	s_or_b64 exec, exec, s[8:9]
	buffer_load_dword v122, off, s[0:3], 0 offset:96
	v_cmp_lt_u32_e64 s[4:5], 24, v0
	s_waitcnt vmcnt(0)
	ds_write_b32 v108, v122
	s_waitcnt lgkmcnt(0)
	; wave barrier
	s_waitcnt lgkmcnt(0)
	s_and_saveexec_b64 s[8:9], s[4:5]
	s_cbranch_execz .LBB116_276
; %bb.267:
	s_andn2_b64 vcc, exec, s[10:11]
	s_cbranch_vccnz .LBB116_269
; %bb.268:
	buffer_load_dword v122, v109, s[0:3], 0 offen
	ds_read_b32 v123, v108
	s_waitcnt vmcnt(0) lgkmcnt(0)
	v_mul_f32_e32 v122, v122, v123
	s_cbranch_execz .LBB116_270
	s_branch .LBB116_271
.LBB116_269:
                                        ; implicit-def: $vgpr122
.LBB116_270:
	ds_read_b32 v122, v108
.LBB116_271:
	s_and_saveexec_b64 s[12:13], s[6:7]
	s_cbranch_execz .LBB116_275
; %bb.272:
	v_mov_b32_e32 v123, 0
	v_add_u32_e32 v123, 0x64, v123
	v_subrev_u32_e32 v124, 25, v0
	s_movk_i32 s14, 0x144
	s_mov_b64 s[6:7], 0
.LBB116_273:                            ; =>This Inner Loop Header: Depth=1
	buffer_load_dword v125, v123, s[0:3], 0 offen
	v_mov_b32_e32 v126, s14
	ds_read_b32 v126, v126
	v_add_u32_e32 v124, -1, v124
	s_add_i32 s14, s14, 4
	v_cmp_eq_u32_e32 vcc, 0, v124
	v_add_u32_e32 v123, 4, v123
	s_or_b64 s[6:7], vcc, s[6:7]
	s_waitcnt vmcnt(0) lgkmcnt(0)
	v_fmac_f32_e32 v122, v125, v126
	s_andn2_b64 exec, exec, s[6:7]
	s_cbranch_execnz .LBB116_273
; %bb.274:
	s_or_b64 exec, exec, s[6:7]
.LBB116_275:
	s_or_b64 exec, exec, s[12:13]
	v_mov_b32_e32 v123, 0
	ds_read_b32 v123, v123 offset:96
	s_waitcnt lgkmcnt(0)
	v_mul_f32_e32 v122, v122, v123
	buffer_store_dword v122, off, s[0:3], 0 offset:96
.LBB116_276:
	s_or_b64 exec, exec, s[8:9]
	buffer_load_dword v122, off, s[0:3], 0 offset:92
	v_cmp_lt_u32_e64 s[6:7], 23, v0
	s_waitcnt vmcnt(0)
	ds_write_b32 v108, v122
	s_waitcnt lgkmcnt(0)
	; wave barrier
	s_waitcnt lgkmcnt(0)
	s_and_saveexec_b64 s[8:9], s[6:7]
	s_cbranch_execz .LBB116_286
; %bb.277:
	s_andn2_b64 vcc, exec, s[10:11]
	s_cbranch_vccnz .LBB116_279
; %bb.278:
	buffer_load_dword v122, v109, s[0:3], 0 offen
	ds_read_b32 v123, v108
	s_waitcnt vmcnt(0) lgkmcnt(0)
	v_mul_f32_e32 v122, v122, v123
	s_cbranch_execz .LBB116_280
	s_branch .LBB116_281
.LBB116_279:
                                        ; implicit-def: $vgpr122
.LBB116_280:
	ds_read_b32 v122, v108
.LBB116_281:
	s_and_saveexec_b64 s[12:13], s[4:5]
	s_cbranch_execz .LBB116_285
; %bb.282:
	v_subrev_u32_e32 v123, 24, v0
	s_movk_i32 s14, 0x140
	s_mov_b64 s[4:5], 0
.LBB116_283:                            ; =>This Inner Loop Header: Depth=1
	buffer_load_dword v124, v121, s[0:3], 0 offen
	v_mov_b32_e32 v125, s14
	ds_read_b32 v125, v125
	v_add_u32_e32 v123, -1, v123
	s_add_i32 s14, s14, 4
	v_cmp_eq_u32_e32 vcc, 0, v123
	v_add_u32_e32 v121, 4, v121
	s_or_b64 s[4:5], vcc, s[4:5]
	s_waitcnt vmcnt(0) lgkmcnt(0)
	v_fmac_f32_e32 v122, v124, v125
	s_andn2_b64 exec, exec, s[4:5]
	s_cbranch_execnz .LBB116_283
; %bb.284:
	s_or_b64 exec, exec, s[4:5]
.LBB116_285:
	s_or_b64 exec, exec, s[12:13]
	v_mov_b32_e32 v121, 0
	ds_read_b32 v121, v121 offset:92
	s_waitcnt lgkmcnt(0)
	v_mul_f32_e32 v121, v122, v121
	buffer_store_dword v121, off, s[0:3], 0 offset:92
.LBB116_286:
	s_or_b64 exec, exec, s[8:9]
	buffer_load_dword v121, off, s[0:3], 0 offset:88
	v_cmp_lt_u32_e64 s[4:5], 22, v0
	s_waitcnt vmcnt(0)
	ds_write_b32 v108, v121
	s_waitcnt lgkmcnt(0)
	; wave barrier
	s_waitcnt lgkmcnt(0)
	s_and_saveexec_b64 s[8:9], s[4:5]
	s_cbranch_execz .LBB116_296
; %bb.287:
	s_andn2_b64 vcc, exec, s[10:11]
	s_cbranch_vccnz .LBB116_289
; %bb.288:
	buffer_load_dword v121, v109, s[0:3], 0 offen
	ds_read_b32 v122, v108
	s_waitcnt vmcnt(0) lgkmcnt(0)
	v_mul_f32_e32 v121, v121, v122
	s_cbranch_execz .LBB116_290
	s_branch .LBB116_291
.LBB116_289:
                                        ; implicit-def: $vgpr121
.LBB116_290:
	ds_read_b32 v121, v108
.LBB116_291:
	s_and_saveexec_b64 s[12:13], s[6:7]
	s_cbranch_execz .LBB116_295
; %bb.292:
	v_mov_b32_e32 v122, 0
	v_add_u32_e32 v122, 0x5c, v122
	v_subrev_u32_e32 v123, 23, v0
	s_movk_i32 s14, 0x13c
	s_mov_b64 s[6:7], 0
.LBB116_293:                            ; =>This Inner Loop Header: Depth=1
	buffer_load_dword v124, v122, s[0:3], 0 offen
	v_mov_b32_e32 v125, s14
	ds_read_b32 v125, v125
	v_add_u32_e32 v123, -1, v123
	s_add_i32 s14, s14, 4
	v_cmp_eq_u32_e32 vcc, 0, v123
	v_add_u32_e32 v122, 4, v122
	s_or_b64 s[6:7], vcc, s[6:7]
	s_waitcnt vmcnt(0) lgkmcnt(0)
	v_fmac_f32_e32 v121, v124, v125
	s_andn2_b64 exec, exec, s[6:7]
	s_cbranch_execnz .LBB116_293
; %bb.294:
	s_or_b64 exec, exec, s[6:7]
.LBB116_295:
	s_or_b64 exec, exec, s[12:13]
	v_mov_b32_e32 v122, 0
	ds_read_b32 v122, v122 offset:88
	s_waitcnt lgkmcnt(0)
	v_mul_f32_e32 v121, v121, v122
	buffer_store_dword v121, off, s[0:3], 0 offset:88
.LBB116_296:
	s_or_b64 exec, exec, s[8:9]
	buffer_load_dword v121, off, s[0:3], 0 offset:84
	v_cmp_lt_u32_e64 s[6:7], 21, v0
	s_waitcnt vmcnt(0)
	ds_write_b32 v108, v121
	s_waitcnt lgkmcnt(0)
	; wave barrier
	s_waitcnt lgkmcnt(0)
	s_and_saveexec_b64 s[8:9], s[6:7]
	s_cbranch_execz .LBB116_306
; %bb.297:
	s_andn2_b64 vcc, exec, s[10:11]
	s_cbranch_vccnz .LBB116_299
; %bb.298:
	buffer_load_dword v121, v109, s[0:3], 0 offen
	ds_read_b32 v122, v108
	s_waitcnt vmcnt(0) lgkmcnt(0)
	v_mul_f32_e32 v121, v121, v122
	s_cbranch_execz .LBB116_300
	s_branch .LBB116_301
.LBB116_299:
                                        ; implicit-def: $vgpr121
.LBB116_300:
	ds_read_b32 v121, v108
.LBB116_301:
	s_and_saveexec_b64 s[12:13], s[4:5]
	s_cbranch_execz .LBB116_305
; %bb.302:
	v_subrev_u32_e32 v122, 22, v0
	s_movk_i32 s14, 0x138
	s_mov_b64 s[4:5], 0
.LBB116_303:                            ; =>This Inner Loop Header: Depth=1
	buffer_load_dword v123, v120, s[0:3], 0 offen
	v_mov_b32_e32 v124, s14
	ds_read_b32 v124, v124
	v_add_u32_e32 v122, -1, v122
	s_add_i32 s14, s14, 4
	v_cmp_eq_u32_e32 vcc, 0, v122
	v_add_u32_e32 v120, 4, v120
	s_or_b64 s[4:5], vcc, s[4:5]
	s_waitcnt vmcnt(0) lgkmcnt(0)
	v_fmac_f32_e32 v121, v123, v124
	s_andn2_b64 exec, exec, s[4:5]
	s_cbranch_execnz .LBB116_303
; %bb.304:
	s_or_b64 exec, exec, s[4:5]
.LBB116_305:
	s_or_b64 exec, exec, s[12:13]
	v_mov_b32_e32 v120, 0
	ds_read_b32 v120, v120 offset:84
	s_waitcnt lgkmcnt(0)
	v_mul_f32_e32 v120, v121, v120
	buffer_store_dword v120, off, s[0:3], 0 offset:84
.LBB116_306:
	s_or_b64 exec, exec, s[8:9]
	buffer_load_dword v120, off, s[0:3], 0 offset:80
	v_cmp_lt_u32_e64 s[4:5], 20, v0
	s_waitcnt vmcnt(0)
	ds_write_b32 v108, v120
	s_waitcnt lgkmcnt(0)
	; wave barrier
	s_waitcnt lgkmcnt(0)
	s_and_saveexec_b64 s[8:9], s[4:5]
	s_cbranch_execz .LBB116_316
; %bb.307:
	s_andn2_b64 vcc, exec, s[10:11]
	s_cbranch_vccnz .LBB116_309
; %bb.308:
	buffer_load_dword v120, v109, s[0:3], 0 offen
	ds_read_b32 v121, v108
	s_waitcnt vmcnt(0) lgkmcnt(0)
	v_mul_f32_e32 v120, v120, v121
	s_cbranch_execz .LBB116_310
	s_branch .LBB116_311
.LBB116_309:
                                        ; implicit-def: $vgpr120
.LBB116_310:
	ds_read_b32 v120, v108
.LBB116_311:
	s_and_saveexec_b64 s[12:13], s[6:7]
	s_cbranch_execz .LBB116_315
; %bb.312:
	v_mov_b32_e32 v121, 0
	v_add_u32_e32 v121, 0x54, v121
	v_subrev_u32_e32 v122, 21, v0
	s_movk_i32 s14, 0x134
	s_mov_b64 s[6:7], 0
.LBB116_313:                            ; =>This Inner Loop Header: Depth=1
	buffer_load_dword v123, v121, s[0:3], 0 offen
	v_mov_b32_e32 v124, s14
	ds_read_b32 v124, v124
	v_add_u32_e32 v122, -1, v122
	s_add_i32 s14, s14, 4
	v_cmp_eq_u32_e32 vcc, 0, v122
	v_add_u32_e32 v121, 4, v121
	s_or_b64 s[6:7], vcc, s[6:7]
	s_waitcnt vmcnt(0) lgkmcnt(0)
	v_fmac_f32_e32 v120, v123, v124
	s_andn2_b64 exec, exec, s[6:7]
	s_cbranch_execnz .LBB116_313
; %bb.314:
	s_or_b64 exec, exec, s[6:7]
.LBB116_315:
	s_or_b64 exec, exec, s[12:13]
	v_mov_b32_e32 v121, 0
	ds_read_b32 v121, v121 offset:80
	s_waitcnt lgkmcnt(0)
	v_mul_f32_e32 v120, v120, v121
	buffer_store_dword v120, off, s[0:3], 0 offset:80
.LBB116_316:
	s_or_b64 exec, exec, s[8:9]
	buffer_load_dword v120, off, s[0:3], 0 offset:76
	v_cmp_lt_u32_e64 s[6:7], 19, v0
	s_waitcnt vmcnt(0)
	ds_write_b32 v108, v120
	s_waitcnt lgkmcnt(0)
	; wave barrier
	s_waitcnt lgkmcnt(0)
	s_and_saveexec_b64 s[8:9], s[6:7]
	s_cbranch_execz .LBB116_326
; %bb.317:
	s_andn2_b64 vcc, exec, s[10:11]
	s_cbranch_vccnz .LBB116_319
; %bb.318:
	buffer_load_dword v120, v109, s[0:3], 0 offen
	ds_read_b32 v121, v108
	s_waitcnt vmcnt(0) lgkmcnt(0)
	v_mul_f32_e32 v120, v120, v121
	s_cbranch_execz .LBB116_320
	s_branch .LBB116_321
.LBB116_319:
                                        ; implicit-def: $vgpr120
.LBB116_320:
	ds_read_b32 v120, v108
.LBB116_321:
	s_and_saveexec_b64 s[12:13], s[4:5]
	s_cbranch_execz .LBB116_325
; %bb.322:
	v_subrev_u32_e32 v121, 20, v0
	s_movk_i32 s14, 0x130
	s_mov_b64 s[4:5], 0
.LBB116_323:                            ; =>This Inner Loop Header: Depth=1
	buffer_load_dword v122, v119, s[0:3], 0 offen
	v_mov_b32_e32 v123, s14
	ds_read_b32 v123, v123
	v_add_u32_e32 v121, -1, v121
	s_add_i32 s14, s14, 4
	v_cmp_eq_u32_e32 vcc, 0, v121
	v_add_u32_e32 v119, 4, v119
	s_or_b64 s[4:5], vcc, s[4:5]
	s_waitcnt vmcnt(0) lgkmcnt(0)
	v_fmac_f32_e32 v120, v122, v123
	s_andn2_b64 exec, exec, s[4:5]
	s_cbranch_execnz .LBB116_323
; %bb.324:
	s_or_b64 exec, exec, s[4:5]
.LBB116_325:
	s_or_b64 exec, exec, s[12:13]
	v_mov_b32_e32 v119, 0
	ds_read_b32 v119, v119 offset:76
	s_waitcnt lgkmcnt(0)
	v_mul_f32_e32 v119, v120, v119
	buffer_store_dword v119, off, s[0:3], 0 offset:76
.LBB116_326:
	s_or_b64 exec, exec, s[8:9]
	buffer_load_dword v119, off, s[0:3], 0 offset:72
	v_cmp_lt_u32_e64 s[4:5], 18, v0
	s_waitcnt vmcnt(0)
	ds_write_b32 v108, v119
	s_waitcnt lgkmcnt(0)
	; wave barrier
	s_waitcnt lgkmcnt(0)
	s_and_saveexec_b64 s[8:9], s[4:5]
	s_cbranch_execz .LBB116_336
; %bb.327:
	s_andn2_b64 vcc, exec, s[10:11]
	s_cbranch_vccnz .LBB116_329
; %bb.328:
	buffer_load_dword v119, v109, s[0:3], 0 offen
	ds_read_b32 v120, v108
	s_waitcnt vmcnt(0) lgkmcnt(0)
	v_mul_f32_e32 v119, v119, v120
	s_cbranch_execz .LBB116_330
	s_branch .LBB116_331
.LBB116_329:
                                        ; implicit-def: $vgpr119
.LBB116_330:
	ds_read_b32 v119, v108
.LBB116_331:
	s_and_saveexec_b64 s[12:13], s[6:7]
	s_cbranch_execz .LBB116_335
; %bb.332:
	v_mov_b32_e32 v120, 0
	v_add_u32_e32 v120, 0x4c, v120
	v_subrev_u32_e32 v121, 19, v0
	s_movk_i32 s14, 0x12c
	s_mov_b64 s[6:7], 0
.LBB116_333:                            ; =>This Inner Loop Header: Depth=1
	buffer_load_dword v122, v120, s[0:3], 0 offen
	v_mov_b32_e32 v123, s14
	ds_read_b32 v123, v123
	v_add_u32_e32 v121, -1, v121
	s_add_i32 s14, s14, 4
	v_cmp_eq_u32_e32 vcc, 0, v121
	v_add_u32_e32 v120, 4, v120
	s_or_b64 s[6:7], vcc, s[6:7]
	s_waitcnt vmcnt(0) lgkmcnt(0)
	v_fmac_f32_e32 v119, v122, v123
	s_andn2_b64 exec, exec, s[6:7]
	s_cbranch_execnz .LBB116_333
; %bb.334:
	s_or_b64 exec, exec, s[6:7]
.LBB116_335:
	s_or_b64 exec, exec, s[12:13]
	v_mov_b32_e32 v120, 0
	ds_read_b32 v120, v120 offset:72
	s_waitcnt lgkmcnt(0)
	v_mul_f32_e32 v119, v119, v120
	buffer_store_dword v119, off, s[0:3], 0 offset:72
.LBB116_336:
	s_or_b64 exec, exec, s[8:9]
	buffer_load_dword v119, off, s[0:3], 0 offset:68
	v_cmp_lt_u32_e64 s[6:7], 17, v0
	s_waitcnt vmcnt(0)
	ds_write_b32 v108, v119
	s_waitcnt lgkmcnt(0)
	; wave barrier
	s_waitcnt lgkmcnt(0)
	s_and_saveexec_b64 s[8:9], s[6:7]
	s_cbranch_execz .LBB116_346
; %bb.337:
	s_andn2_b64 vcc, exec, s[10:11]
	s_cbranch_vccnz .LBB116_339
; %bb.338:
	buffer_load_dword v119, v109, s[0:3], 0 offen
	ds_read_b32 v120, v108
	s_waitcnt vmcnt(0) lgkmcnt(0)
	v_mul_f32_e32 v119, v119, v120
	s_cbranch_execz .LBB116_340
	s_branch .LBB116_341
.LBB116_339:
                                        ; implicit-def: $vgpr119
.LBB116_340:
	ds_read_b32 v119, v108
.LBB116_341:
	s_and_saveexec_b64 s[12:13], s[4:5]
	s_cbranch_execz .LBB116_345
; %bb.342:
	v_subrev_u32_e32 v120, 18, v0
	s_movk_i32 s14, 0x128
	s_mov_b64 s[4:5], 0
.LBB116_343:                            ; =>This Inner Loop Header: Depth=1
	buffer_load_dword v121, v118, s[0:3], 0 offen
	v_mov_b32_e32 v122, s14
	ds_read_b32 v122, v122
	v_add_u32_e32 v120, -1, v120
	s_add_i32 s14, s14, 4
	v_cmp_eq_u32_e32 vcc, 0, v120
	v_add_u32_e32 v118, 4, v118
	s_or_b64 s[4:5], vcc, s[4:5]
	s_waitcnt vmcnt(0) lgkmcnt(0)
	v_fmac_f32_e32 v119, v121, v122
	s_andn2_b64 exec, exec, s[4:5]
	s_cbranch_execnz .LBB116_343
; %bb.344:
	s_or_b64 exec, exec, s[4:5]
.LBB116_345:
	s_or_b64 exec, exec, s[12:13]
	v_mov_b32_e32 v118, 0
	ds_read_b32 v118, v118 offset:68
	s_waitcnt lgkmcnt(0)
	v_mul_f32_e32 v118, v119, v118
	buffer_store_dword v118, off, s[0:3], 0 offset:68
.LBB116_346:
	s_or_b64 exec, exec, s[8:9]
	buffer_load_dword v118, off, s[0:3], 0 offset:64
	v_cmp_lt_u32_e64 s[4:5], 16, v0
	s_waitcnt vmcnt(0)
	ds_write_b32 v108, v118
	s_waitcnt lgkmcnt(0)
	; wave barrier
	s_waitcnt lgkmcnt(0)
	s_and_saveexec_b64 s[8:9], s[4:5]
	s_cbranch_execz .LBB116_356
; %bb.347:
	s_andn2_b64 vcc, exec, s[10:11]
	s_cbranch_vccnz .LBB116_349
; %bb.348:
	buffer_load_dword v118, v109, s[0:3], 0 offen
	ds_read_b32 v119, v108
	s_waitcnt vmcnt(0) lgkmcnt(0)
	v_mul_f32_e32 v118, v118, v119
	s_cbranch_execz .LBB116_350
	s_branch .LBB116_351
.LBB116_349:
                                        ; implicit-def: $vgpr118
.LBB116_350:
	ds_read_b32 v118, v108
.LBB116_351:
	s_and_saveexec_b64 s[12:13], s[6:7]
	s_cbranch_execz .LBB116_355
; %bb.352:
	v_mov_b32_e32 v119, 0
	v_add_u32_e32 v119, 0x44, v119
	v_subrev_u32_e32 v120, 17, v0
	s_movk_i32 s14, 0x124
	s_mov_b64 s[6:7], 0
.LBB116_353:                            ; =>This Inner Loop Header: Depth=1
	buffer_load_dword v121, v119, s[0:3], 0 offen
	v_mov_b32_e32 v122, s14
	ds_read_b32 v122, v122
	v_add_u32_e32 v120, -1, v120
	s_add_i32 s14, s14, 4
	v_cmp_eq_u32_e32 vcc, 0, v120
	v_add_u32_e32 v119, 4, v119
	s_or_b64 s[6:7], vcc, s[6:7]
	s_waitcnt vmcnt(0) lgkmcnt(0)
	v_fmac_f32_e32 v118, v121, v122
	s_andn2_b64 exec, exec, s[6:7]
	s_cbranch_execnz .LBB116_353
; %bb.354:
	s_or_b64 exec, exec, s[6:7]
.LBB116_355:
	s_or_b64 exec, exec, s[12:13]
	v_mov_b32_e32 v119, 0
	ds_read_b32 v119, v119 offset:64
	s_waitcnt lgkmcnt(0)
	v_mul_f32_e32 v118, v118, v119
	buffer_store_dword v118, off, s[0:3], 0 offset:64
.LBB116_356:
	s_or_b64 exec, exec, s[8:9]
	buffer_load_dword v118, off, s[0:3], 0 offset:60
	v_cmp_lt_u32_e64 s[6:7], 15, v0
	s_waitcnt vmcnt(0)
	ds_write_b32 v108, v118
	s_waitcnt lgkmcnt(0)
	; wave barrier
	s_waitcnt lgkmcnt(0)
	s_and_saveexec_b64 s[8:9], s[6:7]
	s_cbranch_execz .LBB116_366
; %bb.357:
	s_andn2_b64 vcc, exec, s[10:11]
	s_cbranch_vccnz .LBB116_359
; %bb.358:
	buffer_load_dword v118, v109, s[0:3], 0 offen
	ds_read_b32 v119, v108
	s_waitcnt vmcnt(0) lgkmcnt(0)
	v_mul_f32_e32 v118, v118, v119
	s_cbranch_execz .LBB116_360
	s_branch .LBB116_361
.LBB116_359:
                                        ; implicit-def: $vgpr118
.LBB116_360:
	ds_read_b32 v118, v108
.LBB116_361:
	s_and_saveexec_b64 s[12:13], s[4:5]
	s_cbranch_execz .LBB116_365
; %bb.362:
	v_add_u32_e32 v119, -16, v0
	s_movk_i32 s14, 0x120
	s_mov_b64 s[4:5], 0
.LBB116_363:                            ; =>This Inner Loop Header: Depth=1
	buffer_load_dword v120, v117, s[0:3], 0 offen
	v_mov_b32_e32 v121, s14
	ds_read_b32 v121, v121
	v_add_u32_e32 v119, -1, v119
	s_add_i32 s14, s14, 4
	v_cmp_eq_u32_e32 vcc, 0, v119
	v_add_u32_e32 v117, 4, v117
	s_or_b64 s[4:5], vcc, s[4:5]
	s_waitcnt vmcnt(0) lgkmcnt(0)
	v_fmac_f32_e32 v118, v120, v121
	s_andn2_b64 exec, exec, s[4:5]
	s_cbranch_execnz .LBB116_363
; %bb.364:
	s_or_b64 exec, exec, s[4:5]
.LBB116_365:
	s_or_b64 exec, exec, s[12:13]
	v_mov_b32_e32 v117, 0
	ds_read_b32 v117, v117 offset:60
	s_waitcnt lgkmcnt(0)
	v_mul_f32_e32 v117, v118, v117
	buffer_store_dword v117, off, s[0:3], 0 offset:60
.LBB116_366:
	s_or_b64 exec, exec, s[8:9]
	buffer_load_dword v117, off, s[0:3], 0 offset:56
	v_cmp_lt_u32_e64 s[4:5], 14, v0
	s_waitcnt vmcnt(0)
	ds_write_b32 v108, v117
	s_waitcnt lgkmcnt(0)
	; wave barrier
	s_waitcnt lgkmcnt(0)
	s_and_saveexec_b64 s[8:9], s[4:5]
	s_cbranch_execz .LBB116_376
; %bb.367:
	s_andn2_b64 vcc, exec, s[10:11]
	s_cbranch_vccnz .LBB116_369
; %bb.368:
	buffer_load_dword v117, v109, s[0:3], 0 offen
	ds_read_b32 v118, v108
	s_waitcnt vmcnt(0) lgkmcnt(0)
	v_mul_f32_e32 v117, v117, v118
	s_cbranch_execz .LBB116_370
	s_branch .LBB116_371
.LBB116_369:
                                        ; implicit-def: $vgpr117
.LBB116_370:
	ds_read_b32 v117, v108
.LBB116_371:
	s_and_saveexec_b64 s[12:13], s[6:7]
	s_cbranch_execz .LBB116_375
; %bb.372:
	v_mov_b32_e32 v118, 0
	v_add_u32_e32 v118, 60, v118
	v_add_u32_e32 v119, -15, v0
	s_movk_i32 s14, 0x11c
	s_mov_b64 s[6:7], 0
.LBB116_373:                            ; =>This Inner Loop Header: Depth=1
	buffer_load_dword v120, v118, s[0:3], 0 offen
	v_mov_b32_e32 v121, s14
	ds_read_b32 v121, v121
	v_add_u32_e32 v119, -1, v119
	s_add_i32 s14, s14, 4
	v_cmp_eq_u32_e32 vcc, 0, v119
	v_add_u32_e32 v118, 4, v118
	s_or_b64 s[6:7], vcc, s[6:7]
	s_waitcnt vmcnt(0) lgkmcnt(0)
	v_fmac_f32_e32 v117, v120, v121
	s_andn2_b64 exec, exec, s[6:7]
	s_cbranch_execnz .LBB116_373
; %bb.374:
	s_or_b64 exec, exec, s[6:7]
.LBB116_375:
	s_or_b64 exec, exec, s[12:13]
	v_mov_b32_e32 v118, 0
	ds_read_b32 v118, v118 offset:56
	s_waitcnt lgkmcnt(0)
	v_mul_f32_e32 v117, v117, v118
	buffer_store_dword v117, off, s[0:3], 0 offset:56
.LBB116_376:
	s_or_b64 exec, exec, s[8:9]
	buffer_load_dword v117, off, s[0:3], 0 offset:52
	v_cmp_lt_u32_e64 s[6:7], 13, v0
	s_waitcnt vmcnt(0)
	ds_write_b32 v108, v117
	s_waitcnt lgkmcnt(0)
	; wave barrier
	s_waitcnt lgkmcnt(0)
	s_and_saveexec_b64 s[8:9], s[6:7]
	s_cbranch_execz .LBB116_386
; %bb.377:
	s_andn2_b64 vcc, exec, s[10:11]
	s_cbranch_vccnz .LBB116_379
; %bb.378:
	buffer_load_dword v117, v109, s[0:3], 0 offen
	ds_read_b32 v118, v108
	s_waitcnt vmcnt(0) lgkmcnt(0)
	v_mul_f32_e32 v117, v117, v118
	s_cbranch_execz .LBB116_380
	s_branch .LBB116_381
.LBB116_379:
                                        ; implicit-def: $vgpr117
.LBB116_380:
	ds_read_b32 v117, v108
.LBB116_381:
	s_and_saveexec_b64 s[12:13], s[4:5]
	s_cbranch_execz .LBB116_385
; %bb.382:
	v_add_u32_e32 v118, -14, v0
	s_movk_i32 s14, 0x118
	s_mov_b64 s[4:5], 0
.LBB116_383:                            ; =>This Inner Loop Header: Depth=1
	buffer_load_dword v119, v116, s[0:3], 0 offen
	v_mov_b32_e32 v120, s14
	ds_read_b32 v120, v120
	v_add_u32_e32 v118, -1, v118
	s_add_i32 s14, s14, 4
	v_cmp_eq_u32_e32 vcc, 0, v118
	v_add_u32_e32 v116, 4, v116
	s_or_b64 s[4:5], vcc, s[4:5]
	s_waitcnt vmcnt(0) lgkmcnt(0)
	v_fmac_f32_e32 v117, v119, v120
	s_andn2_b64 exec, exec, s[4:5]
	s_cbranch_execnz .LBB116_383
; %bb.384:
	s_or_b64 exec, exec, s[4:5]
.LBB116_385:
	s_or_b64 exec, exec, s[12:13]
	v_mov_b32_e32 v116, 0
	ds_read_b32 v116, v116 offset:52
	s_waitcnt lgkmcnt(0)
	v_mul_f32_e32 v116, v117, v116
	buffer_store_dword v116, off, s[0:3], 0 offset:52
.LBB116_386:
	s_or_b64 exec, exec, s[8:9]
	buffer_load_dword v116, off, s[0:3], 0 offset:48
	v_cmp_lt_u32_e64 s[4:5], 12, v0
	s_waitcnt vmcnt(0)
	ds_write_b32 v108, v116
	s_waitcnt lgkmcnt(0)
	; wave barrier
	s_waitcnt lgkmcnt(0)
	s_and_saveexec_b64 s[8:9], s[4:5]
	s_cbranch_execz .LBB116_396
; %bb.387:
	s_andn2_b64 vcc, exec, s[10:11]
	s_cbranch_vccnz .LBB116_389
; %bb.388:
	buffer_load_dword v116, v109, s[0:3], 0 offen
	ds_read_b32 v117, v108
	s_waitcnt vmcnt(0) lgkmcnt(0)
	v_mul_f32_e32 v116, v116, v117
	s_cbranch_execz .LBB116_390
	s_branch .LBB116_391
.LBB116_389:
                                        ; implicit-def: $vgpr116
.LBB116_390:
	ds_read_b32 v116, v108
.LBB116_391:
	s_and_saveexec_b64 s[12:13], s[6:7]
	s_cbranch_execz .LBB116_395
; %bb.392:
	v_mov_b32_e32 v117, 0
	v_add_u32_e32 v117, 52, v117
	v_add_u32_e32 v118, -13, v0
	s_movk_i32 s14, 0x114
	s_mov_b64 s[6:7], 0
.LBB116_393:                            ; =>This Inner Loop Header: Depth=1
	buffer_load_dword v119, v117, s[0:3], 0 offen
	v_mov_b32_e32 v120, s14
	ds_read_b32 v120, v120
	v_add_u32_e32 v118, -1, v118
	s_add_i32 s14, s14, 4
	v_cmp_eq_u32_e32 vcc, 0, v118
	v_add_u32_e32 v117, 4, v117
	s_or_b64 s[6:7], vcc, s[6:7]
	s_waitcnt vmcnt(0) lgkmcnt(0)
	v_fmac_f32_e32 v116, v119, v120
	s_andn2_b64 exec, exec, s[6:7]
	s_cbranch_execnz .LBB116_393
; %bb.394:
	s_or_b64 exec, exec, s[6:7]
.LBB116_395:
	s_or_b64 exec, exec, s[12:13]
	v_mov_b32_e32 v117, 0
	ds_read_b32 v117, v117 offset:48
	s_waitcnt lgkmcnt(0)
	v_mul_f32_e32 v116, v116, v117
	buffer_store_dword v116, off, s[0:3], 0 offset:48
.LBB116_396:
	s_or_b64 exec, exec, s[8:9]
	buffer_load_dword v116, off, s[0:3], 0 offset:44
	v_cmp_lt_u32_e64 s[6:7], 11, v0
	s_waitcnt vmcnt(0)
	ds_write_b32 v108, v116
	s_waitcnt lgkmcnt(0)
	; wave barrier
	s_waitcnt lgkmcnt(0)
	s_and_saveexec_b64 s[8:9], s[6:7]
	s_cbranch_execz .LBB116_406
; %bb.397:
	s_andn2_b64 vcc, exec, s[10:11]
	s_cbranch_vccnz .LBB116_399
; %bb.398:
	buffer_load_dword v116, v109, s[0:3], 0 offen
	ds_read_b32 v117, v108
	s_waitcnt vmcnt(0) lgkmcnt(0)
	v_mul_f32_e32 v116, v116, v117
	s_cbranch_execz .LBB116_400
	s_branch .LBB116_401
.LBB116_399:
                                        ; implicit-def: $vgpr116
.LBB116_400:
	ds_read_b32 v116, v108
.LBB116_401:
	s_and_saveexec_b64 s[12:13], s[4:5]
	s_cbranch_execz .LBB116_405
; %bb.402:
	v_add_u32_e32 v117, -12, v0
	s_movk_i32 s14, 0x110
	s_mov_b64 s[4:5], 0
.LBB116_403:                            ; =>This Inner Loop Header: Depth=1
	buffer_load_dword v118, v115, s[0:3], 0 offen
	v_mov_b32_e32 v119, s14
	ds_read_b32 v119, v119
	v_add_u32_e32 v117, -1, v117
	s_add_i32 s14, s14, 4
	v_cmp_eq_u32_e32 vcc, 0, v117
	v_add_u32_e32 v115, 4, v115
	s_or_b64 s[4:5], vcc, s[4:5]
	s_waitcnt vmcnt(0) lgkmcnt(0)
	v_fmac_f32_e32 v116, v118, v119
	s_andn2_b64 exec, exec, s[4:5]
	s_cbranch_execnz .LBB116_403
; %bb.404:
	s_or_b64 exec, exec, s[4:5]
.LBB116_405:
	s_or_b64 exec, exec, s[12:13]
	v_mov_b32_e32 v115, 0
	ds_read_b32 v115, v115 offset:44
	s_waitcnt lgkmcnt(0)
	v_mul_f32_e32 v115, v116, v115
	buffer_store_dword v115, off, s[0:3], 0 offset:44
.LBB116_406:
	s_or_b64 exec, exec, s[8:9]
	buffer_load_dword v115, off, s[0:3], 0 offset:40
	v_cmp_lt_u32_e64 s[4:5], 10, v0
	s_waitcnt vmcnt(0)
	ds_write_b32 v108, v115
	s_waitcnt lgkmcnt(0)
	; wave barrier
	s_waitcnt lgkmcnt(0)
	s_and_saveexec_b64 s[8:9], s[4:5]
	s_cbranch_execz .LBB116_416
; %bb.407:
	s_andn2_b64 vcc, exec, s[10:11]
	s_cbranch_vccnz .LBB116_409
; %bb.408:
	buffer_load_dword v115, v109, s[0:3], 0 offen
	ds_read_b32 v116, v108
	s_waitcnt vmcnt(0) lgkmcnt(0)
	v_mul_f32_e32 v115, v115, v116
	s_cbranch_execz .LBB116_410
	s_branch .LBB116_411
.LBB116_409:
                                        ; implicit-def: $vgpr115
.LBB116_410:
	ds_read_b32 v115, v108
.LBB116_411:
	s_and_saveexec_b64 s[12:13], s[6:7]
	s_cbranch_execz .LBB116_415
; %bb.412:
	v_mov_b32_e32 v116, 0
	v_add_u32_e32 v116, 44, v116
	v_add_u32_e32 v117, -11, v0
	s_movk_i32 s14, 0x10c
	s_mov_b64 s[6:7], 0
.LBB116_413:                            ; =>This Inner Loop Header: Depth=1
	buffer_load_dword v118, v116, s[0:3], 0 offen
	v_mov_b32_e32 v119, s14
	ds_read_b32 v119, v119
	v_add_u32_e32 v117, -1, v117
	s_add_i32 s14, s14, 4
	v_cmp_eq_u32_e32 vcc, 0, v117
	v_add_u32_e32 v116, 4, v116
	s_or_b64 s[6:7], vcc, s[6:7]
	s_waitcnt vmcnt(0) lgkmcnt(0)
	v_fmac_f32_e32 v115, v118, v119
	s_andn2_b64 exec, exec, s[6:7]
	s_cbranch_execnz .LBB116_413
; %bb.414:
	s_or_b64 exec, exec, s[6:7]
.LBB116_415:
	s_or_b64 exec, exec, s[12:13]
	v_mov_b32_e32 v116, 0
	ds_read_b32 v116, v116 offset:40
	s_waitcnt lgkmcnt(0)
	v_mul_f32_e32 v115, v115, v116
	buffer_store_dword v115, off, s[0:3], 0 offset:40
.LBB116_416:
	s_or_b64 exec, exec, s[8:9]
	buffer_load_dword v115, off, s[0:3], 0 offset:36
	v_cmp_lt_u32_e64 s[6:7], 9, v0
	s_waitcnt vmcnt(0)
	ds_write_b32 v108, v115
	s_waitcnt lgkmcnt(0)
	; wave barrier
	s_waitcnt lgkmcnt(0)
	s_and_saveexec_b64 s[8:9], s[6:7]
	s_cbranch_execz .LBB116_426
; %bb.417:
	s_andn2_b64 vcc, exec, s[10:11]
	s_cbranch_vccnz .LBB116_419
; %bb.418:
	buffer_load_dword v115, v109, s[0:3], 0 offen
	ds_read_b32 v116, v108
	s_waitcnt vmcnt(0) lgkmcnt(0)
	v_mul_f32_e32 v115, v115, v116
	s_cbranch_execz .LBB116_420
	s_branch .LBB116_421
.LBB116_419:
                                        ; implicit-def: $vgpr115
.LBB116_420:
	ds_read_b32 v115, v108
.LBB116_421:
	s_and_saveexec_b64 s[12:13], s[4:5]
	s_cbranch_execz .LBB116_425
; %bb.422:
	v_add_u32_e32 v116, -10, v0
	s_movk_i32 s14, 0x108
	s_mov_b64 s[4:5], 0
.LBB116_423:                            ; =>This Inner Loop Header: Depth=1
	buffer_load_dword v117, v114, s[0:3], 0 offen
	v_mov_b32_e32 v118, s14
	ds_read_b32 v118, v118
	v_add_u32_e32 v116, -1, v116
	s_add_i32 s14, s14, 4
	v_cmp_eq_u32_e32 vcc, 0, v116
	v_add_u32_e32 v114, 4, v114
	s_or_b64 s[4:5], vcc, s[4:5]
	s_waitcnt vmcnt(0) lgkmcnt(0)
	v_fmac_f32_e32 v115, v117, v118
	s_andn2_b64 exec, exec, s[4:5]
	s_cbranch_execnz .LBB116_423
; %bb.424:
	s_or_b64 exec, exec, s[4:5]
.LBB116_425:
	s_or_b64 exec, exec, s[12:13]
	v_mov_b32_e32 v114, 0
	ds_read_b32 v114, v114 offset:36
	s_waitcnt lgkmcnt(0)
	v_mul_f32_e32 v114, v115, v114
	buffer_store_dword v114, off, s[0:3], 0 offset:36
.LBB116_426:
	s_or_b64 exec, exec, s[8:9]
	buffer_load_dword v114, off, s[0:3], 0 offset:32
	v_cmp_lt_u32_e64 s[4:5], 8, v0
	s_waitcnt vmcnt(0)
	ds_write_b32 v108, v114
	s_waitcnt lgkmcnt(0)
	; wave barrier
	s_waitcnt lgkmcnt(0)
	s_and_saveexec_b64 s[8:9], s[4:5]
	s_cbranch_execz .LBB116_436
; %bb.427:
	s_andn2_b64 vcc, exec, s[10:11]
	s_cbranch_vccnz .LBB116_429
; %bb.428:
	buffer_load_dword v114, v109, s[0:3], 0 offen
	ds_read_b32 v115, v108
	s_waitcnt vmcnt(0) lgkmcnt(0)
	v_mul_f32_e32 v114, v114, v115
	s_cbranch_execz .LBB116_430
	s_branch .LBB116_431
.LBB116_429:
                                        ; implicit-def: $vgpr114
.LBB116_430:
	ds_read_b32 v114, v108
.LBB116_431:
	s_and_saveexec_b64 s[12:13], s[6:7]
	s_cbranch_execz .LBB116_435
; %bb.432:
	v_mov_b32_e32 v115, 0
	v_add_u32_e32 v115, 36, v115
	v_add_u32_e32 v116, -9, v0
	s_movk_i32 s14, 0x104
	s_mov_b64 s[6:7], 0
.LBB116_433:                            ; =>This Inner Loop Header: Depth=1
	buffer_load_dword v117, v115, s[0:3], 0 offen
	v_mov_b32_e32 v118, s14
	ds_read_b32 v118, v118
	v_add_u32_e32 v116, -1, v116
	s_add_i32 s14, s14, 4
	v_cmp_eq_u32_e32 vcc, 0, v116
	v_add_u32_e32 v115, 4, v115
	s_or_b64 s[6:7], vcc, s[6:7]
	s_waitcnt vmcnt(0) lgkmcnt(0)
	v_fmac_f32_e32 v114, v117, v118
	s_andn2_b64 exec, exec, s[6:7]
	s_cbranch_execnz .LBB116_433
; %bb.434:
	s_or_b64 exec, exec, s[6:7]
.LBB116_435:
	s_or_b64 exec, exec, s[12:13]
	v_mov_b32_e32 v115, 0
	ds_read_b32 v115, v115 offset:32
	s_waitcnt lgkmcnt(0)
	v_mul_f32_e32 v114, v114, v115
	buffer_store_dword v114, off, s[0:3], 0 offset:32
.LBB116_436:
	s_or_b64 exec, exec, s[8:9]
	buffer_load_dword v114, off, s[0:3], 0 offset:28
	v_cmp_lt_u32_e64 s[6:7], 7, v0
	s_waitcnt vmcnt(0)
	ds_write_b32 v108, v114
	s_waitcnt lgkmcnt(0)
	; wave barrier
	s_waitcnt lgkmcnt(0)
	s_and_saveexec_b64 s[8:9], s[6:7]
	s_cbranch_execz .LBB116_446
; %bb.437:
	s_andn2_b64 vcc, exec, s[10:11]
	s_cbranch_vccnz .LBB116_439
; %bb.438:
	buffer_load_dword v114, v109, s[0:3], 0 offen
	ds_read_b32 v115, v108
	s_waitcnt vmcnt(0) lgkmcnt(0)
	v_mul_f32_e32 v114, v114, v115
	s_cbranch_execz .LBB116_440
	s_branch .LBB116_441
.LBB116_439:
                                        ; implicit-def: $vgpr114
.LBB116_440:
	ds_read_b32 v114, v108
.LBB116_441:
	s_and_saveexec_b64 s[12:13], s[4:5]
	s_cbranch_execz .LBB116_445
; %bb.442:
	v_add_u32_e32 v115, -8, v0
	s_movk_i32 s14, 0x100
	s_mov_b64 s[4:5], 0
.LBB116_443:                            ; =>This Inner Loop Header: Depth=1
	buffer_load_dword v116, v113, s[0:3], 0 offen
	v_mov_b32_e32 v117, s14
	ds_read_b32 v117, v117
	v_add_u32_e32 v115, -1, v115
	s_add_i32 s14, s14, 4
	v_cmp_eq_u32_e32 vcc, 0, v115
	v_add_u32_e32 v113, 4, v113
	s_or_b64 s[4:5], vcc, s[4:5]
	s_waitcnt vmcnt(0) lgkmcnt(0)
	v_fmac_f32_e32 v114, v116, v117
	s_andn2_b64 exec, exec, s[4:5]
	s_cbranch_execnz .LBB116_443
; %bb.444:
	s_or_b64 exec, exec, s[4:5]
.LBB116_445:
	s_or_b64 exec, exec, s[12:13]
	v_mov_b32_e32 v113, 0
	ds_read_b32 v113, v113 offset:28
	s_waitcnt lgkmcnt(0)
	v_mul_f32_e32 v113, v114, v113
	buffer_store_dword v113, off, s[0:3], 0 offset:28
.LBB116_446:
	s_or_b64 exec, exec, s[8:9]
	buffer_load_dword v113, off, s[0:3], 0 offset:24
	v_cmp_lt_u32_e64 s[4:5], 6, v0
	s_waitcnt vmcnt(0)
	ds_write_b32 v108, v113
	s_waitcnt lgkmcnt(0)
	; wave barrier
	s_waitcnt lgkmcnt(0)
	s_and_saveexec_b64 s[8:9], s[4:5]
	s_cbranch_execz .LBB116_456
; %bb.447:
	s_andn2_b64 vcc, exec, s[10:11]
	s_cbranch_vccnz .LBB116_449
; %bb.448:
	buffer_load_dword v113, v109, s[0:3], 0 offen
	ds_read_b32 v114, v108
	s_waitcnt vmcnt(0) lgkmcnt(0)
	v_mul_f32_e32 v113, v113, v114
	s_cbranch_execz .LBB116_450
	s_branch .LBB116_451
.LBB116_449:
                                        ; implicit-def: $vgpr113
.LBB116_450:
	ds_read_b32 v113, v108
.LBB116_451:
	s_and_saveexec_b64 s[12:13], s[6:7]
	s_cbranch_execz .LBB116_455
; %bb.452:
	v_mov_b32_e32 v114, 0
	v_add_u32_e32 v114, 28, v114
	v_add_u32_e32 v115, -7, v0
	s_movk_i32 s14, 0xfc
	s_mov_b64 s[6:7], 0
.LBB116_453:                            ; =>This Inner Loop Header: Depth=1
	buffer_load_dword v116, v114, s[0:3], 0 offen
	v_mov_b32_e32 v117, s14
	ds_read_b32 v117, v117
	v_add_u32_e32 v115, -1, v115
	s_add_i32 s14, s14, 4
	v_cmp_eq_u32_e32 vcc, 0, v115
	v_add_u32_e32 v114, 4, v114
	s_or_b64 s[6:7], vcc, s[6:7]
	s_waitcnt vmcnt(0) lgkmcnt(0)
	v_fmac_f32_e32 v113, v116, v117
	s_andn2_b64 exec, exec, s[6:7]
	s_cbranch_execnz .LBB116_453
; %bb.454:
	s_or_b64 exec, exec, s[6:7]
.LBB116_455:
	s_or_b64 exec, exec, s[12:13]
	v_mov_b32_e32 v114, 0
	ds_read_b32 v114, v114 offset:24
	s_waitcnt lgkmcnt(0)
	v_mul_f32_e32 v113, v113, v114
	buffer_store_dword v113, off, s[0:3], 0 offset:24
.LBB116_456:
	s_or_b64 exec, exec, s[8:9]
	buffer_load_dword v113, off, s[0:3], 0 offset:20
	v_cmp_lt_u32_e64 s[6:7], 5, v0
	s_waitcnt vmcnt(0)
	ds_write_b32 v108, v113
	s_waitcnt lgkmcnt(0)
	; wave barrier
	s_waitcnt lgkmcnt(0)
	s_and_saveexec_b64 s[8:9], s[6:7]
	s_cbranch_execz .LBB116_466
; %bb.457:
	s_andn2_b64 vcc, exec, s[10:11]
	s_cbranch_vccnz .LBB116_459
; %bb.458:
	buffer_load_dword v113, v109, s[0:3], 0 offen
	ds_read_b32 v114, v108
	s_waitcnt vmcnt(0) lgkmcnt(0)
	v_mul_f32_e32 v113, v113, v114
	s_cbranch_execz .LBB116_460
	s_branch .LBB116_461
.LBB116_459:
                                        ; implicit-def: $vgpr113
.LBB116_460:
	ds_read_b32 v113, v108
.LBB116_461:
	s_and_saveexec_b64 s[12:13], s[4:5]
	s_cbranch_execz .LBB116_465
; %bb.462:
	v_add_u32_e32 v114, -6, v0
	s_movk_i32 s14, 0xf8
	s_mov_b64 s[4:5], 0
.LBB116_463:                            ; =>This Inner Loop Header: Depth=1
	buffer_load_dword v115, v112, s[0:3], 0 offen
	v_mov_b32_e32 v116, s14
	ds_read_b32 v116, v116
	v_add_u32_e32 v114, -1, v114
	s_add_i32 s14, s14, 4
	v_cmp_eq_u32_e32 vcc, 0, v114
	v_add_u32_e32 v112, 4, v112
	s_or_b64 s[4:5], vcc, s[4:5]
	s_waitcnt vmcnt(0) lgkmcnt(0)
	v_fmac_f32_e32 v113, v115, v116
	s_andn2_b64 exec, exec, s[4:5]
	s_cbranch_execnz .LBB116_463
; %bb.464:
	s_or_b64 exec, exec, s[4:5]
.LBB116_465:
	s_or_b64 exec, exec, s[12:13]
	v_mov_b32_e32 v112, 0
	ds_read_b32 v112, v112 offset:20
	s_waitcnt lgkmcnt(0)
	v_mul_f32_e32 v112, v113, v112
	buffer_store_dword v112, off, s[0:3], 0 offset:20
.LBB116_466:
	s_or_b64 exec, exec, s[8:9]
	buffer_load_dword v112, off, s[0:3], 0 offset:16
	v_cmp_lt_u32_e64 s[4:5], 4, v0
	s_waitcnt vmcnt(0)
	ds_write_b32 v108, v112
	s_waitcnt lgkmcnt(0)
	; wave barrier
	s_waitcnt lgkmcnt(0)
	s_and_saveexec_b64 s[8:9], s[4:5]
	s_cbranch_execz .LBB116_476
; %bb.467:
	s_andn2_b64 vcc, exec, s[10:11]
	s_cbranch_vccnz .LBB116_469
; %bb.468:
	buffer_load_dword v112, v109, s[0:3], 0 offen
	ds_read_b32 v113, v108
	s_waitcnt vmcnt(0) lgkmcnt(0)
	v_mul_f32_e32 v112, v112, v113
	s_cbranch_execz .LBB116_470
	s_branch .LBB116_471
.LBB116_469:
                                        ; implicit-def: $vgpr112
.LBB116_470:
	ds_read_b32 v112, v108
.LBB116_471:
	s_and_saveexec_b64 s[12:13], s[6:7]
	s_cbranch_execz .LBB116_475
; %bb.472:
	v_mov_b32_e32 v113, 0
	v_add_u32_e32 v113, 20, v113
	v_add_u32_e32 v114, -5, v0
	s_movk_i32 s14, 0xf4
	s_mov_b64 s[6:7], 0
.LBB116_473:                            ; =>This Inner Loop Header: Depth=1
	buffer_load_dword v115, v113, s[0:3], 0 offen
	v_mov_b32_e32 v116, s14
	ds_read_b32 v116, v116
	v_add_u32_e32 v114, -1, v114
	s_add_i32 s14, s14, 4
	v_cmp_eq_u32_e32 vcc, 0, v114
	v_add_u32_e32 v113, 4, v113
	s_or_b64 s[6:7], vcc, s[6:7]
	s_waitcnt vmcnt(0) lgkmcnt(0)
	v_fmac_f32_e32 v112, v115, v116
	s_andn2_b64 exec, exec, s[6:7]
	s_cbranch_execnz .LBB116_473
; %bb.474:
	s_or_b64 exec, exec, s[6:7]
.LBB116_475:
	s_or_b64 exec, exec, s[12:13]
	v_mov_b32_e32 v113, 0
	ds_read_b32 v113, v113 offset:16
	s_waitcnt lgkmcnt(0)
	v_mul_f32_e32 v112, v112, v113
	buffer_store_dword v112, off, s[0:3], 0 offset:16
.LBB116_476:
	s_or_b64 exec, exec, s[8:9]
	buffer_load_dword v112, off, s[0:3], 0 offset:12
	v_cmp_lt_u32_e64 s[6:7], 3, v0
	s_waitcnt vmcnt(0)
	ds_write_b32 v108, v112
	s_waitcnt lgkmcnt(0)
	; wave barrier
	s_waitcnt lgkmcnt(0)
	s_and_saveexec_b64 s[8:9], s[6:7]
	s_cbranch_execz .LBB116_486
; %bb.477:
	s_andn2_b64 vcc, exec, s[10:11]
	s_cbranch_vccnz .LBB116_479
; %bb.478:
	buffer_load_dword v112, v109, s[0:3], 0 offen
	ds_read_b32 v113, v108
	s_waitcnt vmcnt(0) lgkmcnt(0)
	v_mul_f32_e32 v112, v112, v113
	s_cbranch_execz .LBB116_480
	s_branch .LBB116_481
.LBB116_479:
                                        ; implicit-def: $vgpr112
.LBB116_480:
	ds_read_b32 v112, v108
.LBB116_481:
	s_and_saveexec_b64 s[12:13], s[4:5]
	s_cbranch_execz .LBB116_485
; %bb.482:
	v_add_u32_e32 v113, -4, v0
	s_movk_i32 s14, 0xf0
	s_mov_b64 s[4:5], 0
.LBB116_483:                            ; =>This Inner Loop Header: Depth=1
	buffer_load_dword v114, v111, s[0:3], 0 offen
	v_mov_b32_e32 v115, s14
	ds_read_b32 v115, v115
	v_add_u32_e32 v113, -1, v113
	s_add_i32 s14, s14, 4
	v_cmp_eq_u32_e32 vcc, 0, v113
	v_add_u32_e32 v111, 4, v111
	s_or_b64 s[4:5], vcc, s[4:5]
	s_waitcnt vmcnt(0) lgkmcnt(0)
	v_fmac_f32_e32 v112, v114, v115
	s_andn2_b64 exec, exec, s[4:5]
	s_cbranch_execnz .LBB116_483
; %bb.484:
	s_or_b64 exec, exec, s[4:5]
.LBB116_485:
	s_or_b64 exec, exec, s[12:13]
	v_mov_b32_e32 v111, 0
	ds_read_b32 v111, v111 offset:12
	s_waitcnt lgkmcnt(0)
	v_mul_f32_e32 v111, v112, v111
	buffer_store_dword v111, off, s[0:3], 0 offset:12
.LBB116_486:
	s_or_b64 exec, exec, s[8:9]
	buffer_load_dword v111, off, s[0:3], 0 offset:8
	v_cmp_lt_u32_e64 s[4:5], 2, v0
	s_waitcnt vmcnt(0)
	ds_write_b32 v108, v111
	s_waitcnt lgkmcnt(0)
	; wave barrier
	s_waitcnt lgkmcnt(0)
	s_and_saveexec_b64 s[8:9], s[4:5]
	s_cbranch_execz .LBB116_496
; %bb.487:
	s_andn2_b64 vcc, exec, s[10:11]
	s_cbranch_vccnz .LBB116_489
; %bb.488:
	buffer_load_dword v111, v109, s[0:3], 0 offen
	ds_read_b32 v112, v108
	s_waitcnt vmcnt(0) lgkmcnt(0)
	v_mul_f32_e32 v111, v111, v112
	s_cbranch_execz .LBB116_490
	s_branch .LBB116_491
.LBB116_489:
                                        ; implicit-def: $vgpr111
.LBB116_490:
	ds_read_b32 v111, v108
.LBB116_491:
	s_and_saveexec_b64 s[12:13], s[6:7]
	s_cbranch_execz .LBB116_495
; %bb.492:
	v_mov_b32_e32 v112, 0
	v_or_b32_e32 v112, 12, v112
	v_add_u32_e32 v113, -3, v0
	s_movk_i32 s14, 0xec
	s_mov_b64 s[6:7], 0
.LBB116_493:                            ; =>This Inner Loop Header: Depth=1
	buffer_load_dword v114, v112, s[0:3], 0 offen
	v_mov_b32_e32 v115, s14
	ds_read_b32 v115, v115
	v_add_u32_e32 v113, -1, v113
	s_add_i32 s14, s14, 4
	v_cmp_eq_u32_e32 vcc, 0, v113
	v_add_u32_e32 v112, 4, v112
	s_or_b64 s[6:7], vcc, s[6:7]
	s_waitcnt vmcnt(0) lgkmcnt(0)
	v_fmac_f32_e32 v111, v114, v115
	s_andn2_b64 exec, exec, s[6:7]
	s_cbranch_execnz .LBB116_493
; %bb.494:
	s_or_b64 exec, exec, s[6:7]
.LBB116_495:
	s_or_b64 exec, exec, s[12:13]
	v_mov_b32_e32 v112, 0
	ds_read_b32 v112, v112 offset:8
	s_waitcnt lgkmcnt(0)
	v_mul_f32_e32 v111, v111, v112
	buffer_store_dword v111, off, s[0:3], 0 offset:8
.LBB116_496:
	s_or_b64 exec, exec, s[8:9]
	buffer_load_dword v111, off, s[0:3], 0 offset:4
	v_cmp_lt_u32_e64 s[6:7], 1, v0
	s_waitcnt vmcnt(0)
	ds_write_b32 v108, v111
	s_waitcnt lgkmcnt(0)
	; wave barrier
	s_waitcnt lgkmcnt(0)
	s_and_saveexec_b64 s[8:9], s[6:7]
	s_cbranch_execz .LBB116_506
; %bb.497:
	s_andn2_b64 vcc, exec, s[10:11]
	s_cbranch_vccnz .LBB116_499
; %bb.498:
	buffer_load_dword v111, v109, s[0:3], 0 offen
	ds_read_b32 v112, v108
	s_waitcnt vmcnt(0) lgkmcnt(0)
	v_mul_f32_e32 v111, v111, v112
	s_cbranch_execz .LBB116_500
	s_branch .LBB116_501
.LBB116_499:
                                        ; implicit-def: $vgpr111
.LBB116_500:
	ds_read_b32 v111, v108
.LBB116_501:
	s_and_saveexec_b64 s[12:13], s[4:5]
	s_cbranch_execz .LBB116_505
; %bb.502:
	v_add_u32_e32 v112, -2, v0
	s_movk_i32 s14, 0xe8
	s_mov_b64 s[4:5], 0
.LBB116_503:                            ; =>This Inner Loop Header: Depth=1
	buffer_load_dword v113, v110, s[0:3], 0 offen
	v_mov_b32_e32 v114, s14
	ds_read_b32 v114, v114
	v_add_u32_e32 v112, -1, v112
	s_add_i32 s14, s14, 4
	v_cmp_eq_u32_e32 vcc, 0, v112
	v_add_u32_e32 v110, 4, v110
	s_or_b64 s[4:5], vcc, s[4:5]
	s_waitcnt vmcnt(0) lgkmcnt(0)
	v_fmac_f32_e32 v111, v113, v114
	s_andn2_b64 exec, exec, s[4:5]
	s_cbranch_execnz .LBB116_503
; %bb.504:
	s_or_b64 exec, exec, s[4:5]
.LBB116_505:
	s_or_b64 exec, exec, s[12:13]
	v_mov_b32_e32 v110, 0
	ds_read_b32 v110, v110 offset:4
	s_waitcnt lgkmcnt(0)
	v_mul_f32_e32 v110, v111, v110
	buffer_store_dword v110, off, s[0:3], 0 offset:4
.LBB116_506:
	s_or_b64 exec, exec, s[8:9]
	buffer_load_dword v110, off, s[0:3], 0
	v_cmp_ne_u32_e32 vcc, 0, v0
	s_waitcnt vmcnt(0)
	ds_write_b32 v108, v110
	s_waitcnt lgkmcnt(0)
	; wave barrier
	s_waitcnt lgkmcnt(0)
	s_and_saveexec_b64 s[4:5], vcc
	s_cbranch_execz .LBB116_516
; %bb.507:
	s_andn2_b64 vcc, exec, s[10:11]
	s_cbranch_vccnz .LBB116_509
; %bb.508:
	buffer_load_dword v110, v109, s[0:3], 0 offen
	ds_read_b32 v111, v108
	s_waitcnt vmcnt(0) lgkmcnt(0)
	v_mul_f32_e32 v110, v110, v111
	s_cbranch_execz .LBB116_510
	s_branch .LBB116_511
.LBB116_509:
                                        ; implicit-def: $vgpr110
.LBB116_510:
	ds_read_b32 v110, v108
.LBB116_511:
	s_and_saveexec_b64 s[8:9], s[6:7]
	s_cbranch_execz .LBB116_515
; %bb.512:
	v_mov_b32_e32 v111, 0
	v_or_b32_e32 v111, 4, v111
	v_add_u32_e32 v112, -1, v0
	s_movk_i32 s12, 0xe4
	s_mov_b64 s[6:7], 0
.LBB116_513:                            ; =>This Inner Loop Header: Depth=1
	buffer_load_dword v113, v111, s[0:3], 0 offen
	v_mov_b32_e32 v114, s12
	ds_read_b32 v114, v114
	v_add_u32_e32 v112, -1, v112
	s_add_i32 s12, s12, 4
	v_cmp_eq_u32_e32 vcc, 0, v112
	v_add_u32_e32 v111, 4, v111
	s_or_b64 s[6:7], vcc, s[6:7]
	s_waitcnt vmcnt(0) lgkmcnt(0)
	v_fmac_f32_e32 v110, v113, v114
	s_andn2_b64 exec, exec, s[6:7]
	s_cbranch_execnz .LBB116_513
; %bb.514:
	s_or_b64 exec, exec, s[6:7]
.LBB116_515:
	s_or_b64 exec, exec, s[8:9]
	v_mov_b32_e32 v111, 0
	ds_read_b32 v111, v111
	s_waitcnt lgkmcnt(0)
	v_mul_f32_e32 v110, v110, v111
	buffer_store_dword v110, off, s[0:3], 0
.LBB116_516:
	s_or_b64 exec, exec, s[4:5]
	s_mov_b64 s[4:5], 0
.LBB116_517:
	s_and_b64 vcc, exec, s[4:5]
	s_cbranch_vccz .LBB116_1031
; %bb.518:
	buffer_load_dword v110, off, s[0:3], 0 offset:4
	v_cmp_eq_u32_e64 s[6:7], 0, v0
	s_waitcnt vmcnt(0)
	ds_write_b32 v108, v110
	s_waitcnt lgkmcnt(0)
	; wave barrier
	s_waitcnt lgkmcnt(0)
	s_and_saveexec_b64 s[4:5], s[6:7]
	s_cbranch_execz .LBB116_524
; %bb.519:
	s_and_b64 vcc, exec, s[10:11]
	s_cbranch_vccz .LBB116_521
; %bb.520:
	buffer_load_dword v110, v109, s[0:3], 0 offen
	ds_read_b32 v111, v108
	s_waitcnt vmcnt(0) lgkmcnt(0)
	v_mul_f32_e32 v110, v110, v111
	s_cbranch_execz .LBB116_522
	s_branch .LBB116_523
.LBB116_521:
                                        ; implicit-def: $vgpr110
.LBB116_522:
	ds_read_b32 v110, v108
.LBB116_523:
	v_mov_b32_e32 v111, 0
	ds_read_b32 v111, v111 offset:4
	s_waitcnt lgkmcnt(0)
	v_mul_f32_e32 v110, v110, v111
	buffer_store_dword v110, off, s[0:3], 0 offset:4
.LBB116_524:
	s_or_b64 exec, exec, s[4:5]
	buffer_load_dword v110, off, s[0:3], 0 offset:8
	v_cndmask_b32_e64 v111, 0, 1, s[10:11]
	v_cmp_gt_u32_e32 vcc, 2, v0
	v_cmp_ne_u32_e64 s[4:5], 1, v111
	s_waitcnt vmcnt(0)
	ds_write_b32 v108, v110
	s_waitcnt lgkmcnt(0)
	; wave barrier
	s_waitcnt lgkmcnt(0)
	s_and_saveexec_b64 s[8:9], vcc
	s_cbranch_execz .LBB116_532
; %bb.525:
	s_and_b64 vcc, exec, s[4:5]
	s_cbranch_vccnz .LBB116_527
; %bb.526:
	buffer_load_dword v110, v109, s[0:3], 0 offen
	ds_read_b32 v111, v108
	s_waitcnt vmcnt(0) lgkmcnt(0)
	v_mul_f32_e32 v110, v110, v111
	s_cbranch_execz .LBB116_528
	s_branch .LBB116_529
.LBB116_527:
                                        ; implicit-def: $vgpr110
.LBB116_528:
	ds_read_b32 v110, v108
.LBB116_529:
	s_and_saveexec_b64 s[10:11], s[6:7]
	s_cbranch_execz .LBB116_531
; %bb.530:
	buffer_load_dword v111, v109, s[0:3], 0 offen offset:4
	ds_read_b32 v112, v108 offset:4
	s_waitcnt vmcnt(0) lgkmcnt(0)
	v_fmac_f32_e32 v110, v111, v112
.LBB116_531:
	s_or_b64 exec, exec, s[10:11]
	v_mov_b32_e32 v111, 0
	ds_read_b32 v111, v111 offset:8
	s_waitcnt lgkmcnt(0)
	v_mul_f32_e32 v110, v110, v111
	buffer_store_dword v110, off, s[0:3], 0 offset:8
.LBB116_532:
	s_or_b64 exec, exec, s[8:9]
	buffer_load_dword v110, off, s[0:3], 0 offset:12
	v_cmp_gt_u32_e32 vcc, 3, v0
	s_waitcnt vmcnt(0)
	ds_write_b32 v108, v110
	s_waitcnt lgkmcnt(0)
	; wave barrier
	s_waitcnt lgkmcnt(0)
	s_and_saveexec_b64 s[8:9], vcc
	s_cbranch_execz .LBB116_540
; %bb.533:
	s_and_b64 vcc, exec, s[4:5]
	s_cbranch_vccnz .LBB116_535
; %bb.534:
	buffer_load_dword v110, v109, s[0:3], 0 offen
	ds_read_b32 v111, v108
	s_waitcnt vmcnt(0) lgkmcnt(0)
	v_mul_f32_e32 v110, v110, v111
	s_cbranch_execz .LBB116_536
	s_branch .LBB116_537
.LBB116_535:
                                        ; implicit-def: $vgpr110
.LBB116_536:
	ds_read_b32 v110, v108
.LBB116_537:
	v_cmp_ne_u32_e32 vcc, 2, v0
	s_and_saveexec_b64 s[10:11], vcc
	s_cbranch_execz .LBB116_539
; %bb.538:
	buffer_load_dword v111, v109, s[0:3], 0 offen offset:4
	buffer_load_dword v112, off, s[0:3], 0 offset:8
	v_mov_b32_e32 v113, 0
	ds_read_b32 v114, v108 offset:4
	ds_read_b32 v113, v113 offset:232
	s_waitcnt vmcnt(1) lgkmcnt(1)
	v_fmac_f32_e32 v110, v111, v114
	s_waitcnt vmcnt(0) lgkmcnt(0)
	v_fma_f32 v111, v112, v113, v110
	v_cndmask_b32_e64 v110, v110, v111, s[6:7]
.LBB116_539:
	s_or_b64 exec, exec, s[10:11]
	v_mov_b32_e32 v111, 0
	ds_read_b32 v111, v111 offset:12
	s_waitcnt lgkmcnt(0)
	v_mul_f32_e32 v110, v110, v111
	buffer_store_dword v110, off, s[0:3], 0 offset:12
.LBB116_540:
	s_or_b64 exec, exec, s[8:9]
	buffer_load_dword v110, off, s[0:3], 0 offset:16
	v_cmp_gt_u32_e32 vcc, 4, v0
	s_waitcnt vmcnt(0)
	ds_write_b32 v108, v110
	s_waitcnt lgkmcnt(0)
	; wave barrier
	s_waitcnt lgkmcnt(0)
	s_and_saveexec_b64 s[6:7], vcc
	s_cbranch_execz .LBB116_550
; %bb.541:
	s_and_b64 vcc, exec, s[4:5]
	s_cbranch_vccnz .LBB116_543
; %bb.542:
	buffer_load_dword v110, v109, s[0:3], 0 offen
	ds_read_b32 v111, v108
	s_waitcnt vmcnt(0) lgkmcnt(0)
	v_mul_f32_e32 v110, v110, v111
	s_cbranch_execz .LBB116_544
	s_branch .LBB116_545
.LBB116_543:
                                        ; implicit-def: $vgpr110
.LBB116_544:
	ds_read_b32 v110, v108
.LBB116_545:
	v_cmp_ne_u32_e32 vcc, 3, v0
	s_and_saveexec_b64 s[8:9], vcc
	s_cbranch_execz .LBB116_549
; %bb.546:
	v_mov_b32_e32 v112, 0
	v_add_u32_e32 v111, 0xe4, v1
	v_add3_u32 v112, v1, v112, 4
	s_mov_b64 s[10:11], 0
	v_mov_b32_e32 v113, v0
.LBB116_547:                            ; =>This Inner Loop Header: Depth=1
	buffer_load_dword v114, v112, s[0:3], 0 offen
	ds_read_b32 v115, v111
	v_add_u32_e32 v113, 1, v113
	v_cmp_lt_u32_e32 vcc, 2, v113
	v_add_u32_e32 v111, 4, v111
	v_add_u32_e32 v112, 4, v112
	s_or_b64 s[10:11], vcc, s[10:11]
	s_waitcnt vmcnt(0) lgkmcnt(0)
	v_fmac_f32_e32 v110, v114, v115
	s_andn2_b64 exec, exec, s[10:11]
	s_cbranch_execnz .LBB116_547
; %bb.548:
	s_or_b64 exec, exec, s[10:11]
.LBB116_549:
	s_or_b64 exec, exec, s[8:9]
	v_mov_b32_e32 v111, 0
	ds_read_b32 v111, v111 offset:16
	s_waitcnt lgkmcnt(0)
	v_mul_f32_e32 v110, v110, v111
	buffer_store_dword v110, off, s[0:3], 0 offset:16
.LBB116_550:
	s_or_b64 exec, exec, s[6:7]
	buffer_load_dword v110, off, s[0:3], 0 offset:20
	v_cmp_gt_u32_e32 vcc, 5, v0
	s_waitcnt vmcnt(0)
	ds_write_b32 v108, v110
	s_waitcnt lgkmcnt(0)
	; wave barrier
	s_waitcnt lgkmcnt(0)
	s_and_saveexec_b64 s[6:7], vcc
	s_cbranch_execz .LBB116_560
; %bb.551:
	s_and_b64 vcc, exec, s[4:5]
	s_cbranch_vccnz .LBB116_553
; %bb.552:
	buffer_load_dword v110, v109, s[0:3], 0 offen
	ds_read_b32 v111, v108
	s_waitcnt vmcnt(0) lgkmcnt(0)
	v_mul_f32_e32 v110, v110, v111
	s_cbranch_execz .LBB116_554
	s_branch .LBB116_555
.LBB116_553:
                                        ; implicit-def: $vgpr110
.LBB116_554:
	ds_read_b32 v110, v108
.LBB116_555:
	v_cmp_ne_u32_e32 vcc, 4, v0
	s_and_saveexec_b64 s[8:9], vcc
	s_cbranch_execz .LBB116_559
; %bb.556:
	v_mov_b32_e32 v112, 0
	v_add_u32_e32 v111, 0xe4, v1
	v_add3_u32 v112, v1, v112, 4
	s_mov_b64 s[10:11], 0
	v_mov_b32_e32 v113, v0
.LBB116_557:                            ; =>This Inner Loop Header: Depth=1
	buffer_load_dword v114, v112, s[0:3], 0 offen
	ds_read_b32 v115, v111
	v_add_u32_e32 v113, 1, v113
	v_cmp_lt_u32_e32 vcc, 3, v113
	v_add_u32_e32 v111, 4, v111
	v_add_u32_e32 v112, 4, v112
	s_or_b64 s[10:11], vcc, s[10:11]
	s_waitcnt vmcnt(0) lgkmcnt(0)
	v_fmac_f32_e32 v110, v114, v115
	s_andn2_b64 exec, exec, s[10:11]
	s_cbranch_execnz .LBB116_557
; %bb.558:
	s_or_b64 exec, exec, s[10:11]
.LBB116_559:
	s_or_b64 exec, exec, s[8:9]
	v_mov_b32_e32 v111, 0
	ds_read_b32 v111, v111 offset:20
	s_waitcnt lgkmcnt(0)
	v_mul_f32_e32 v110, v110, v111
	buffer_store_dword v110, off, s[0:3], 0 offset:20
.LBB116_560:
	;; [unrolled: 56-line block ×46, first 2 shown]
	s_or_b64 exec, exec, s[6:7]
	buffer_load_dword v110, off, s[0:3], 0 offset:200
	v_cmp_gt_u32_e32 vcc, 50, v0
	s_waitcnt vmcnt(0)
	ds_write_b32 v108, v110
	s_waitcnt lgkmcnt(0)
	; wave barrier
	s_waitcnt lgkmcnt(0)
	s_and_saveexec_b64 s[6:7], vcc
	s_cbranch_execz .LBB116_1010
; %bb.1001:
	s_and_b64 vcc, exec, s[4:5]
	s_cbranch_vccnz .LBB116_1003
; %bb.1002:
	buffer_load_dword v110, v109, s[0:3], 0 offen
	ds_read_b32 v111, v108
	s_waitcnt vmcnt(0) lgkmcnt(0)
	v_mul_f32_e32 v110, v110, v111
	s_cbranch_execz .LBB116_1004
	s_branch .LBB116_1005
.LBB116_1003:
                                        ; implicit-def: $vgpr110
.LBB116_1004:
	ds_read_b32 v110, v108
.LBB116_1005:
	v_cmp_ne_u32_e32 vcc, 49, v0
	s_and_saveexec_b64 s[8:9], vcc
	s_cbranch_execz .LBB116_1009
; %bb.1006:
	v_mov_b32_e32 v112, 0
	v_add_u32_e32 v111, 0xe4, v1
	v_add3_u32 v112, v1, v112, 4
	s_mov_b64 s[10:11], 0
	v_mov_b32_e32 v113, v0
.LBB116_1007:                           ; =>This Inner Loop Header: Depth=1
	buffer_load_dword v114, v112, s[0:3], 0 offen
	ds_read_b32 v115, v111
	v_add_u32_e32 v113, 1, v113
	v_cmp_lt_u32_e32 vcc, 48, v113
	v_add_u32_e32 v111, 4, v111
	v_add_u32_e32 v112, 4, v112
	s_or_b64 s[10:11], vcc, s[10:11]
	s_waitcnt vmcnt(0) lgkmcnt(0)
	v_fmac_f32_e32 v110, v114, v115
	s_andn2_b64 exec, exec, s[10:11]
	s_cbranch_execnz .LBB116_1007
; %bb.1008:
	s_or_b64 exec, exec, s[10:11]
.LBB116_1009:
	s_or_b64 exec, exec, s[8:9]
	v_mov_b32_e32 v111, 0
	ds_read_b32 v111, v111 offset:200
	s_waitcnt lgkmcnt(0)
	v_mul_f32_e32 v110, v110, v111
	buffer_store_dword v110, off, s[0:3], 0 offset:200
.LBB116_1010:
	s_or_b64 exec, exec, s[6:7]
	buffer_load_dword v110, off, s[0:3], 0 offset:204
	v_cmp_gt_u32_e64 s[6:7], 51, v0
	s_waitcnt vmcnt(0)
	ds_write_b32 v108, v110
	s_waitcnt lgkmcnt(0)
	; wave barrier
	s_waitcnt lgkmcnt(0)
	s_and_saveexec_b64 s[8:9], s[6:7]
	s_cbranch_execz .LBB116_1020
; %bb.1011:
	s_and_b64 vcc, exec, s[4:5]
	s_cbranch_vccnz .LBB116_1013
; %bb.1012:
	buffer_load_dword v110, v109, s[0:3], 0 offen
	ds_read_b32 v111, v108
	s_waitcnt vmcnt(0) lgkmcnt(0)
	v_mul_f32_e32 v110, v110, v111
	s_cbranch_execz .LBB116_1014
	s_branch .LBB116_1015
.LBB116_1013:
                                        ; implicit-def: $vgpr110
.LBB116_1014:
	ds_read_b32 v110, v108
.LBB116_1015:
	v_cmp_ne_u32_e32 vcc, 50, v0
	s_and_saveexec_b64 s[10:11], vcc
	s_cbranch_execz .LBB116_1019
; %bb.1016:
	v_mov_b32_e32 v112, 0
	v_add_u32_e32 v111, 0xe4, v1
	v_add3_u32 v112, v1, v112, 4
	s_mov_b64 s[12:13], 0
	v_mov_b32_e32 v113, v0
.LBB116_1017:                           ; =>This Inner Loop Header: Depth=1
	buffer_load_dword v114, v112, s[0:3], 0 offen
	ds_read_b32 v115, v111
	v_add_u32_e32 v113, 1, v113
	v_cmp_lt_u32_e32 vcc, 49, v113
	v_add_u32_e32 v111, 4, v111
	v_add_u32_e32 v112, 4, v112
	s_or_b64 s[12:13], vcc, s[12:13]
	s_waitcnt vmcnt(0) lgkmcnt(0)
	v_fmac_f32_e32 v110, v114, v115
	s_andn2_b64 exec, exec, s[12:13]
	s_cbranch_execnz .LBB116_1017
; %bb.1018:
	s_or_b64 exec, exec, s[12:13]
.LBB116_1019:
	s_or_b64 exec, exec, s[10:11]
	v_mov_b32_e32 v111, 0
	ds_read_b32 v111, v111 offset:204
	s_waitcnt lgkmcnt(0)
	v_mul_f32_e32 v110, v110, v111
	buffer_store_dword v110, off, s[0:3], 0 offset:204
.LBB116_1020:
	s_or_b64 exec, exec, s[8:9]
	buffer_load_dword v110, off, s[0:3], 0 offset:208
	v_cmp_ne_u32_e32 vcc, 52, v0
	s_waitcnt vmcnt(0)
	ds_write_b32 v108, v110
	s_waitcnt lgkmcnt(0)
	; wave barrier
	s_waitcnt lgkmcnt(0)
	s_and_saveexec_b64 s[8:9], vcc
	s_cbranch_execz .LBB116_1030
; %bb.1021:
	s_and_b64 vcc, exec, s[4:5]
	s_cbranch_vccnz .LBB116_1023
; %bb.1022:
	buffer_load_dword v109, v109, s[0:3], 0 offen
	ds_read_b32 v110, v108
	s_waitcnt vmcnt(0) lgkmcnt(0)
	v_mul_f32_e32 v109, v109, v110
	s_cbranch_execz .LBB116_1024
	s_branch .LBB116_1025
.LBB116_1023:
                                        ; implicit-def: $vgpr109
.LBB116_1024:
	ds_read_b32 v109, v108
.LBB116_1025:
	s_and_saveexec_b64 s[4:5], s[6:7]
	s_cbranch_execz .LBB116_1029
; %bb.1026:
	v_mov_b32_e32 v110, 0
	v_add_u32_e32 v108, 0xe4, v1
	v_add3_u32 v1, v1, v110, 4
	s_mov_b64 s[6:7], 0
.LBB116_1027:                           ; =>This Inner Loop Header: Depth=1
	buffer_load_dword v110, v1, s[0:3], 0 offen
	ds_read_b32 v111, v108
	v_add_u32_e32 v0, 1, v0
	v_cmp_lt_u32_e32 vcc, 50, v0
	v_add_u32_e32 v108, 4, v108
	v_add_u32_e32 v1, 4, v1
	s_or_b64 s[6:7], vcc, s[6:7]
	s_waitcnt vmcnt(0) lgkmcnt(0)
	v_fmac_f32_e32 v109, v110, v111
	s_andn2_b64 exec, exec, s[6:7]
	s_cbranch_execnz .LBB116_1027
; %bb.1028:
	s_or_b64 exec, exec, s[6:7]
.LBB116_1029:
	s_or_b64 exec, exec, s[4:5]
	v_mov_b32_e32 v0, 0
	ds_read_b32 v0, v0 offset:208
	s_waitcnt lgkmcnt(0)
	v_mul_f32_e32 v0, v109, v0
	buffer_store_dword v0, off, s[0:3], 0 offset:208
.LBB116_1030:
	s_or_b64 exec, exec, s[8:9]
.LBB116_1031:
	buffer_load_dword v0, off, s[0:3], 0
	buffer_load_dword v1, off, s[0:3], 0 offset:4
	buffer_load_dword v108, off, s[0:3], 0 offset:8
	;; [unrolled: 1-line block ×52, first 2 shown]
	s_waitcnt vmcnt(52)
	global_store_dword v[102:103], v0, off
	s_waitcnt vmcnt(52)
	global_store_dword v[104:105], v1, off
	s_waitcnt vmcnt(52)
	global_store_dword v[2:3], v108, off
	s_waitcnt vmcnt(52)
	global_store_dword v[4:5], v109, off
	s_waitcnt vmcnt(52)
	global_store_dword v[6:7], v110, off
	s_waitcnt vmcnt(52)
	global_store_dword v[8:9], v111, off
	s_waitcnt vmcnt(52)
	global_store_dword v[10:11], v112, off
	s_waitcnt vmcnt(52)
	global_store_dword v[12:13], v113, off
	s_waitcnt vmcnt(52)
	global_store_dword v[14:15], v114, off
	s_waitcnt vmcnt(52)
	global_store_dword v[16:17], v115, off
	s_waitcnt vmcnt(52)
	global_store_dword v[18:19], v116, off
	s_waitcnt vmcnt(52)
	global_store_dword v[20:21], v117, off
	s_waitcnt vmcnt(52)
	global_store_dword v[22:23], v118, off
	s_waitcnt vmcnt(52)
	global_store_dword v[24:25], v119, off
	s_waitcnt vmcnt(52)
	global_store_dword v[26:27], v120, off
	s_waitcnt vmcnt(52)
	global_store_dword v[28:29], v121, off
	s_waitcnt vmcnt(52)
	global_store_dword v[30:31], v122, off
	s_waitcnt vmcnt(52)
	global_store_dword v[32:33], v123, off
	s_waitcnt vmcnt(52)
	global_store_dword v[34:35], v124, off
	s_waitcnt vmcnt(52)
	global_store_dword v[36:37], v125, off
	s_waitcnt vmcnt(52)
	global_store_dword v[38:39], v126, off
	s_waitcnt vmcnt(52)
	global_store_dword v[40:41], v127, off
	s_waitcnt vmcnt(52)
	global_store_dword v[42:43], v128, off
	s_waitcnt vmcnt(52)
	global_store_dword v[44:45], v129, off
	s_waitcnt vmcnt(52)
	global_store_dword v[46:47], v130, off
	s_waitcnt vmcnt(52)
	global_store_dword v[48:49], v131, off
	s_waitcnt vmcnt(52)
	global_store_dword v[50:51], v132, off
	s_waitcnt vmcnt(52)
	global_store_dword v[52:53], v133, off
	s_waitcnt vmcnt(52)
	global_store_dword v[54:55], v134, off
	s_waitcnt vmcnt(52)
	global_store_dword v[56:57], v135, off
	s_waitcnt vmcnt(52)
	global_store_dword v[58:59], v136, off
	s_waitcnt vmcnt(52)
	global_store_dword v[60:61], v137, off
	s_waitcnt vmcnt(52)
	global_store_dword v[62:63], v138, off
	s_waitcnt vmcnt(52)
	global_store_dword v[64:65], v139, off
	s_waitcnt vmcnt(52)
	global_store_dword v[66:67], v140, off
	s_waitcnt vmcnt(52)
	global_store_dword v[68:69], v141, off
	s_waitcnt vmcnt(52)
	global_store_dword v[70:71], v142, off
	s_waitcnt vmcnt(52)
	global_store_dword v[72:73], v143, off
	s_waitcnt vmcnt(52)
	global_store_dword v[74:75], v144, off
	s_waitcnt vmcnt(52)
	global_store_dword v[76:77], v145, off
	s_waitcnt vmcnt(52)
	global_store_dword v[78:79], v146, off
	s_waitcnt vmcnt(52)
	global_store_dword v[80:81], v147, off
	s_waitcnt vmcnt(52)
	global_store_dword v[82:83], v148, off
	s_waitcnt vmcnt(52)
	global_store_dword v[84:85], v149, off
	s_waitcnt vmcnt(52)
	global_store_dword v[86:87], v150, off
	s_waitcnt vmcnt(52)
	global_store_dword v[88:89], v151, off
	s_waitcnt vmcnt(52)
	global_store_dword v[90:91], v152, off
	s_waitcnt vmcnt(52)
	global_store_dword v[92:93], v153, off
	s_waitcnt vmcnt(52)
	global_store_dword v[94:95], v154, off
	s_waitcnt vmcnt(52)
	global_store_dword v[96:97], v155, off
	s_waitcnt vmcnt(52)
	global_store_dword v[98:99], v156, off
	s_waitcnt vmcnt(52)
	global_store_dword v[100:101], v157, off
	s_waitcnt vmcnt(52)
	global_store_dword v[106:107], v158, off
.LBB116_1032:
	s_endpgm
	.section	.rodata,"a",@progbits
	.p2align	6, 0x0
	.amdhsa_kernel _ZN9rocsolver6v33100L18trti2_kernel_smallILi53EfPKPfEEv13rocblas_fill_17rocblas_diagonal_T1_iil
		.amdhsa_group_segment_fixed_size 436
		.amdhsa_private_segment_fixed_size 224
		.amdhsa_kernarg_size 32
		.amdhsa_user_sgpr_count 8
		.amdhsa_user_sgpr_private_segment_buffer 1
		.amdhsa_user_sgpr_dispatch_ptr 0
		.amdhsa_user_sgpr_queue_ptr 0
		.amdhsa_user_sgpr_kernarg_segment_ptr 1
		.amdhsa_user_sgpr_dispatch_id 0
		.amdhsa_user_sgpr_flat_scratch_init 1
		.amdhsa_user_sgpr_kernarg_preload_length 0
		.amdhsa_user_sgpr_kernarg_preload_offset 0
		.amdhsa_user_sgpr_private_segment_size 0
		.amdhsa_uses_dynamic_stack 0
		.amdhsa_system_sgpr_private_segment_wavefront_offset 1
		.amdhsa_system_sgpr_workgroup_id_x 1
		.amdhsa_system_sgpr_workgroup_id_y 0
		.amdhsa_system_sgpr_workgroup_id_z 0
		.amdhsa_system_sgpr_workgroup_info 0
		.amdhsa_system_vgpr_workitem_id 0
		.amdhsa_next_free_vgpr 161
		.amdhsa_next_free_sgpr 16
		.amdhsa_accum_offset 164
		.amdhsa_reserve_vcc 1
		.amdhsa_reserve_flat_scratch 0
		.amdhsa_float_round_mode_32 0
		.amdhsa_float_round_mode_16_64 0
		.amdhsa_float_denorm_mode_32 3
		.amdhsa_float_denorm_mode_16_64 3
		.amdhsa_dx10_clamp 1
		.amdhsa_ieee_mode 1
		.amdhsa_fp16_overflow 0
		.amdhsa_tg_split 0
		.amdhsa_exception_fp_ieee_invalid_op 0
		.amdhsa_exception_fp_denorm_src 0
		.amdhsa_exception_fp_ieee_div_zero 0
		.amdhsa_exception_fp_ieee_overflow 0
		.amdhsa_exception_fp_ieee_underflow 0
		.amdhsa_exception_fp_ieee_inexact 0
		.amdhsa_exception_int_div_zero 0
	.end_amdhsa_kernel
	.section	.text._ZN9rocsolver6v33100L18trti2_kernel_smallILi53EfPKPfEEv13rocblas_fill_17rocblas_diagonal_T1_iil,"axG",@progbits,_ZN9rocsolver6v33100L18trti2_kernel_smallILi53EfPKPfEEv13rocblas_fill_17rocblas_diagonal_T1_iil,comdat
.Lfunc_end116:
	.size	_ZN9rocsolver6v33100L18trti2_kernel_smallILi53EfPKPfEEv13rocblas_fill_17rocblas_diagonal_T1_iil, .Lfunc_end116-_ZN9rocsolver6v33100L18trti2_kernel_smallILi53EfPKPfEEv13rocblas_fill_17rocblas_diagonal_T1_iil
                                        ; -- End function
	.section	.AMDGPU.csdata,"",@progbits
; Kernel info:
; codeLenInByte = 25948
; NumSgprs: 20
; NumVgprs: 161
; NumAgprs: 0
; TotalNumVgprs: 161
; ScratchSize: 224
; MemoryBound: 0
; FloatMode: 240
; IeeeMode: 1
; LDSByteSize: 436 bytes/workgroup (compile time only)
; SGPRBlocks: 2
; VGPRBlocks: 20
; NumSGPRsForWavesPerEU: 20
; NumVGPRsForWavesPerEU: 161
; AccumOffset: 164
; Occupancy: 3
; WaveLimiterHint : 1
; COMPUTE_PGM_RSRC2:SCRATCH_EN: 1
; COMPUTE_PGM_RSRC2:USER_SGPR: 8
; COMPUTE_PGM_RSRC2:TRAP_HANDLER: 0
; COMPUTE_PGM_RSRC2:TGID_X_EN: 1
; COMPUTE_PGM_RSRC2:TGID_Y_EN: 0
; COMPUTE_PGM_RSRC2:TGID_Z_EN: 0
; COMPUTE_PGM_RSRC2:TIDIG_COMP_CNT: 0
; COMPUTE_PGM_RSRC3_GFX90A:ACCUM_OFFSET: 40
; COMPUTE_PGM_RSRC3_GFX90A:TG_SPLIT: 0
	.section	.text._ZN9rocsolver6v33100L18trti2_kernel_smallILi54EfPKPfEEv13rocblas_fill_17rocblas_diagonal_T1_iil,"axG",@progbits,_ZN9rocsolver6v33100L18trti2_kernel_smallILi54EfPKPfEEv13rocblas_fill_17rocblas_diagonal_T1_iil,comdat
	.globl	_ZN9rocsolver6v33100L18trti2_kernel_smallILi54EfPKPfEEv13rocblas_fill_17rocblas_diagonal_T1_iil ; -- Begin function _ZN9rocsolver6v33100L18trti2_kernel_smallILi54EfPKPfEEv13rocblas_fill_17rocblas_diagonal_T1_iil
	.p2align	8
	.type	_ZN9rocsolver6v33100L18trti2_kernel_smallILi54EfPKPfEEv13rocblas_fill_17rocblas_diagonal_T1_iil,@function
_ZN9rocsolver6v33100L18trti2_kernel_smallILi54EfPKPfEEv13rocblas_fill_17rocblas_diagonal_T1_iil: ; @_ZN9rocsolver6v33100L18trti2_kernel_smallILi54EfPKPfEEv13rocblas_fill_17rocblas_diagonal_T1_iil
; %bb.0:
	s_add_u32 s0, s0, s9
	s_addc_u32 s1, s1, 0
	v_cmp_gt_u32_e32 vcc, 54, v0
	s_and_saveexec_b64 s[6:7], vcc
	s_cbranch_execz .LBB117_1052
; %bb.1:
	s_load_dwordx2 s[6:7], s[4:5], 0x10
	s_load_dwordx4 s[12:15], s[4:5], 0x0
	s_ashr_i32 s9, s8, 31
	s_lshl_b64 s[4:5], s[8:9], 3
	s_waitcnt lgkmcnt(0)
	s_ashr_i32 s9, s6, 31
	s_add_u32 s4, s14, s4
	s_addc_u32 s5, s15, s5
	s_load_dwordx2 s[4:5], s[4:5], 0x0
	s_mov_b32 s8, s6
	s_lshl_b64 s[8:9], s[8:9], 2
	s_waitcnt lgkmcnt(0)
	s_add_u32 s4, s4, s8
	s_addc_u32 s5, s5, s9
	s_add_i32 s6, s7, s7
	v_add_u32_e32 v4, s6, v0
	v_ashrrev_i32_e32 v5, 31, v4
	v_lshlrev_b64 v[2:3], 2, v[4:5]
	v_add_u32_e32 v6, s7, v4
	v_mov_b32_e32 v1, s5
	v_add_co_u32_e32 v2, vcc, s4, v2
	v_ashrrev_i32_e32 v7, 31, v6
	v_addc_co_u32_e32 v3, vcc, v1, v3, vcc
	v_lshlrev_b64 v[4:5], 2, v[6:7]
	v_add_u32_e32 v8, s7, v6
	v_add_co_u32_e32 v4, vcc, s4, v4
	v_ashrrev_i32_e32 v9, 31, v8
	v_addc_co_u32_e32 v5, vcc, v1, v5, vcc
	v_lshlrev_b64 v[6:7], 2, v[8:9]
	v_add_u32_e32 v10, s7, v8
	;; [unrolled: 5-line block ×49, first 2 shown]
	v_add_co_u32_e32 v100, vcc, s4, v100
	v_ashrrev_i32_e32 v105, 31, v104
	v_addc_co_u32_e32 v101, vcc, v1, v101, vcc
	v_lshlrev_b64 v[102:103], 2, v[104:105]
	v_add_co_u32_e32 v102, vcc, s4, v102
	v_add_u32_e32 v104, s7, v104
	v_addc_co_u32_e32 v103, vcc, v1, v103, vcc
	v_ashrrev_i32_e32 v105, 31, v104
	v_lshlrev_b32_e32 v1, 2, v0
	v_lshlrev_b64 v[108:109], 2, v[104:105]
	v_mov_b32_e32 v105, s5
	v_add_co_u32_e32 v104, vcc, s4, v1
	s_ashr_i32 s9, s7, 31
	s_mov_b32 s8, s7
	v_addc_co_u32_e32 v105, vcc, 0, v105, vcc
	s_lshl_b64 s[6:7], s[8:9], 2
	v_mov_b32_e32 v107, s7
	v_add_co_u32_e32 v106, vcc, s6, v104
	v_addc_co_u32_e32 v107, vcc, v105, v107, vcc
	v_mov_b32_e32 v110, s5
	v_add_co_u32_e32 v108, vcc, s4, v108
	global_load_dword v111, v1, s[4:5]
	global_load_dword v112, v[106:107], off
	global_load_dword v113, v[2:3], off
	;; [unrolled: 1-line block ×14, first 2 shown]
                                        ; kill: killed $sgpr5
	global_load_dword v126, v[20:21], off
	global_load_dword v127, v[18:19], off
	;; [unrolled: 1-line block ×34, first 2 shown]
	v_addc_co_u32_e32 v109, vcc, v110, v109, vcc
	global_load_dword v110, v[96:97], off
	global_load_dword v160, v[102:103], off
	;; [unrolled: 1-line block ×5, first 2 shown]
	s_cmpk_lg_i32 s13, 0x84
	s_waitcnt vmcnt(53)
	buffer_store_dword v111, off, s[0:3], 0
	s_waitcnt vmcnt(53)
	buffer_store_dword v112, off, s[0:3], 0 offset:4
	s_waitcnt vmcnt(53)
	buffer_store_dword v113, off, s[0:3], 0 offset:8
	;; [unrolled: 2-line block ×11, first 2 shown]
	buffer_store_dword v121, off, s[0:3], 0 offset:48
	buffer_store_dword v122, off, s[0:3], 0 offset:52
	;; [unrolled: 1-line block ×5, first 2 shown]
	s_waitcnt vmcnt(53)
	buffer_store_dword v128, off, s[0:3], 0 offset:68
	s_waitcnt vmcnt(53)
	buffer_store_dword v129, off, s[0:3], 0 offset:72
	;; [unrolled: 2-line block ×5, first 2 shown]
	buffer_store_dword v132, off, s[0:3], 0 offset:92
	buffer_store_dword v133, off, s[0:3], 0 offset:88
	s_waitcnt vmcnt(52)
	buffer_store_dword v136, off, s[0:3], 0 offset:100
	buffer_store_dword v131, off, s[0:3], 0 offset:96
	s_waitcnt vmcnt(48)
	buffer_store_dword v142, off, s[0:3], 0 offset:108
	s_waitcnt vmcnt(48)
	buffer_store_dword v143, off, s[0:3], 0 offset:104
	buffer_store_dword v140, off, s[0:3], 0 offset:116
	buffer_store_dword v141, off, s[0:3], 0 offset:112
	buffer_store_dword v138, off, s[0:3], 0 offset:124
	buffer_store_dword v139, off, s[0:3], 0 offset:120
	s_waitcnt vmcnt(52)
	buffer_store_dword v144, off, s[0:3], 0 offset:132
	buffer_store_dword v137, off, s[0:3], 0 offset:128
	s_waitcnt vmcnt(48)
	buffer_store_dword v150, off, s[0:3], 0 offset:140
	s_waitcnt vmcnt(48)
	buffer_store_dword v151, off, s[0:3], 0 offset:136
	buffer_store_dword v148, off, s[0:3], 0 offset:148
	buffer_store_dword v149, off, s[0:3], 0 offset:144
	buffer_store_dword v146, off, s[0:3], 0 offset:156
	buffer_store_dword v147, off, s[0:3], 0 offset:152
	s_waitcnt vmcnt(52)
	buffer_store_dword v152, off, s[0:3], 0 offset:164
	buffer_store_dword v145, off, s[0:3], 0 offset:160
	s_waitcnt vmcnt(48)
	buffer_store_dword v158, off, s[0:3], 0 offset:172
	s_waitcnt vmcnt(48)
	buffer_store_dword v159, off, s[0:3], 0 offset:168
	buffer_store_dword v156, off, s[0:3], 0 offset:180
	buffer_store_dword v157, off, s[0:3], 0 offset:176
	buffer_store_dword v154, off, s[0:3], 0 offset:188
	buffer_store_dword v155, off, s[0:3], 0 offset:184
	s_waitcnt vmcnt(52)
	buffer_store_dword v110, off, s[0:3], 0 offset:196
	buffer_store_dword v153, off, s[0:3], 0 offset:192
	s_waitcnt vmcnt(52)
	buffer_store_dword v161, off, s[0:3], 0 offset:204
	s_waitcnt vmcnt(52)
	;; [unrolled: 2-line block ×3, first 2 shown]
	buffer_store_dword v163, off, s[0:3], 0 offset:212
	buffer_store_dword v160, off, s[0:3], 0 offset:208
	s_cselect_b64 s[8:9], -1, 0
	s_cmpk_eq_i32 s13, 0x84
	v_mov_b32_e32 v136, 0
	v_mov_b32_e32 v110, -1.0
	s_cbranch_scc1 .LBB117_3
; %bb.2:
	v_lshl_add_u32 v110, v0, 2, v136
	buffer_load_dword v111, v110, s[0:3], 0 offen
	s_waitcnt vmcnt(0)
	v_div_scale_f32 v112, s[4:5], v111, v111, 1.0
	v_rcp_f32_e32 v113, v112
	v_div_scale_f32 v114, vcc, 1.0, v111, 1.0
	v_fma_f32 v115, -v112, v113, 1.0
	v_fmac_f32_e32 v113, v115, v113
	v_mul_f32_e32 v115, v114, v113
	v_fma_f32 v116, -v112, v115, v114
	v_fmac_f32_e32 v115, v116, v113
	v_fma_f32 v112, -v112, v115, v114
	v_div_fmas_f32 v112, v112, v113, v115
	v_div_fixup_f32 v111, v112, v111, 1.0
	buffer_store_dword v111, v110, s[0:3], 0 offen
	v_xor_b32_e32 v110, 0x80000000, v111
.LBB117_3:
	ds_write_b32 v1, v110
	s_cmpk_eq_i32 s12, 0x79
	v_add_u32_e32 v110, 0xe0, v1
	v_add_u32_e32 v111, 0, v1
	s_mov_b64 s[4:5], -1
	s_cbranch_scc1 .LBB117_527
; %bb.4:
	buffer_load_dword v112, off, s[0:3], 0 offset:208
	v_cmp_eq_u32_e64 s[4:5], 53, v0
	s_waitcnt vmcnt(0)
	ds_write_b32 v110, v112
	s_waitcnt lgkmcnt(0)
	; wave barrier
	s_waitcnt lgkmcnt(0)
	s_and_saveexec_b64 s[6:7], s[4:5]
	s_cbranch_execz .LBB117_10
; %bb.5:
	s_and_b64 vcc, exec, s[8:9]
	s_cbranch_vccz .LBB117_7
; %bb.6:
	buffer_load_dword v112, v111, s[0:3], 0 offen
	ds_read_b32 v113, v110
	s_waitcnt vmcnt(0) lgkmcnt(0)
	v_mul_f32_e32 v112, v112, v113
	s_cbranch_execz .LBB117_8
	s_branch .LBB117_9
.LBB117_7:
                                        ; implicit-def: $vgpr112
.LBB117_8:
	ds_read_b32 v112, v110
.LBB117_9:
	v_mov_b32_e32 v113, 0
	ds_read_b32 v113, v113 offset:208
	s_waitcnt lgkmcnt(0)
	v_mul_f32_e32 v112, v112, v113
	buffer_store_dword v112, off, s[0:3], 0 offset:208
.LBB117_10:
	s_or_b64 exec, exec, s[6:7]
	buffer_load_dword v137, off, s[0:3], 0 offset:204
	v_or_b32_e32 v112, 8, v136
	v_add_u32_e32 v113, 16, v136
	v_add_u32_e32 v114, 24, v136
	;; [unrolled: 1-line block ×24, first 2 shown]
	v_cmp_lt_u32_e64 s[6:7], 51, v0
	s_waitcnt vmcnt(0)
	ds_write_b32 v110, v137
	s_waitcnt lgkmcnt(0)
	; wave barrier
	s_waitcnt lgkmcnt(0)
	s_and_saveexec_b64 s[10:11], s[6:7]
	s_cbranch_execz .LBB117_16
; %bb.11:
	s_andn2_b64 vcc, exec, s[8:9]
	s_cbranch_vccnz .LBB117_13
; %bb.12:
	buffer_load_dword v137, v111, s[0:3], 0 offen
	ds_read_b32 v138, v110
	s_waitcnt vmcnt(0) lgkmcnt(0)
	v_mul_f32_e32 v137, v137, v138
	s_cbranch_execz .LBB117_14
	s_branch .LBB117_15
.LBB117_13:
                                        ; implicit-def: $vgpr137
.LBB117_14:
	ds_read_b32 v137, v110
.LBB117_15:
	buffer_load_dword v140, off, s[0:3], 0 offset:208
	v_mov_b32_e32 v138, 0
	ds_read2_b32 v[138:139], v138 offset0:51 offset1:108
	s_waitcnt vmcnt(0) lgkmcnt(0)
	v_fma_f32 v139, v140, v139, v137
	v_cndmask_b32_e64 v137, v137, v139, s[4:5]
	v_mul_f32_e32 v137, v137, v138
	buffer_store_dword v137, off, s[0:3], 0 offset:204
.LBB117_16:
	s_or_b64 exec, exec, s[10:11]
	buffer_load_dword v137, off, s[0:3], 0 offset:200
	v_cmp_lt_u32_e64 s[4:5], 50, v0
	s_waitcnt vmcnt(0)
	ds_write_b32 v110, v137
	s_waitcnt lgkmcnt(0)
	; wave barrier
	s_waitcnt lgkmcnt(0)
	s_and_saveexec_b64 s[10:11], s[4:5]
	s_cbranch_execz .LBB117_26
; %bb.17:
	s_andn2_b64 vcc, exec, s[8:9]
	s_cbranch_vccnz .LBB117_19
; %bb.18:
	buffer_load_dword v137, v111, s[0:3], 0 offen
	ds_read_b32 v138, v110
	s_waitcnt vmcnt(0) lgkmcnt(0)
	v_mul_f32_e32 v137, v137, v138
	s_cbranch_execz .LBB117_20
	s_branch .LBB117_21
.LBB117_19:
                                        ; implicit-def: $vgpr137
.LBB117_20:
	ds_read_b32 v137, v110
.LBB117_21:
	s_and_saveexec_b64 s[12:13], s[6:7]
	s_cbranch_execz .LBB117_25
; %bb.22:
	v_mov_b32_e32 v138, 0
	v_add_u32_e32 v138, 0xcc, v138
	v_subrev_u32_e32 v139, 51, v0
	s_movk_i32 s14, 0x1ac
	s_mov_b64 s[6:7], 0
.LBB117_23:                             ; =>This Inner Loop Header: Depth=1
	buffer_load_dword v140, v138, s[0:3], 0 offen
	v_mov_b32_e32 v141, s14
	ds_read_b32 v141, v141
	v_add_u32_e32 v139, -1, v139
	s_add_i32 s14, s14, 4
	v_cmp_eq_u32_e32 vcc, 0, v139
	v_add_u32_e32 v138, 4, v138
	s_or_b64 s[6:7], vcc, s[6:7]
	s_waitcnt vmcnt(0) lgkmcnt(0)
	v_fmac_f32_e32 v137, v140, v141
	s_andn2_b64 exec, exec, s[6:7]
	s_cbranch_execnz .LBB117_23
; %bb.24:
	s_or_b64 exec, exec, s[6:7]
.LBB117_25:
	s_or_b64 exec, exec, s[12:13]
	v_mov_b32_e32 v138, 0
	ds_read_b32 v138, v138 offset:200
	s_waitcnt lgkmcnt(0)
	v_mul_f32_e32 v137, v137, v138
	buffer_store_dword v137, off, s[0:3], 0 offset:200
.LBB117_26:
	s_or_b64 exec, exec, s[10:11]
	buffer_load_dword v137, off, s[0:3], 0 offset:196
	v_cmp_lt_u32_e64 s[6:7], 49, v0
	s_waitcnt vmcnt(0)
	ds_write_b32 v110, v137
	s_waitcnt lgkmcnt(0)
	; wave barrier
	s_waitcnt lgkmcnt(0)
	s_and_saveexec_b64 s[10:11], s[6:7]
	s_cbranch_execz .LBB117_36
; %bb.27:
	s_andn2_b64 vcc, exec, s[8:9]
	s_cbranch_vccnz .LBB117_29
; %bb.28:
	buffer_load_dword v137, v111, s[0:3], 0 offen
	ds_read_b32 v138, v110
	s_waitcnt vmcnt(0) lgkmcnt(0)
	v_mul_f32_e32 v137, v137, v138
	s_cbranch_execz .LBB117_30
	s_branch .LBB117_31
.LBB117_29:
                                        ; implicit-def: $vgpr137
.LBB117_30:
	ds_read_b32 v137, v110
.LBB117_31:
	s_and_saveexec_b64 s[12:13], s[4:5]
	s_cbranch_execz .LBB117_35
; %bb.32:
	v_subrev_u32_e32 v138, 50, v0
	s_movk_i32 s14, 0x1a8
	s_mov_b64 s[4:5], 0
.LBB117_33:                             ; =>This Inner Loop Header: Depth=1
	buffer_load_dword v139, v136, s[0:3], 0 offen
	v_mov_b32_e32 v140, s14
	ds_read_b32 v140, v140
	v_add_u32_e32 v138, -1, v138
	s_add_i32 s14, s14, 4
	v_cmp_eq_u32_e32 vcc, 0, v138
	v_add_u32_e32 v136, 4, v136
	s_or_b64 s[4:5], vcc, s[4:5]
	s_waitcnt vmcnt(0) lgkmcnt(0)
	v_fmac_f32_e32 v137, v139, v140
	s_andn2_b64 exec, exec, s[4:5]
	s_cbranch_execnz .LBB117_33
; %bb.34:
	s_or_b64 exec, exec, s[4:5]
.LBB117_35:
	s_or_b64 exec, exec, s[12:13]
	v_mov_b32_e32 v136, 0
	ds_read_b32 v136, v136 offset:196
	s_waitcnt lgkmcnt(0)
	v_mul_f32_e32 v136, v137, v136
	buffer_store_dword v136, off, s[0:3], 0 offset:196
.LBB117_36:
	s_or_b64 exec, exec, s[10:11]
	buffer_load_dword v136, off, s[0:3], 0 offset:192
	v_cmp_lt_u32_e64 s[4:5], 48, v0
	s_waitcnt vmcnt(0)
	ds_write_b32 v110, v136
	s_waitcnt lgkmcnt(0)
	; wave barrier
	s_waitcnt lgkmcnt(0)
	s_and_saveexec_b64 s[10:11], s[4:5]
	s_cbranch_execz .LBB117_46
; %bb.37:
	s_andn2_b64 vcc, exec, s[8:9]
	s_cbranch_vccnz .LBB117_39
; %bb.38:
	buffer_load_dword v136, v111, s[0:3], 0 offen
	ds_read_b32 v137, v110
	s_waitcnt vmcnt(0) lgkmcnt(0)
	v_mul_f32_e32 v136, v136, v137
	s_cbranch_execz .LBB117_40
	s_branch .LBB117_41
.LBB117_39:
                                        ; implicit-def: $vgpr136
.LBB117_40:
	ds_read_b32 v136, v110
.LBB117_41:
	s_and_saveexec_b64 s[12:13], s[6:7]
	s_cbranch_execz .LBB117_45
; %bb.42:
	v_mov_b32_e32 v137, 0
	v_add_u32_e32 v137, 0xc4, v137
	v_subrev_u32_e32 v138, 49, v0
	s_movk_i32 s14, 0x1a4
	s_mov_b64 s[6:7], 0
.LBB117_43:                             ; =>This Inner Loop Header: Depth=1
	buffer_load_dword v139, v137, s[0:3], 0 offen
	v_mov_b32_e32 v140, s14
	ds_read_b32 v140, v140
	v_add_u32_e32 v138, -1, v138
	s_add_i32 s14, s14, 4
	v_cmp_eq_u32_e32 vcc, 0, v138
	v_add_u32_e32 v137, 4, v137
	s_or_b64 s[6:7], vcc, s[6:7]
	s_waitcnt vmcnt(0) lgkmcnt(0)
	v_fmac_f32_e32 v136, v139, v140
	s_andn2_b64 exec, exec, s[6:7]
	s_cbranch_execnz .LBB117_43
; %bb.44:
	s_or_b64 exec, exec, s[6:7]
.LBB117_45:
	s_or_b64 exec, exec, s[12:13]
	v_mov_b32_e32 v137, 0
	ds_read_b32 v137, v137 offset:192
	s_waitcnt lgkmcnt(0)
	v_mul_f32_e32 v136, v136, v137
	buffer_store_dword v136, off, s[0:3], 0 offset:192
.LBB117_46:
	s_or_b64 exec, exec, s[10:11]
	buffer_load_dword v136, off, s[0:3], 0 offset:188
	v_cmp_lt_u32_e64 s[6:7], 47, v0
	s_waitcnt vmcnt(0)
	ds_write_b32 v110, v136
	s_waitcnt lgkmcnt(0)
	; wave barrier
	s_waitcnt lgkmcnt(0)
	s_and_saveexec_b64 s[10:11], s[6:7]
	s_cbranch_execz .LBB117_56
; %bb.47:
	s_andn2_b64 vcc, exec, s[8:9]
	s_cbranch_vccnz .LBB117_49
; %bb.48:
	buffer_load_dword v136, v111, s[0:3], 0 offen
	ds_read_b32 v137, v110
	s_waitcnt vmcnt(0) lgkmcnt(0)
	v_mul_f32_e32 v136, v136, v137
	s_cbranch_execz .LBB117_50
	s_branch .LBB117_51
.LBB117_49:
                                        ; implicit-def: $vgpr136
.LBB117_50:
	ds_read_b32 v136, v110
.LBB117_51:
	s_and_saveexec_b64 s[12:13], s[4:5]
	s_cbranch_execz .LBB117_55
; %bb.52:
	v_subrev_u32_e32 v137, 48, v0
	s_movk_i32 s14, 0x1a0
	s_mov_b64 s[4:5], 0
.LBB117_53:                             ; =>This Inner Loop Header: Depth=1
	buffer_load_dword v138, v135, s[0:3], 0 offen
	v_mov_b32_e32 v139, s14
	ds_read_b32 v139, v139
	v_add_u32_e32 v137, -1, v137
	s_add_i32 s14, s14, 4
	v_cmp_eq_u32_e32 vcc, 0, v137
	v_add_u32_e32 v135, 4, v135
	s_or_b64 s[4:5], vcc, s[4:5]
	s_waitcnt vmcnt(0) lgkmcnt(0)
	v_fmac_f32_e32 v136, v138, v139
	s_andn2_b64 exec, exec, s[4:5]
	s_cbranch_execnz .LBB117_53
; %bb.54:
	s_or_b64 exec, exec, s[4:5]
.LBB117_55:
	s_or_b64 exec, exec, s[12:13]
	v_mov_b32_e32 v135, 0
	ds_read_b32 v135, v135 offset:188
	s_waitcnt lgkmcnt(0)
	v_mul_f32_e32 v135, v136, v135
	buffer_store_dword v135, off, s[0:3], 0 offset:188
.LBB117_56:
	s_or_b64 exec, exec, s[10:11]
	buffer_load_dword v135, off, s[0:3], 0 offset:184
	v_cmp_lt_u32_e64 s[4:5], 46, v0
	s_waitcnt vmcnt(0)
	ds_write_b32 v110, v135
	s_waitcnt lgkmcnt(0)
	; wave barrier
	s_waitcnt lgkmcnt(0)
	s_and_saveexec_b64 s[10:11], s[4:5]
	s_cbranch_execz .LBB117_66
; %bb.57:
	s_andn2_b64 vcc, exec, s[8:9]
	s_cbranch_vccnz .LBB117_59
; %bb.58:
	buffer_load_dword v135, v111, s[0:3], 0 offen
	ds_read_b32 v136, v110
	s_waitcnt vmcnt(0) lgkmcnt(0)
	v_mul_f32_e32 v135, v135, v136
	s_cbranch_execz .LBB117_60
	s_branch .LBB117_61
.LBB117_59:
                                        ; implicit-def: $vgpr135
.LBB117_60:
	ds_read_b32 v135, v110
.LBB117_61:
	s_and_saveexec_b64 s[12:13], s[6:7]
	s_cbranch_execz .LBB117_65
; %bb.62:
	v_mov_b32_e32 v136, 0
	v_add_u32_e32 v136, 0xbc, v136
	v_subrev_u32_e32 v137, 47, v0
	s_movk_i32 s14, 0x19c
	s_mov_b64 s[6:7], 0
.LBB117_63:                             ; =>This Inner Loop Header: Depth=1
	buffer_load_dword v138, v136, s[0:3], 0 offen
	v_mov_b32_e32 v139, s14
	ds_read_b32 v139, v139
	v_add_u32_e32 v137, -1, v137
	s_add_i32 s14, s14, 4
	v_cmp_eq_u32_e32 vcc, 0, v137
	v_add_u32_e32 v136, 4, v136
	s_or_b64 s[6:7], vcc, s[6:7]
	s_waitcnt vmcnt(0) lgkmcnt(0)
	v_fmac_f32_e32 v135, v138, v139
	s_andn2_b64 exec, exec, s[6:7]
	s_cbranch_execnz .LBB117_63
; %bb.64:
	s_or_b64 exec, exec, s[6:7]
.LBB117_65:
	s_or_b64 exec, exec, s[12:13]
	v_mov_b32_e32 v136, 0
	ds_read_b32 v136, v136 offset:184
	s_waitcnt lgkmcnt(0)
	v_mul_f32_e32 v135, v135, v136
	buffer_store_dword v135, off, s[0:3], 0 offset:184
.LBB117_66:
	s_or_b64 exec, exec, s[10:11]
	buffer_load_dword v135, off, s[0:3], 0 offset:180
	v_cmp_lt_u32_e64 s[6:7], 45, v0
	s_waitcnt vmcnt(0)
	ds_write_b32 v110, v135
	s_waitcnt lgkmcnt(0)
	; wave barrier
	s_waitcnt lgkmcnt(0)
	s_and_saveexec_b64 s[10:11], s[6:7]
	s_cbranch_execz .LBB117_76
; %bb.67:
	s_andn2_b64 vcc, exec, s[8:9]
	s_cbranch_vccnz .LBB117_69
; %bb.68:
	buffer_load_dword v135, v111, s[0:3], 0 offen
	ds_read_b32 v136, v110
	s_waitcnt vmcnt(0) lgkmcnt(0)
	v_mul_f32_e32 v135, v135, v136
	s_cbranch_execz .LBB117_70
	s_branch .LBB117_71
.LBB117_69:
                                        ; implicit-def: $vgpr135
.LBB117_70:
	ds_read_b32 v135, v110
.LBB117_71:
	s_and_saveexec_b64 s[12:13], s[4:5]
	s_cbranch_execz .LBB117_75
; %bb.72:
	v_subrev_u32_e32 v136, 46, v0
	s_movk_i32 s14, 0x198
	s_mov_b64 s[4:5], 0
.LBB117_73:                             ; =>This Inner Loop Header: Depth=1
	buffer_load_dword v137, v134, s[0:3], 0 offen
	v_mov_b32_e32 v138, s14
	ds_read_b32 v138, v138
	v_add_u32_e32 v136, -1, v136
	s_add_i32 s14, s14, 4
	v_cmp_eq_u32_e32 vcc, 0, v136
	v_add_u32_e32 v134, 4, v134
	s_or_b64 s[4:5], vcc, s[4:5]
	s_waitcnt vmcnt(0) lgkmcnt(0)
	v_fmac_f32_e32 v135, v137, v138
	s_andn2_b64 exec, exec, s[4:5]
	s_cbranch_execnz .LBB117_73
; %bb.74:
	s_or_b64 exec, exec, s[4:5]
.LBB117_75:
	s_or_b64 exec, exec, s[12:13]
	v_mov_b32_e32 v134, 0
	ds_read_b32 v134, v134 offset:180
	s_waitcnt lgkmcnt(0)
	v_mul_f32_e32 v134, v135, v134
	buffer_store_dword v134, off, s[0:3], 0 offset:180
.LBB117_76:
	s_or_b64 exec, exec, s[10:11]
	buffer_load_dword v134, off, s[0:3], 0 offset:176
	v_cmp_lt_u32_e64 s[4:5], 44, v0
	s_waitcnt vmcnt(0)
	ds_write_b32 v110, v134
	s_waitcnt lgkmcnt(0)
	; wave barrier
	s_waitcnt lgkmcnt(0)
	s_and_saveexec_b64 s[10:11], s[4:5]
	s_cbranch_execz .LBB117_86
; %bb.77:
	s_andn2_b64 vcc, exec, s[8:9]
	s_cbranch_vccnz .LBB117_79
; %bb.78:
	buffer_load_dword v134, v111, s[0:3], 0 offen
	ds_read_b32 v135, v110
	s_waitcnt vmcnt(0) lgkmcnt(0)
	v_mul_f32_e32 v134, v134, v135
	s_cbranch_execz .LBB117_80
	s_branch .LBB117_81
.LBB117_79:
                                        ; implicit-def: $vgpr134
.LBB117_80:
	ds_read_b32 v134, v110
.LBB117_81:
	s_and_saveexec_b64 s[12:13], s[6:7]
	s_cbranch_execz .LBB117_85
; %bb.82:
	v_mov_b32_e32 v135, 0
	v_add_u32_e32 v135, 0xb4, v135
	v_subrev_u32_e32 v136, 45, v0
	s_movk_i32 s14, 0x194
	s_mov_b64 s[6:7], 0
.LBB117_83:                             ; =>This Inner Loop Header: Depth=1
	buffer_load_dword v137, v135, s[0:3], 0 offen
	v_mov_b32_e32 v138, s14
	ds_read_b32 v138, v138
	v_add_u32_e32 v136, -1, v136
	s_add_i32 s14, s14, 4
	v_cmp_eq_u32_e32 vcc, 0, v136
	v_add_u32_e32 v135, 4, v135
	s_or_b64 s[6:7], vcc, s[6:7]
	s_waitcnt vmcnt(0) lgkmcnt(0)
	v_fmac_f32_e32 v134, v137, v138
	s_andn2_b64 exec, exec, s[6:7]
	s_cbranch_execnz .LBB117_83
; %bb.84:
	s_or_b64 exec, exec, s[6:7]
.LBB117_85:
	s_or_b64 exec, exec, s[12:13]
	v_mov_b32_e32 v135, 0
	ds_read_b32 v135, v135 offset:176
	s_waitcnt lgkmcnt(0)
	v_mul_f32_e32 v134, v134, v135
	buffer_store_dword v134, off, s[0:3], 0 offset:176
.LBB117_86:
	s_or_b64 exec, exec, s[10:11]
	buffer_load_dword v134, off, s[0:3], 0 offset:172
	v_cmp_lt_u32_e64 s[6:7], 43, v0
	s_waitcnt vmcnt(0)
	ds_write_b32 v110, v134
	s_waitcnt lgkmcnt(0)
	; wave barrier
	s_waitcnt lgkmcnt(0)
	s_and_saveexec_b64 s[10:11], s[6:7]
	s_cbranch_execz .LBB117_96
; %bb.87:
	s_andn2_b64 vcc, exec, s[8:9]
	s_cbranch_vccnz .LBB117_89
; %bb.88:
	buffer_load_dword v134, v111, s[0:3], 0 offen
	ds_read_b32 v135, v110
	s_waitcnt vmcnt(0) lgkmcnt(0)
	v_mul_f32_e32 v134, v134, v135
	s_cbranch_execz .LBB117_90
	s_branch .LBB117_91
.LBB117_89:
                                        ; implicit-def: $vgpr134
.LBB117_90:
	ds_read_b32 v134, v110
.LBB117_91:
	s_and_saveexec_b64 s[12:13], s[4:5]
	s_cbranch_execz .LBB117_95
; %bb.92:
	v_subrev_u32_e32 v135, 44, v0
	s_movk_i32 s14, 0x190
	s_mov_b64 s[4:5], 0
.LBB117_93:                             ; =>This Inner Loop Header: Depth=1
	buffer_load_dword v136, v133, s[0:3], 0 offen
	v_mov_b32_e32 v137, s14
	ds_read_b32 v137, v137
	v_add_u32_e32 v135, -1, v135
	s_add_i32 s14, s14, 4
	v_cmp_eq_u32_e32 vcc, 0, v135
	v_add_u32_e32 v133, 4, v133
	s_or_b64 s[4:5], vcc, s[4:5]
	s_waitcnt vmcnt(0) lgkmcnt(0)
	v_fmac_f32_e32 v134, v136, v137
	s_andn2_b64 exec, exec, s[4:5]
	s_cbranch_execnz .LBB117_93
; %bb.94:
	s_or_b64 exec, exec, s[4:5]
.LBB117_95:
	s_or_b64 exec, exec, s[12:13]
	v_mov_b32_e32 v133, 0
	ds_read_b32 v133, v133 offset:172
	s_waitcnt lgkmcnt(0)
	v_mul_f32_e32 v133, v134, v133
	buffer_store_dword v133, off, s[0:3], 0 offset:172
.LBB117_96:
	s_or_b64 exec, exec, s[10:11]
	buffer_load_dword v133, off, s[0:3], 0 offset:168
	v_cmp_lt_u32_e64 s[4:5], 42, v0
	s_waitcnt vmcnt(0)
	ds_write_b32 v110, v133
	s_waitcnt lgkmcnt(0)
	; wave barrier
	s_waitcnt lgkmcnt(0)
	s_and_saveexec_b64 s[10:11], s[4:5]
	s_cbranch_execz .LBB117_106
; %bb.97:
	s_andn2_b64 vcc, exec, s[8:9]
	s_cbranch_vccnz .LBB117_99
; %bb.98:
	buffer_load_dword v133, v111, s[0:3], 0 offen
	ds_read_b32 v134, v110
	s_waitcnt vmcnt(0) lgkmcnt(0)
	v_mul_f32_e32 v133, v133, v134
	s_cbranch_execz .LBB117_100
	s_branch .LBB117_101
.LBB117_99:
                                        ; implicit-def: $vgpr133
.LBB117_100:
	ds_read_b32 v133, v110
.LBB117_101:
	s_and_saveexec_b64 s[12:13], s[6:7]
	s_cbranch_execz .LBB117_105
; %bb.102:
	v_mov_b32_e32 v134, 0
	v_add_u32_e32 v134, 0xac, v134
	v_subrev_u32_e32 v135, 43, v0
	s_movk_i32 s14, 0x18c
	s_mov_b64 s[6:7], 0
.LBB117_103:                            ; =>This Inner Loop Header: Depth=1
	buffer_load_dword v136, v134, s[0:3], 0 offen
	v_mov_b32_e32 v137, s14
	ds_read_b32 v137, v137
	v_add_u32_e32 v135, -1, v135
	s_add_i32 s14, s14, 4
	v_cmp_eq_u32_e32 vcc, 0, v135
	v_add_u32_e32 v134, 4, v134
	s_or_b64 s[6:7], vcc, s[6:7]
	s_waitcnt vmcnt(0) lgkmcnt(0)
	v_fmac_f32_e32 v133, v136, v137
	s_andn2_b64 exec, exec, s[6:7]
	s_cbranch_execnz .LBB117_103
; %bb.104:
	s_or_b64 exec, exec, s[6:7]
.LBB117_105:
	s_or_b64 exec, exec, s[12:13]
	v_mov_b32_e32 v134, 0
	ds_read_b32 v134, v134 offset:168
	s_waitcnt lgkmcnt(0)
	v_mul_f32_e32 v133, v133, v134
	buffer_store_dword v133, off, s[0:3], 0 offset:168
.LBB117_106:
	s_or_b64 exec, exec, s[10:11]
	buffer_load_dword v133, off, s[0:3], 0 offset:164
	v_cmp_lt_u32_e64 s[6:7], 41, v0
	s_waitcnt vmcnt(0)
	ds_write_b32 v110, v133
	s_waitcnt lgkmcnt(0)
	; wave barrier
	s_waitcnt lgkmcnt(0)
	s_and_saveexec_b64 s[10:11], s[6:7]
	s_cbranch_execz .LBB117_116
; %bb.107:
	s_andn2_b64 vcc, exec, s[8:9]
	s_cbranch_vccnz .LBB117_109
; %bb.108:
	buffer_load_dword v133, v111, s[0:3], 0 offen
	ds_read_b32 v134, v110
	s_waitcnt vmcnt(0) lgkmcnt(0)
	v_mul_f32_e32 v133, v133, v134
	s_cbranch_execz .LBB117_110
	s_branch .LBB117_111
.LBB117_109:
                                        ; implicit-def: $vgpr133
.LBB117_110:
	ds_read_b32 v133, v110
.LBB117_111:
	s_and_saveexec_b64 s[12:13], s[4:5]
	s_cbranch_execz .LBB117_115
; %bb.112:
	v_subrev_u32_e32 v134, 42, v0
	s_movk_i32 s14, 0x188
	s_mov_b64 s[4:5], 0
.LBB117_113:                            ; =>This Inner Loop Header: Depth=1
	buffer_load_dword v135, v132, s[0:3], 0 offen
	v_mov_b32_e32 v136, s14
	ds_read_b32 v136, v136
	v_add_u32_e32 v134, -1, v134
	s_add_i32 s14, s14, 4
	v_cmp_eq_u32_e32 vcc, 0, v134
	v_add_u32_e32 v132, 4, v132
	s_or_b64 s[4:5], vcc, s[4:5]
	s_waitcnt vmcnt(0) lgkmcnt(0)
	v_fmac_f32_e32 v133, v135, v136
	s_andn2_b64 exec, exec, s[4:5]
	s_cbranch_execnz .LBB117_113
; %bb.114:
	s_or_b64 exec, exec, s[4:5]
.LBB117_115:
	s_or_b64 exec, exec, s[12:13]
	v_mov_b32_e32 v132, 0
	ds_read_b32 v132, v132 offset:164
	s_waitcnt lgkmcnt(0)
	v_mul_f32_e32 v132, v133, v132
	buffer_store_dword v132, off, s[0:3], 0 offset:164
.LBB117_116:
	s_or_b64 exec, exec, s[10:11]
	buffer_load_dword v132, off, s[0:3], 0 offset:160
	v_cmp_lt_u32_e64 s[4:5], 40, v0
	s_waitcnt vmcnt(0)
	ds_write_b32 v110, v132
	s_waitcnt lgkmcnt(0)
	; wave barrier
	s_waitcnt lgkmcnt(0)
	s_and_saveexec_b64 s[10:11], s[4:5]
	s_cbranch_execz .LBB117_126
; %bb.117:
	s_andn2_b64 vcc, exec, s[8:9]
	s_cbranch_vccnz .LBB117_119
; %bb.118:
	buffer_load_dword v132, v111, s[0:3], 0 offen
	ds_read_b32 v133, v110
	s_waitcnt vmcnt(0) lgkmcnt(0)
	v_mul_f32_e32 v132, v132, v133
	s_cbranch_execz .LBB117_120
	s_branch .LBB117_121
.LBB117_119:
                                        ; implicit-def: $vgpr132
.LBB117_120:
	ds_read_b32 v132, v110
.LBB117_121:
	s_and_saveexec_b64 s[12:13], s[6:7]
	s_cbranch_execz .LBB117_125
; %bb.122:
	v_mov_b32_e32 v133, 0
	v_add_u32_e32 v133, 0xa4, v133
	v_subrev_u32_e32 v134, 41, v0
	s_movk_i32 s14, 0x184
	s_mov_b64 s[6:7], 0
.LBB117_123:                            ; =>This Inner Loop Header: Depth=1
	buffer_load_dword v135, v133, s[0:3], 0 offen
	v_mov_b32_e32 v136, s14
	ds_read_b32 v136, v136
	v_add_u32_e32 v134, -1, v134
	s_add_i32 s14, s14, 4
	v_cmp_eq_u32_e32 vcc, 0, v134
	v_add_u32_e32 v133, 4, v133
	s_or_b64 s[6:7], vcc, s[6:7]
	s_waitcnt vmcnt(0) lgkmcnt(0)
	v_fmac_f32_e32 v132, v135, v136
	s_andn2_b64 exec, exec, s[6:7]
	s_cbranch_execnz .LBB117_123
; %bb.124:
	s_or_b64 exec, exec, s[6:7]
.LBB117_125:
	s_or_b64 exec, exec, s[12:13]
	v_mov_b32_e32 v133, 0
	ds_read_b32 v133, v133 offset:160
	s_waitcnt lgkmcnt(0)
	v_mul_f32_e32 v132, v132, v133
	buffer_store_dword v132, off, s[0:3], 0 offset:160
.LBB117_126:
	s_or_b64 exec, exec, s[10:11]
	buffer_load_dword v132, off, s[0:3], 0 offset:156
	v_cmp_lt_u32_e64 s[6:7], 39, v0
	s_waitcnt vmcnt(0)
	ds_write_b32 v110, v132
	s_waitcnt lgkmcnt(0)
	; wave barrier
	s_waitcnt lgkmcnt(0)
	s_and_saveexec_b64 s[10:11], s[6:7]
	s_cbranch_execz .LBB117_136
; %bb.127:
	s_andn2_b64 vcc, exec, s[8:9]
	s_cbranch_vccnz .LBB117_129
; %bb.128:
	buffer_load_dword v132, v111, s[0:3], 0 offen
	ds_read_b32 v133, v110
	s_waitcnt vmcnt(0) lgkmcnt(0)
	v_mul_f32_e32 v132, v132, v133
	s_cbranch_execz .LBB117_130
	s_branch .LBB117_131
.LBB117_129:
                                        ; implicit-def: $vgpr132
.LBB117_130:
	ds_read_b32 v132, v110
.LBB117_131:
	s_and_saveexec_b64 s[12:13], s[4:5]
	s_cbranch_execz .LBB117_135
; %bb.132:
	v_subrev_u32_e32 v133, 40, v0
	s_movk_i32 s14, 0x180
	s_mov_b64 s[4:5], 0
.LBB117_133:                            ; =>This Inner Loop Header: Depth=1
	buffer_load_dword v134, v131, s[0:3], 0 offen
	v_mov_b32_e32 v135, s14
	ds_read_b32 v135, v135
	v_add_u32_e32 v133, -1, v133
	s_add_i32 s14, s14, 4
	v_cmp_eq_u32_e32 vcc, 0, v133
	v_add_u32_e32 v131, 4, v131
	s_or_b64 s[4:5], vcc, s[4:5]
	s_waitcnt vmcnt(0) lgkmcnt(0)
	v_fmac_f32_e32 v132, v134, v135
	s_andn2_b64 exec, exec, s[4:5]
	s_cbranch_execnz .LBB117_133
; %bb.134:
	s_or_b64 exec, exec, s[4:5]
.LBB117_135:
	s_or_b64 exec, exec, s[12:13]
	v_mov_b32_e32 v131, 0
	ds_read_b32 v131, v131 offset:156
	s_waitcnt lgkmcnt(0)
	v_mul_f32_e32 v131, v132, v131
	buffer_store_dword v131, off, s[0:3], 0 offset:156
.LBB117_136:
	s_or_b64 exec, exec, s[10:11]
	buffer_load_dword v131, off, s[0:3], 0 offset:152
	v_cmp_lt_u32_e64 s[4:5], 38, v0
	s_waitcnt vmcnt(0)
	ds_write_b32 v110, v131
	s_waitcnt lgkmcnt(0)
	; wave barrier
	s_waitcnt lgkmcnt(0)
	s_and_saveexec_b64 s[10:11], s[4:5]
	s_cbranch_execz .LBB117_146
; %bb.137:
	s_andn2_b64 vcc, exec, s[8:9]
	s_cbranch_vccnz .LBB117_139
; %bb.138:
	buffer_load_dword v131, v111, s[0:3], 0 offen
	ds_read_b32 v132, v110
	s_waitcnt vmcnt(0) lgkmcnt(0)
	v_mul_f32_e32 v131, v131, v132
	s_cbranch_execz .LBB117_140
	s_branch .LBB117_141
.LBB117_139:
                                        ; implicit-def: $vgpr131
.LBB117_140:
	ds_read_b32 v131, v110
.LBB117_141:
	s_and_saveexec_b64 s[12:13], s[6:7]
	s_cbranch_execz .LBB117_145
; %bb.142:
	v_mov_b32_e32 v132, 0
	v_add_u32_e32 v132, 0x9c, v132
	v_subrev_u32_e32 v133, 39, v0
	s_movk_i32 s14, 0x17c
	s_mov_b64 s[6:7], 0
.LBB117_143:                            ; =>This Inner Loop Header: Depth=1
	buffer_load_dword v134, v132, s[0:3], 0 offen
	v_mov_b32_e32 v135, s14
	ds_read_b32 v135, v135
	v_add_u32_e32 v133, -1, v133
	s_add_i32 s14, s14, 4
	v_cmp_eq_u32_e32 vcc, 0, v133
	v_add_u32_e32 v132, 4, v132
	s_or_b64 s[6:7], vcc, s[6:7]
	s_waitcnt vmcnt(0) lgkmcnt(0)
	v_fmac_f32_e32 v131, v134, v135
	s_andn2_b64 exec, exec, s[6:7]
	s_cbranch_execnz .LBB117_143
; %bb.144:
	s_or_b64 exec, exec, s[6:7]
.LBB117_145:
	s_or_b64 exec, exec, s[12:13]
	v_mov_b32_e32 v132, 0
	ds_read_b32 v132, v132 offset:152
	s_waitcnt lgkmcnt(0)
	v_mul_f32_e32 v131, v131, v132
	buffer_store_dword v131, off, s[0:3], 0 offset:152
.LBB117_146:
	s_or_b64 exec, exec, s[10:11]
	buffer_load_dword v131, off, s[0:3], 0 offset:148
	v_cmp_lt_u32_e64 s[6:7], 37, v0
	s_waitcnt vmcnt(0)
	ds_write_b32 v110, v131
	s_waitcnt lgkmcnt(0)
	; wave barrier
	s_waitcnt lgkmcnt(0)
	s_and_saveexec_b64 s[10:11], s[6:7]
	s_cbranch_execz .LBB117_156
; %bb.147:
	s_andn2_b64 vcc, exec, s[8:9]
	s_cbranch_vccnz .LBB117_149
; %bb.148:
	buffer_load_dword v131, v111, s[0:3], 0 offen
	ds_read_b32 v132, v110
	s_waitcnt vmcnt(0) lgkmcnt(0)
	v_mul_f32_e32 v131, v131, v132
	s_cbranch_execz .LBB117_150
	s_branch .LBB117_151
.LBB117_149:
                                        ; implicit-def: $vgpr131
.LBB117_150:
	ds_read_b32 v131, v110
.LBB117_151:
	s_and_saveexec_b64 s[12:13], s[4:5]
	s_cbranch_execz .LBB117_155
; %bb.152:
	v_subrev_u32_e32 v132, 38, v0
	s_movk_i32 s14, 0x178
	s_mov_b64 s[4:5], 0
.LBB117_153:                            ; =>This Inner Loop Header: Depth=1
	buffer_load_dword v133, v130, s[0:3], 0 offen
	v_mov_b32_e32 v134, s14
	ds_read_b32 v134, v134
	v_add_u32_e32 v132, -1, v132
	s_add_i32 s14, s14, 4
	v_cmp_eq_u32_e32 vcc, 0, v132
	v_add_u32_e32 v130, 4, v130
	s_or_b64 s[4:5], vcc, s[4:5]
	s_waitcnt vmcnt(0) lgkmcnt(0)
	v_fmac_f32_e32 v131, v133, v134
	s_andn2_b64 exec, exec, s[4:5]
	s_cbranch_execnz .LBB117_153
; %bb.154:
	s_or_b64 exec, exec, s[4:5]
.LBB117_155:
	s_or_b64 exec, exec, s[12:13]
	v_mov_b32_e32 v130, 0
	ds_read_b32 v130, v130 offset:148
	s_waitcnt lgkmcnt(0)
	v_mul_f32_e32 v130, v131, v130
	buffer_store_dword v130, off, s[0:3], 0 offset:148
.LBB117_156:
	s_or_b64 exec, exec, s[10:11]
	buffer_load_dword v130, off, s[0:3], 0 offset:144
	v_cmp_lt_u32_e64 s[4:5], 36, v0
	s_waitcnt vmcnt(0)
	ds_write_b32 v110, v130
	s_waitcnt lgkmcnt(0)
	; wave barrier
	s_waitcnt lgkmcnt(0)
	s_and_saveexec_b64 s[10:11], s[4:5]
	s_cbranch_execz .LBB117_166
; %bb.157:
	s_andn2_b64 vcc, exec, s[8:9]
	s_cbranch_vccnz .LBB117_159
; %bb.158:
	buffer_load_dword v130, v111, s[0:3], 0 offen
	ds_read_b32 v131, v110
	s_waitcnt vmcnt(0) lgkmcnt(0)
	v_mul_f32_e32 v130, v130, v131
	s_cbranch_execz .LBB117_160
	s_branch .LBB117_161
.LBB117_159:
                                        ; implicit-def: $vgpr130
.LBB117_160:
	ds_read_b32 v130, v110
.LBB117_161:
	s_and_saveexec_b64 s[12:13], s[6:7]
	s_cbranch_execz .LBB117_165
; %bb.162:
	v_mov_b32_e32 v131, 0
	v_add_u32_e32 v131, 0x94, v131
	v_subrev_u32_e32 v132, 37, v0
	s_movk_i32 s14, 0x174
	s_mov_b64 s[6:7], 0
.LBB117_163:                            ; =>This Inner Loop Header: Depth=1
	buffer_load_dword v133, v131, s[0:3], 0 offen
	v_mov_b32_e32 v134, s14
	ds_read_b32 v134, v134
	v_add_u32_e32 v132, -1, v132
	s_add_i32 s14, s14, 4
	v_cmp_eq_u32_e32 vcc, 0, v132
	v_add_u32_e32 v131, 4, v131
	s_or_b64 s[6:7], vcc, s[6:7]
	s_waitcnt vmcnt(0) lgkmcnt(0)
	v_fmac_f32_e32 v130, v133, v134
	s_andn2_b64 exec, exec, s[6:7]
	s_cbranch_execnz .LBB117_163
; %bb.164:
	s_or_b64 exec, exec, s[6:7]
.LBB117_165:
	s_or_b64 exec, exec, s[12:13]
	v_mov_b32_e32 v131, 0
	ds_read_b32 v131, v131 offset:144
	s_waitcnt lgkmcnt(0)
	v_mul_f32_e32 v130, v130, v131
	buffer_store_dword v130, off, s[0:3], 0 offset:144
.LBB117_166:
	s_or_b64 exec, exec, s[10:11]
	buffer_load_dword v130, off, s[0:3], 0 offset:140
	v_cmp_lt_u32_e64 s[6:7], 35, v0
	s_waitcnt vmcnt(0)
	ds_write_b32 v110, v130
	s_waitcnt lgkmcnt(0)
	; wave barrier
	s_waitcnt lgkmcnt(0)
	s_and_saveexec_b64 s[10:11], s[6:7]
	s_cbranch_execz .LBB117_176
; %bb.167:
	s_andn2_b64 vcc, exec, s[8:9]
	s_cbranch_vccnz .LBB117_169
; %bb.168:
	buffer_load_dword v130, v111, s[0:3], 0 offen
	ds_read_b32 v131, v110
	s_waitcnt vmcnt(0) lgkmcnt(0)
	v_mul_f32_e32 v130, v130, v131
	s_cbranch_execz .LBB117_170
	s_branch .LBB117_171
.LBB117_169:
                                        ; implicit-def: $vgpr130
.LBB117_170:
	ds_read_b32 v130, v110
.LBB117_171:
	s_and_saveexec_b64 s[12:13], s[4:5]
	s_cbranch_execz .LBB117_175
; %bb.172:
	v_subrev_u32_e32 v131, 36, v0
	s_movk_i32 s14, 0x170
	s_mov_b64 s[4:5], 0
.LBB117_173:                            ; =>This Inner Loop Header: Depth=1
	buffer_load_dword v132, v129, s[0:3], 0 offen
	v_mov_b32_e32 v133, s14
	ds_read_b32 v133, v133
	v_add_u32_e32 v131, -1, v131
	s_add_i32 s14, s14, 4
	v_cmp_eq_u32_e32 vcc, 0, v131
	v_add_u32_e32 v129, 4, v129
	s_or_b64 s[4:5], vcc, s[4:5]
	s_waitcnt vmcnt(0) lgkmcnt(0)
	v_fmac_f32_e32 v130, v132, v133
	s_andn2_b64 exec, exec, s[4:5]
	s_cbranch_execnz .LBB117_173
; %bb.174:
	s_or_b64 exec, exec, s[4:5]
.LBB117_175:
	s_or_b64 exec, exec, s[12:13]
	v_mov_b32_e32 v129, 0
	ds_read_b32 v129, v129 offset:140
	s_waitcnt lgkmcnt(0)
	v_mul_f32_e32 v129, v130, v129
	buffer_store_dword v129, off, s[0:3], 0 offset:140
.LBB117_176:
	s_or_b64 exec, exec, s[10:11]
	buffer_load_dword v129, off, s[0:3], 0 offset:136
	v_cmp_lt_u32_e64 s[4:5], 34, v0
	s_waitcnt vmcnt(0)
	ds_write_b32 v110, v129
	s_waitcnt lgkmcnt(0)
	; wave barrier
	s_waitcnt lgkmcnt(0)
	s_and_saveexec_b64 s[10:11], s[4:5]
	s_cbranch_execz .LBB117_186
; %bb.177:
	s_andn2_b64 vcc, exec, s[8:9]
	s_cbranch_vccnz .LBB117_179
; %bb.178:
	buffer_load_dword v129, v111, s[0:3], 0 offen
	ds_read_b32 v130, v110
	s_waitcnt vmcnt(0) lgkmcnt(0)
	v_mul_f32_e32 v129, v129, v130
	s_cbranch_execz .LBB117_180
	s_branch .LBB117_181
.LBB117_179:
                                        ; implicit-def: $vgpr129
.LBB117_180:
	ds_read_b32 v129, v110
.LBB117_181:
	s_and_saveexec_b64 s[12:13], s[6:7]
	s_cbranch_execz .LBB117_185
; %bb.182:
	v_mov_b32_e32 v130, 0
	v_add_u32_e32 v130, 0x8c, v130
	v_subrev_u32_e32 v131, 35, v0
	s_movk_i32 s14, 0x16c
	s_mov_b64 s[6:7], 0
.LBB117_183:                            ; =>This Inner Loop Header: Depth=1
	buffer_load_dword v132, v130, s[0:3], 0 offen
	v_mov_b32_e32 v133, s14
	ds_read_b32 v133, v133
	v_add_u32_e32 v131, -1, v131
	s_add_i32 s14, s14, 4
	v_cmp_eq_u32_e32 vcc, 0, v131
	v_add_u32_e32 v130, 4, v130
	s_or_b64 s[6:7], vcc, s[6:7]
	s_waitcnt vmcnt(0) lgkmcnt(0)
	v_fmac_f32_e32 v129, v132, v133
	s_andn2_b64 exec, exec, s[6:7]
	s_cbranch_execnz .LBB117_183
; %bb.184:
	s_or_b64 exec, exec, s[6:7]
.LBB117_185:
	s_or_b64 exec, exec, s[12:13]
	v_mov_b32_e32 v130, 0
	ds_read_b32 v130, v130 offset:136
	s_waitcnt lgkmcnt(0)
	v_mul_f32_e32 v129, v129, v130
	buffer_store_dword v129, off, s[0:3], 0 offset:136
.LBB117_186:
	s_or_b64 exec, exec, s[10:11]
	buffer_load_dword v129, off, s[0:3], 0 offset:132
	v_cmp_lt_u32_e64 s[6:7], 33, v0
	s_waitcnt vmcnt(0)
	ds_write_b32 v110, v129
	s_waitcnt lgkmcnt(0)
	; wave barrier
	s_waitcnt lgkmcnt(0)
	s_and_saveexec_b64 s[10:11], s[6:7]
	s_cbranch_execz .LBB117_196
; %bb.187:
	s_andn2_b64 vcc, exec, s[8:9]
	s_cbranch_vccnz .LBB117_189
; %bb.188:
	buffer_load_dword v129, v111, s[0:3], 0 offen
	ds_read_b32 v130, v110
	s_waitcnt vmcnt(0) lgkmcnt(0)
	v_mul_f32_e32 v129, v129, v130
	s_cbranch_execz .LBB117_190
	s_branch .LBB117_191
.LBB117_189:
                                        ; implicit-def: $vgpr129
.LBB117_190:
	ds_read_b32 v129, v110
.LBB117_191:
	s_and_saveexec_b64 s[12:13], s[4:5]
	s_cbranch_execz .LBB117_195
; %bb.192:
	v_subrev_u32_e32 v130, 34, v0
	s_movk_i32 s14, 0x168
	s_mov_b64 s[4:5], 0
.LBB117_193:                            ; =>This Inner Loop Header: Depth=1
	buffer_load_dword v131, v128, s[0:3], 0 offen
	v_mov_b32_e32 v132, s14
	ds_read_b32 v132, v132
	v_add_u32_e32 v130, -1, v130
	s_add_i32 s14, s14, 4
	v_cmp_eq_u32_e32 vcc, 0, v130
	v_add_u32_e32 v128, 4, v128
	s_or_b64 s[4:5], vcc, s[4:5]
	s_waitcnt vmcnt(0) lgkmcnt(0)
	v_fmac_f32_e32 v129, v131, v132
	s_andn2_b64 exec, exec, s[4:5]
	s_cbranch_execnz .LBB117_193
; %bb.194:
	s_or_b64 exec, exec, s[4:5]
.LBB117_195:
	s_or_b64 exec, exec, s[12:13]
	v_mov_b32_e32 v128, 0
	ds_read_b32 v128, v128 offset:132
	s_waitcnt lgkmcnt(0)
	v_mul_f32_e32 v128, v129, v128
	buffer_store_dword v128, off, s[0:3], 0 offset:132
.LBB117_196:
	s_or_b64 exec, exec, s[10:11]
	buffer_load_dword v128, off, s[0:3], 0 offset:128
	v_cmp_lt_u32_e64 s[4:5], 32, v0
	s_waitcnt vmcnt(0)
	ds_write_b32 v110, v128
	s_waitcnt lgkmcnt(0)
	; wave barrier
	s_waitcnt lgkmcnt(0)
	s_and_saveexec_b64 s[10:11], s[4:5]
	s_cbranch_execz .LBB117_206
; %bb.197:
	s_andn2_b64 vcc, exec, s[8:9]
	s_cbranch_vccnz .LBB117_199
; %bb.198:
	buffer_load_dword v128, v111, s[0:3], 0 offen
	ds_read_b32 v129, v110
	s_waitcnt vmcnt(0) lgkmcnt(0)
	v_mul_f32_e32 v128, v128, v129
	s_cbranch_execz .LBB117_200
	s_branch .LBB117_201
.LBB117_199:
                                        ; implicit-def: $vgpr128
.LBB117_200:
	ds_read_b32 v128, v110
.LBB117_201:
	s_and_saveexec_b64 s[12:13], s[6:7]
	s_cbranch_execz .LBB117_205
; %bb.202:
	v_mov_b32_e32 v129, 0
	v_add_u32_e32 v129, 0x84, v129
	v_subrev_u32_e32 v130, 33, v0
	s_movk_i32 s14, 0x164
	s_mov_b64 s[6:7], 0
.LBB117_203:                            ; =>This Inner Loop Header: Depth=1
	buffer_load_dword v131, v129, s[0:3], 0 offen
	v_mov_b32_e32 v132, s14
	ds_read_b32 v132, v132
	v_add_u32_e32 v130, -1, v130
	s_add_i32 s14, s14, 4
	v_cmp_eq_u32_e32 vcc, 0, v130
	v_add_u32_e32 v129, 4, v129
	s_or_b64 s[6:7], vcc, s[6:7]
	s_waitcnt vmcnt(0) lgkmcnt(0)
	v_fmac_f32_e32 v128, v131, v132
	s_andn2_b64 exec, exec, s[6:7]
	s_cbranch_execnz .LBB117_203
; %bb.204:
	s_or_b64 exec, exec, s[6:7]
.LBB117_205:
	s_or_b64 exec, exec, s[12:13]
	v_mov_b32_e32 v129, 0
	ds_read_b32 v129, v129 offset:128
	s_waitcnt lgkmcnt(0)
	v_mul_f32_e32 v128, v128, v129
	buffer_store_dword v128, off, s[0:3], 0 offset:128
.LBB117_206:
	s_or_b64 exec, exec, s[10:11]
	buffer_load_dword v128, off, s[0:3], 0 offset:124
	v_cmp_lt_u32_e64 s[6:7], 31, v0
	s_waitcnt vmcnt(0)
	ds_write_b32 v110, v128
	s_waitcnt lgkmcnt(0)
	; wave barrier
	s_waitcnt lgkmcnt(0)
	s_and_saveexec_b64 s[10:11], s[6:7]
	s_cbranch_execz .LBB117_216
; %bb.207:
	s_andn2_b64 vcc, exec, s[8:9]
	s_cbranch_vccnz .LBB117_209
; %bb.208:
	buffer_load_dword v128, v111, s[0:3], 0 offen
	ds_read_b32 v129, v110
	s_waitcnt vmcnt(0) lgkmcnt(0)
	v_mul_f32_e32 v128, v128, v129
	s_cbranch_execz .LBB117_210
	s_branch .LBB117_211
.LBB117_209:
                                        ; implicit-def: $vgpr128
.LBB117_210:
	ds_read_b32 v128, v110
.LBB117_211:
	s_and_saveexec_b64 s[12:13], s[4:5]
	s_cbranch_execz .LBB117_215
; %bb.212:
	v_subrev_u32_e32 v129, 32, v0
	s_movk_i32 s14, 0x160
	s_mov_b64 s[4:5], 0
.LBB117_213:                            ; =>This Inner Loop Header: Depth=1
	buffer_load_dword v130, v127, s[0:3], 0 offen
	v_mov_b32_e32 v131, s14
	ds_read_b32 v131, v131
	v_add_u32_e32 v129, -1, v129
	s_add_i32 s14, s14, 4
	v_cmp_eq_u32_e32 vcc, 0, v129
	v_add_u32_e32 v127, 4, v127
	s_or_b64 s[4:5], vcc, s[4:5]
	s_waitcnt vmcnt(0) lgkmcnt(0)
	v_fmac_f32_e32 v128, v130, v131
	s_andn2_b64 exec, exec, s[4:5]
	s_cbranch_execnz .LBB117_213
; %bb.214:
	s_or_b64 exec, exec, s[4:5]
.LBB117_215:
	s_or_b64 exec, exec, s[12:13]
	v_mov_b32_e32 v127, 0
	ds_read_b32 v127, v127 offset:124
	s_waitcnt lgkmcnt(0)
	v_mul_f32_e32 v127, v128, v127
	buffer_store_dword v127, off, s[0:3], 0 offset:124
.LBB117_216:
	s_or_b64 exec, exec, s[10:11]
	buffer_load_dword v127, off, s[0:3], 0 offset:120
	v_cmp_lt_u32_e64 s[4:5], 30, v0
	s_waitcnt vmcnt(0)
	ds_write_b32 v110, v127
	s_waitcnt lgkmcnt(0)
	; wave barrier
	s_waitcnt lgkmcnt(0)
	s_and_saveexec_b64 s[10:11], s[4:5]
	s_cbranch_execz .LBB117_226
; %bb.217:
	s_andn2_b64 vcc, exec, s[8:9]
	s_cbranch_vccnz .LBB117_219
; %bb.218:
	buffer_load_dword v127, v111, s[0:3], 0 offen
	ds_read_b32 v128, v110
	s_waitcnt vmcnt(0) lgkmcnt(0)
	v_mul_f32_e32 v127, v127, v128
	s_cbranch_execz .LBB117_220
	s_branch .LBB117_221
.LBB117_219:
                                        ; implicit-def: $vgpr127
.LBB117_220:
	ds_read_b32 v127, v110
.LBB117_221:
	s_and_saveexec_b64 s[12:13], s[6:7]
	s_cbranch_execz .LBB117_225
; %bb.222:
	v_mov_b32_e32 v128, 0
	v_add_u32_e32 v128, 0x7c, v128
	v_subrev_u32_e32 v129, 31, v0
	s_movk_i32 s14, 0x15c
	s_mov_b64 s[6:7], 0
.LBB117_223:                            ; =>This Inner Loop Header: Depth=1
	buffer_load_dword v130, v128, s[0:3], 0 offen
	v_mov_b32_e32 v131, s14
	ds_read_b32 v131, v131
	v_add_u32_e32 v129, -1, v129
	s_add_i32 s14, s14, 4
	v_cmp_eq_u32_e32 vcc, 0, v129
	v_add_u32_e32 v128, 4, v128
	s_or_b64 s[6:7], vcc, s[6:7]
	s_waitcnt vmcnt(0) lgkmcnt(0)
	v_fmac_f32_e32 v127, v130, v131
	s_andn2_b64 exec, exec, s[6:7]
	s_cbranch_execnz .LBB117_223
; %bb.224:
	s_or_b64 exec, exec, s[6:7]
.LBB117_225:
	s_or_b64 exec, exec, s[12:13]
	v_mov_b32_e32 v128, 0
	ds_read_b32 v128, v128 offset:120
	s_waitcnt lgkmcnt(0)
	v_mul_f32_e32 v127, v127, v128
	buffer_store_dword v127, off, s[0:3], 0 offset:120
.LBB117_226:
	s_or_b64 exec, exec, s[10:11]
	buffer_load_dword v127, off, s[0:3], 0 offset:116
	v_cmp_lt_u32_e64 s[6:7], 29, v0
	s_waitcnt vmcnt(0)
	ds_write_b32 v110, v127
	s_waitcnt lgkmcnt(0)
	; wave barrier
	s_waitcnt lgkmcnt(0)
	s_and_saveexec_b64 s[10:11], s[6:7]
	s_cbranch_execz .LBB117_236
; %bb.227:
	s_andn2_b64 vcc, exec, s[8:9]
	s_cbranch_vccnz .LBB117_229
; %bb.228:
	buffer_load_dword v127, v111, s[0:3], 0 offen
	ds_read_b32 v128, v110
	s_waitcnt vmcnt(0) lgkmcnt(0)
	v_mul_f32_e32 v127, v127, v128
	s_cbranch_execz .LBB117_230
	s_branch .LBB117_231
.LBB117_229:
                                        ; implicit-def: $vgpr127
.LBB117_230:
	ds_read_b32 v127, v110
.LBB117_231:
	s_and_saveexec_b64 s[12:13], s[4:5]
	s_cbranch_execz .LBB117_235
; %bb.232:
	v_subrev_u32_e32 v128, 30, v0
	s_movk_i32 s14, 0x158
	s_mov_b64 s[4:5], 0
.LBB117_233:                            ; =>This Inner Loop Header: Depth=1
	buffer_load_dword v129, v126, s[0:3], 0 offen
	v_mov_b32_e32 v130, s14
	ds_read_b32 v130, v130
	v_add_u32_e32 v128, -1, v128
	s_add_i32 s14, s14, 4
	v_cmp_eq_u32_e32 vcc, 0, v128
	v_add_u32_e32 v126, 4, v126
	s_or_b64 s[4:5], vcc, s[4:5]
	s_waitcnt vmcnt(0) lgkmcnt(0)
	v_fmac_f32_e32 v127, v129, v130
	s_andn2_b64 exec, exec, s[4:5]
	s_cbranch_execnz .LBB117_233
; %bb.234:
	s_or_b64 exec, exec, s[4:5]
.LBB117_235:
	s_or_b64 exec, exec, s[12:13]
	v_mov_b32_e32 v126, 0
	ds_read_b32 v126, v126 offset:116
	s_waitcnt lgkmcnt(0)
	v_mul_f32_e32 v126, v127, v126
	buffer_store_dword v126, off, s[0:3], 0 offset:116
.LBB117_236:
	s_or_b64 exec, exec, s[10:11]
	buffer_load_dword v126, off, s[0:3], 0 offset:112
	v_cmp_lt_u32_e64 s[4:5], 28, v0
	s_waitcnt vmcnt(0)
	ds_write_b32 v110, v126
	s_waitcnt lgkmcnt(0)
	; wave barrier
	s_waitcnt lgkmcnt(0)
	s_and_saveexec_b64 s[10:11], s[4:5]
	s_cbranch_execz .LBB117_246
; %bb.237:
	s_andn2_b64 vcc, exec, s[8:9]
	s_cbranch_vccnz .LBB117_239
; %bb.238:
	buffer_load_dword v126, v111, s[0:3], 0 offen
	ds_read_b32 v127, v110
	s_waitcnt vmcnt(0) lgkmcnt(0)
	v_mul_f32_e32 v126, v126, v127
	s_cbranch_execz .LBB117_240
	s_branch .LBB117_241
.LBB117_239:
                                        ; implicit-def: $vgpr126
.LBB117_240:
	ds_read_b32 v126, v110
.LBB117_241:
	s_and_saveexec_b64 s[12:13], s[6:7]
	s_cbranch_execz .LBB117_245
; %bb.242:
	v_mov_b32_e32 v127, 0
	v_add_u32_e32 v127, 0x74, v127
	v_subrev_u32_e32 v128, 29, v0
	s_movk_i32 s14, 0x154
	s_mov_b64 s[6:7], 0
.LBB117_243:                            ; =>This Inner Loop Header: Depth=1
	buffer_load_dword v129, v127, s[0:3], 0 offen
	v_mov_b32_e32 v130, s14
	ds_read_b32 v130, v130
	v_add_u32_e32 v128, -1, v128
	s_add_i32 s14, s14, 4
	v_cmp_eq_u32_e32 vcc, 0, v128
	v_add_u32_e32 v127, 4, v127
	s_or_b64 s[6:7], vcc, s[6:7]
	s_waitcnt vmcnt(0) lgkmcnt(0)
	v_fmac_f32_e32 v126, v129, v130
	s_andn2_b64 exec, exec, s[6:7]
	s_cbranch_execnz .LBB117_243
; %bb.244:
	s_or_b64 exec, exec, s[6:7]
.LBB117_245:
	s_or_b64 exec, exec, s[12:13]
	v_mov_b32_e32 v127, 0
	ds_read_b32 v127, v127 offset:112
	s_waitcnt lgkmcnt(0)
	v_mul_f32_e32 v126, v126, v127
	buffer_store_dword v126, off, s[0:3], 0 offset:112
.LBB117_246:
	s_or_b64 exec, exec, s[10:11]
	buffer_load_dword v126, off, s[0:3], 0 offset:108
	v_cmp_lt_u32_e64 s[6:7], 27, v0
	s_waitcnt vmcnt(0)
	ds_write_b32 v110, v126
	s_waitcnt lgkmcnt(0)
	; wave barrier
	s_waitcnt lgkmcnt(0)
	s_and_saveexec_b64 s[10:11], s[6:7]
	s_cbranch_execz .LBB117_256
; %bb.247:
	s_andn2_b64 vcc, exec, s[8:9]
	s_cbranch_vccnz .LBB117_249
; %bb.248:
	buffer_load_dword v126, v111, s[0:3], 0 offen
	ds_read_b32 v127, v110
	s_waitcnt vmcnt(0) lgkmcnt(0)
	v_mul_f32_e32 v126, v126, v127
	s_cbranch_execz .LBB117_250
	s_branch .LBB117_251
.LBB117_249:
                                        ; implicit-def: $vgpr126
.LBB117_250:
	ds_read_b32 v126, v110
.LBB117_251:
	s_and_saveexec_b64 s[12:13], s[4:5]
	s_cbranch_execz .LBB117_255
; %bb.252:
	v_subrev_u32_e32 v127, 28, v0
	s_movk_i32 s14, 0x150
	s_mov_b64 s[4:5], 0
.LBB117_253:                            ; =>This Inner Loop Header: Depth=1
	buffer_load_dword v128, v125, s[0:3], 0 offen
	v_mov_b32_e32 v129, s14
	ds_read_b32 v129, v129
	v_add_u32_e32 v127, -1, v127
	s_add_i32 s14, s14, 4
	v_cmp_eq_u32_e32 vcc, 0, v127
	v_add_u32_e32 v125, 4, v125
	s_or_b64 s[4:5], vcc, s[4:5]
	s_waitcnt vmcnt(0) lgkmcnt(0)
	v_fmac_f32_e32 v126, v128, v129
	s_andn2_b64 exec, exec, s[4:5]
	s_cbranch_execnz .LBB117_253
; %bb.254:
	s_or_b64 exec, exec, s[4:5]
.LBB117_255:
	s_or_b64 exec, exec, s[12:13]
	v_mov_b32_e32 v125, 0
	ds_read_b32 v125, v125 offset:108
	s_waitcnt lgkmcnt(0)
	v_mul_f32_e32 v125, v126, v125
	buffer_store_dword v125, off, s[0:3], 0 offset:108
.LBB117_256:
	s_or_b64 exec, exec, s[10:11]
	buffer_load_dword v125, off, s[0:3], 0 offset:104
	v_cmp_lt_u32_e64 s[4:5], 26, v0
	s_waitcnt vmcnt(0)
	ds_write_b32 v110, v125
	s_waitcnt lgkmcnt(0)
	; wave barrier
	s_waitcnt lgkmcnt(0)
	s_and_saveexec_b64 s[10:11], s[4:5]
	s_cbranch_execz .LBB117_266
; %bb.257:
	s_andn2_b64 vcc, exec, s[8:9]
	s_cbranch_vccnz .LBB117_259
; %bb.258:
	buffer_load_dword v125, v111, s[0:3], 0 offen
	ds_read_b32 v126, v110
	s_waitcnt vmcnt(0) lgkmcnt(0)
	v_mul_f32_e32 v125, v125, v126
	s_cbranch_execz .LBB117_260
	s_branch .LBB117_261
.LBB117_259:
                                        ; implicit-def: $vgpr125
.LBB117_260:
	ds_read_b32 v125, v110
.LBB117_261:
	s_and_saveexec_b64 s[12:13], s[6:7]
	s_cbranch_execz .LBB117_265
; %bb.262:
	v_mov_b32_e32 v126, 0
	v_add_u32_e32 v126, 0x6c, v126
	v_subrev_u32_e32 v127, 27, v0
	s_movk_i32 s14, 0x14c
	s_mov_b64 s[6:7], 0
.LBB117_263:                            ; =>This Inner Loop Header: Depth=1
	buffer_load_dword v128, v126, s[0:3], 0 offen
	v_mov_b32_e32 v129, s14
	ds_read_b32 v129, v129
	v_add_u32_e32 v127, -1, v127
	s_add_i32 s14, s14, 4
	v_cmp_eq_u32_e32 vcc, 0, v127
	v_add_u32_e32 v126, 4, v126
	s_or_b64 s[6:7], vcc, s[6:7]
	s_waitcnt vmcnt(0) lgkmcnt(0)
	v_fmac_f32_e32 v125, v128, v129
	s_andn2_b64 exec, exec, s[6:7]
	s_cbranch_execnz .LBB117_263
; %bb.264:
	s_or_b64 exec, exec, s[6:7]
.LBB117_265:
	s_or_b64 exec, exec, s[12:13]
	v_mov_b32_e32 v126, 0
	ds_read_b32 v126, v126 offset:104
	s_waitcnt lgkmcnt(0)
	v_mul_f32_e32 v125, v125, v126
	buffer_store_dword v125, off, s[0:3], 0 offset:104
.LBB117_266:
	s_or_b64 exec, exec, s[10:11]
	buffer_load_dword v125, off, s[0:3], 0 offset:100
	v_cmp_lt_u32_e64 s[6:7], 25, v0
	s_waitcnt vmcnt(0)
	ds_write_b32 v110, v125
	s_waitcnt lgkmcnt(0)
	; wave barrier
	s_waitcnt lgkmcnt(0)
	s_and_saveexec_b64 s[10:11], s[6:7]
	s_cbranch_execz .LBB117_276
; %bb.267:
	s_andn2_b64 vcc, exec, s[8:9]
	s_cbranch_vccnz .LBB117_269
; %bb.268:
	buffer_load_dword v125, v111, s[0:3], 0 offen
	ds_read_b32 v126, v110
	s_waitcnt vmcnt(0) lgkmcnt(0)
	v_mul_f32_e32 v125, v125, v126
	s_cbranch_execz .LBB117_270
	s_branch .LBB117_271
.LBB117_269:
                                        ; implicit-def: $vgpr125
.LBB117_270:
	ds_read_b32 v125, v110
.LBB117_271:
	s_and_saveexec_b64 s[12:13], s[4:5]
	s_cbranch_execz .LBB117_275
; %bb.272:
	v_subrev_u32_e32 v126, 26, v0
	s_movk_i32 s14, 0x148
	s_mov_b64 s[4:5], 0
.LBB117_273:                            ; =>This Inner Loop Header: Depth=1
	buffer_load_dword v127, v124, s[0:3], 0 offen
	v_mov_b32_e32 v128, s14
	ds_read_b32 v128, v128
	v_add_u32_e32 v126, -1, v126
	s_add_i32 s14, s14, 4
	v_cmp_eq_u32_e32 vcc, 0, v126
	v_add_u32_e32 v124, 4, v124
	s_or_b64 s[4:5], vcc, s[4:5]
	s_waitcnt vmcnt(0) lgkmcnt(0)
	v_fmac_f32_e32 v125, v127, v128
	s_andn2_b64 exec, exec, s[4:5]
	s_cbranch_execnz .LBB117_273
; %bb.274:
	s_or_b64 exec, exec, s[4:5]
.LBB117_275:
	s_or_b64 exec, exec, s[12:13]
	v_mov_b32_e32 v124, 0
	ds_read_b32 v124, v124 offset:100
	s_waitcnt lgkmcnt(0)
	v_mul_f32_e32 v124, v125, v124
	buffer_store_dword v124, off, s[0:3], 0 offset:100
.LBB117_276:
	s_or_b64 exec, exec, s[10:11]
	buffer_load_dword v124, off, s[0:3], 0 offset:96
	v_cmp_lt_u32_e64 s[4:5], 24, v0
	s_waitcnt vmcnt(0)
	ds_write_b32 v110, v124
	s_waitcnt lgkmcnt(0)
	; wave barrier
	s_waitcnt lgkmcnt(0)
	s_and_saveexec_b64 s[10:11], s[4:5]
	s_cbranch_execz .LBB117_286
; %bb.277:
	s_andn2_b64 vcc, exec, s[8:9]
	s_cbranch_vccnz .LBB117_279
; %bb.278:
	buffer_load_dword v124, v111, s[0:3], 0 offen
	ds_read_b32 v125, v110
	s_waitcnt vmcnt(0) lgkmcnt(0)
	v_mul_f32_e32 v124, v124, v125
	s_cbranch_execz .LBB117_280
	s_branch .LBB117_281
.LBB117_279:
                                        ; implicit-def: $vgpr124
.LBB117_280:
	ds_read_b32 v124, v110
.LBB117_281:
	s_and_saveexec_b64 s[12:13], s[6:7]
	s_cbranch_execz .LBB117_285
; %bb.282:
	v_mov_b32_e32 v125, 0
	v_add_u32_e32 v125, 0x64, v125
	v_subrev_u32_e32 v126, 25, v0
	s_movk_i32 s14, 0x144
	s_mov_b64 s[6:7], 0
.LBB117_283:                            ; =>This Inner Loop Header: Depth=1
	buffer_load_dword v127, v125, s[0:3], 0 offen
	v_mov_b32_e32 v128, s14
	ds_read_b32 v128, v128
	v_add_u32_e32 v126, -1, v126
	s_add_i32 s14, s14, 4
	v_cmp_eq_u32_e32 vcc, 0, v126
	v_add_u32_e32 v125, 4, v125
	s_or_b64 s[6:7], vcc, s[6:7]
	s_waitcnt vmcnt(0) lgkmcnt(0)
	v_fmac_f32_e32 v124, v127, v128
	s_andn2_b64 exec, exec, s[6:7]
	s_cbranch_execnz .LBB117_283
; %bb.284:
	s_or_b64 exec, exec, s[6:7]
.LBB117_285:
	s_or_b64 exec, exec, s[12:13]
	v_mov_b32_e32 v125, 0
	ds_read_b32 v125, v125 offset:96
	s_waitcnt lgkmcnt(0)
	v_mul_f32_e32 v124, v124, v125
	buffer_store_dword v124, off, s[0:3], 0 offset:96
.LBB117_286:
	s_or_b64 exec, exec, s[10:11]
	buffer_load_dword v124, off, s[0:3], 0 offset:92
	v_cmp_lt_u32_e64 s[6:7], 23, v0
	s_waitcnt vmcnt(0)
	ds_write_b32 v110, v124
	s_waitcnt lgkmcnt(0)
	; wave barrier
	s_waitcnt lgkmcnt(0)
	s_and_saveexec_b64 s[10:11], s[6:7]
	s_cbranch_execz .LBB117_296
; %bb.287:
	s_andn2_b64 vcc, exec, s[8:9]
	s_cbranch_vccnz .LBB117_289
; %bb.288:
	buffer_load_dword v124, v111, s[0:3], 0 offen
	ds_read_b32 v125, v110
	s_waitcnt vmcnt(0) lgkmcnt(0)
	v_mul_f32_e32 v124, v124, v125
	s_cbranch_execz .LBB117_290
	s_branch .LBB117_291
.LBB117_289:
                                        ; implicit-def: $vgpr124
.LBB117_290:
	ds_read_b32 v124, v110
.LBB117_291:
	s_and_saveexec_b64 s[12:13], s[4:5]
	s_cbranch_execz .LBB117_295
; %bb.292:
	v_subrev_u32_e32 v125, 24, v0
	s_movk_i32 s14, 0x140
	s_mov_b64 s[4:5], 0
.LBB117_293:                            ; =>This Inner Loop Header: Depth=1
	buffer_load_dword v126, v123, s[0:3], 0 offen
	v_mov_b32_e32 v127, s14
	ds_read_b32 v127, v127
	v_add_u32_e32 v125, -1, v125
	s_add_i32 s14, s14, 4
	v_cmp_eq_u32_e32 vcc, 0, v125
	v_add_u32_e32 v123, 4, v123
	s_or_b64 s[4:5], vcc, s[4:5]
	s_waitcnt vmcnt(0) lgkmcnt(0)
	v_fmac_f32_e32 v124, v126, v127
	s_andn2_b64 exec, exec, s[4:5]
	s_cbranch_execnz .LBB117_293
; %bb.294:
	s_or_b64 exec, exec, s[4:5]
.LBB117_295:
	s_or_b64 exec, exec, s[12:13]
	v_mov_b32_e32 v123, 0
	ds_read_b32 v123, v123 offset:92
	s_waitcnt lgkmcnt(0)
	v_mul_f32_e32 v123, v124, v123
	buffer_store_dword v123, off, s[0:3], 0 offset:92
.LBB117_296:
	s_or_b64 exec, exec, s[10:11]
	buffer_load_dword v123, off, s[0:3], 0 offset:88
	v_cmp_lt_u32_e64 s[4:5], 22, v0
	s_waitcnt vmcnt(0)
	ds_write_b32 v110, v123
	s_waitcnt lgkmcnt(0)
	; wave barrier
	s_waitcnt lgkmcnt(0)
	s_and_saveexec_b64 s[10:11], s[4:5]
	s_cbranch_execz .LBB117_306
; %bb.297:
	s_andn2_b64 vcc, exec, s[8:9]
	s_cbranch_vccnz .LBB117_299
; %bb.298:
	buffer_load_dword v123, v111, s[0:3], 0 offen
	ds_read_b32 v124, v110
	s_waitcnt vmcnt(0) lgkmcnt(0)
	v_mul_f32_e32 v123, v123, v124
	s_cbranch_execz .LBB117_300
	s_branch .LBB117_301
.LBB117_299:
                                        ; implicit-def: $vgpr123
.LBB117_300:
	ds_read_b32 v123, v110
.LBB117_301:
	s_and_saveexec_b64 s[12:13], s[6:7]
	s_cbranch_execz .LBB117_305
; %bb.302:
	v_mov_b32_e32 v124, 0
	v_add_u32_e32 v124, 0x5c, v124
	v_subrev_u32_e32 v125, 23, v0
	s_movk_i32 s14, 0x13c
	s_mov_b64 s[6:7], 0
.LBB117_303:                            ; =>This Inner Loop Header: Depth=1
	buffer_load_dword v126, v124, s[0:3], 0 offen
	v_mov_b32_e32 v127, s14
	ds_read_b32 v127, v127
	v_add_u32_e32 v125, -1, v125
	s_add_i32 s14, s14, 4
	v_cmp_eq_u32_e32 vcc, 0, v125
	v_add_u32_e32 v124, 4, v124
	s_or_b64 s[6:7], vcc, s[6:7]
	s_waitcnt vmcnt(0) lgkmcnt(0)
	v_fmac_f32_e32 v123, v126, v127
	s_andn2_b64 exec, exec, s[6:7]
	s_cbranch_execnz .LBB117_303
; %bb.304:
	s_or_b64 exec, exec, s[6:7]
.LBB117_305:
	s_or_b64 exec, exec, s[12:13]
	v_mov_b32_e32 v124, 0
	ds_read_b32 v124, v124 offset:88
	s_waitcnt lgkmcnt(0)
	v_mul_f32_e32 v123, v123, v124
	buffer_store_dword v123, off, s[0:3], 0 offset:88
.LBB117_306:
	s_or_b64 exec, exec, s[10:11]
	buffer_load_dword v123, off, s[0:3], 0 offset:84
	v_cmp_lt_u32_e64 s[6:7], 21, v0
	s_waitcnt vmcnt(0)
	ds_write_b32 v110, v123
	s_waitcnt lgkmcnt(0)
	; wave barrier
	s_waitcnt lgkmcnt(0)
	s_and_saveexec_b64 s[10:11], s[6:7]
	s_cbranch_execz .LBB117_316
; %bb.307:
	s_andn2_b64 vcc, exec, s[8:9]
	s_cbranch_vccnz .LBB117_309
; %bb.308:
	buffer_load_dword v123, v111, s[0:3], 0 offen
	ds_read_b32 v124, v110
	s_waitcnt vmcnt(0) lgkmcnt(0)
	v_mul_f32_e32 v123, v123, v124
	s_cbranch_execz .LBB117_310
	s_branch .LBB117_311
.LBB117_309:
                                        ; implicit-def: $vgpr123
.LBB117_310:
	ds_read_b32 v123, v110
.LBB117_311:
	s_and_saveexec_b64 s[12:13], s[4:5]
	s_cbranch_execz .LBB117_315
; %bb.312:
	v_subrev_u32_e32 v124, 22, v0
	s_movk_i32 s14, 0x138
	s_mov_b64 s[4:5], 0
.LBB117_313:                            ; =>This Inner Loop Header: Depth=1
	buffer_load_dword v125, v122, s[0:3], 0 offen
	v_mov_b32_e32 v126, s14
	ds_read_b32 v126, v126
	v_add_u32_e32 v124, -1, v124
	s_add_i32 s14, s14, 4
	v_cmp_eq_u32_e32 vcc, 0, v124
	v_add_u32_e32 v122, 4, v122
	s_or_b64 s[4:5], vcc, s[4:5]
	s_waitcnt vmcnt(0) lgkmcnt(0)
	v_fmac_f32_e32 v123, v125, v126
	s_andn2_b64 exec, exec, s[4:5]
	s_cbranch_execnz .LBB117_313
; %bb.314:
	s_or_b64 exec, exec, s[4:5]
.LBB117_315:
	s_or_b64 exec, exec, s[12:13]
	v_mov_b32_e32 v122, 0
	ds_read_b32 v122, v122 offset:84
	s_waitcnt lgkmcnt(0)
	v_mul_f32_e32 v122, v123, v122
	buffer_store_dword v122, off, s[0:3], 0 offset:84
.LBB117_316:
	s_or_b64 exec, exec, s[10:11]
	buffer_load_dword v122, off, s[0:3], 0 offset:80
	v_cmp_lt_u32_e64 s[4:5], 20, v0
	s_waitcnt vmcnt(0)
	ds_write_b32 v110, v122
	s_waitcnt lgkmcnt(0)
	; wave barrier
	s_waitcnt lgkmcnt(0)
	s_and_saveexec_b64 s[10:11], s[4:5]
	s_cbranch_execz .LBB117_326
; %bb.317:
	s_andn2_b64 vcc, exec, s[8:9]
	s_cbranch_vccnz .LBB117_319
; %bb.318:
	buffer_load_dword v122, v111, s[0:3], 0 offen
	ds_read_b32 v123, v110
	s_waitcnt vmcnt(0) lgkmcnt(0)
	v_mul_f32_e32 v122, v122, v123
	s_cbranch_execz .LBB117_320
	s_branch .LBB117_321
.LBB117_319:
                                        ; implicit-def: $vgpr122
.LBB117_320:
	ds_read_b32 v122, v110
.LBB117_321:
	s_and_saveexec_b64 s[12:13], s[6:7]
	s_cbranch_execz .LBB117_325
; %bb.322:
	v_mov_b32_e32 v123, 0
	v_add_u32_e32 v123, 0x54, v123
	v_subrev_u32_e32 v124, 21, v0
	s_movk_i32 s14, 0x134
	s_mov_b64 s[6:7], 0
.LBB117_323:                            ; =>This Inner Loop Header: Depth=1
	buffer_load_dword v125, v123, s[0:3], 0 offen
	v_mov_b32_e32 v126, s14
	ds_read_b32 v126, v126
	v_add_u32_e32 v124, -1, v124
	s_add_i32 s14, s14, 4
	v_cmp_eq_u32_e32 vcc, 0, v124
	v_add_u32_e32 v123, 4, v123
	s_or_b64 s[6:7], vcc, s[6:7]
	s_waitcnt vmcnt(0) lgkmcnt(0)
	v_fmac_f32_e32 v122, v125, v126
	s_andn2_b64 exec, exec, s[6:7]
	s_cbranch_execnz .LBB117_323
; %bb.324:
	s_or_b64 exec, exec, s[6:7]
.LBB117_325:
	s_or_b64 exec, exec, s[12:13]
	v_mov_b32_e32 v123, 0
	ds_read_b32 v123, v123 offset:80
	s_waitcnt lgkmcnt(0)
	v_mul_f32_e32 v122, v122, v123
	buffer_store_dword v122, off, s[0:3], 0 offset:80
.LBB117_326:
	s_or_b64 exec, exec, s[10:11]
	buffer_load_dword v122, off, s[0:3], 0 offset:76
	v_cmp_lt_u32_e64 s[6:7], 19, v0
	s_waitcnt vmcnt(0)
	ds_write_b32 v110, v122
	s_waitcnt lgkmcnt(0)
	; wave barrier
	s_waitcnt lgkmcnt(0)
	s_and_saveexec_b64 s[10:11], s[6:7]
	s_cbranch_execz .LBB117_336
; %bb.327:
	s_andn2_b64 vcc, exec, s[8:9]
	s_cbranch_vccnz .LBB117_329
; %bb.328:
	buffer_load_dword v122, v111, s[0:3], 0 offen
	ds_read_b32 v123, v110
	s_waitcnt vmcnt(0) lgkmcnt(0)
	v_mul_f32_e32 v122, v122, v123
	s_cbranch_execz .LBB117_330
	s_branch .LBB117_331
.LBB117_329:
                                        ; implicit-def: $vgpr122
.LBB117_330:
	ds_read_b32 v122, v110
.LBB117_331:
	s_and_saveexec_b64 s[12:13], s[4:5]
	s_cbranch_execz .LBB117_335
; %bb.332:
	v_subrev_u32_e32 v123, 20, v0
	s_movk_i32 s14, 0x130
	s_mov_b64 s[4:5], 0
.LBB117_333:                            ; =>This Inner Loop Header: Depth=1
	buffer_load_dword v124, v121, s[0:3], 0 offen
	v_mov_b32_e32 v125, s14
	ds_read_b32 v125, v125
	v_add_u32_e32 v123, -1, v123
	s_add_i32 s14, s14, 4
	v_cmp_eq_u32_e32 vcc, 0, v123
	v_add_u32_e32 v121, 4, v121
	s_or_b64 s[4:5], vcc, s[4:5]
	s_waitcnt vmcnt(0) lgkmcnt(0)
	v_fmac_f32_e32 v122, v124, v125
	s_andn2_b64 exec, exec, s[4:5]
	s_cbranch_execnz .LBB117_333
; %bb.334:
	s_or_b64 exec, exec, s[4:5]
.LBB117_335:
	s_or_b64 exec, exec, s[12:13]
	v_mov_b32_e32 v121, 0
	ds_read_b32 v121, v121 offset:76
	s_waitcnt lgkmcnt(0)
	v_mul_f32_e32 v121, v122, v121
	buffer_store_dword v121, off, s[0:3], 0 offset:76
.LBB117_336:
	s_or_b64 exec, exec, s[10:11]
	buffer_load_dword v121, off, s[0:3], 0 offset:72
	v_cmp_lt_u32_e64 s[4:5], 18, v0
	s_waitcnt vmcnt(0)
	ds_write_b32 v110, v121
	s_waitcnt lgkmcnt(0)
	; wave barrier
	s_waitcnt lgkmcnt(0)
	s_and_saveexec_b64 s[10:11], s[4:5]
	s_cbranch_execz .LBB117_346
; %bb.337:
	s_andn2_b64 vcc, exec, s[8:9]
	s_cbranch_vccnz .LBB117_339
; %bb.338:
	buffer_load_dword v121, v111, s[0:3], 0 offen
	ds_read_b32 v122, v110
	s_waitcnt vmcnt(0) lgkmcnt(0)
	v_mul_f32_e32 v121, v121, v122
	s_cbranch_execz .LBB117_340
	s_branch .LBB117_341
.LBB117_339:
                                        ; implicit-def: $vgpr121
.LBB117_340:
	ds_read_b32 v121, v110
.LBB117_341:
	s_and_saveexec_b64 s[12:13], s[6:7]
	s_cbranch_execz .LBB117_345
; %bb.342:
	v_mov_b32_e32 v122, 0
	v_add_u32_e32 v122, 0x4c, v122
	v_subrev_u32_e32 v123, 19, v0
	s_movk_i32 s14, 0x12c
	s_mov_b64 s[6:7], 0
.LBB117_343:                            ; =>This Inner Loop Header: Depth=1
	buffer_load_dword v124, v122, s[0:3], 0 offen
	v_mov_b32_e32 v125, s14
	ds_read_b32 v125, v125
	v_add_u32_e32 v123, -1, v123
	s_add_i32 s14, s14, 4
	v_cmp_eq_u32_e32 vcc, 0, v123
	v_add_u32_e32 v122, 4, v122
	s_or_b64 s[6:7], vcc, s[6:7]
	s_waitcnt vmcnt(0) lgkmcnt(0)
	v_fmac_f32_e32 v121, v124, v125
	s_andn2_b64 exec, exec, s[6:7]
	s_cbranch_execnz .LBB117_343
; %bb.344:
	s_or_b64 exec, exec, s[6:7]
.LBB117_345:
	s_or_b64 exec, exec, s[12:13]
	v_mov_b32_e32 v122, 0
	ds_read_b32 v122, v122 offset:72
	s_waitcnt lgkmcnt(0)
	v_mul_f32_e32 v121, v121, v122
	buffer_store_dword v121, off, s[0:3], 0 offset:72
.LBB117_346:
	s_or_b64 exec, exec, s[10:11]
	buffer_load_dword v121, off, s[0:3], 0 offset:68
	v_cmp_lt_u32_e64 s[6:7], 17, v0
	s_waitcnt vmcnt(0)
	ds_write_b32 v110, v121
	s_waitcnt lgkmcnt(0)
	; wave barrier
	s_waitcnt lgkmcnt(0)
	s_and_saveexec_b64 s[10:11], s[6:7]
	s_cbranch_execz .LBB117_356
; %bb.347:
	s_andn2_b64 vcc, exec, s[8:9]
	s_cbranch_vccnz .LBB117_349
; %bb.348:
	buffer_load_dword v121, v111, s[0:3], 0 offen
	ds_read_b32 v122, v110
	s_waitcnt vmcnt(0) lgkmcnt(0)
	v_mul_f32_e32 v121, v121, v122
	s_cbranch_execz .LBB117_350
	s_branch .LBB117_351
.LBB117_349:
                                        ; implicit-def: $vgpr121
.LBB117_350:
	ds_read_b32 v121, v110
.LBB117_351:
	s_and_saveexec_b64 s[12:13], s[4:5]
	s_cbranch_execz .LBB117_355
; %bb.352:
	v_subrev_u32_e32 v122, 18, v0
	s_movk_i32 s14, 0x128
	s_mov_b64 s[4:5], 0
.LBB117_353:                            ; =>This Inner Loop Header: Depth=1
	buffer_load_dword v123, v120, s[0:3], 0 offen
	v_mov_b32_e32 v124, s14
	ds_read_b32 v124, v124
	v_add_u32_e32 v122, -1, v122
	s_add_i32 s14, s14, 4
	v_cmp_eq_u32_e32 vcc, 0, v122
	v_add_u32_e32 v120, 4, v120
	s_or_b64 s[4:5], vcc, s[4:5]
	s_waitcnt vmcnt(0) lgkmcnt(0)
	v_fmac_f32_e32 v121, v123, v124
	s_andn2_b64 exec, exec, s[4:5]
	s_cbranch_execnz .LBB117_353
; %bb.354:
	s_or_b64 exec, exec, s[4:5]
.LBB117_355:
	s_or_b64 exec, exec, s[12:13]
	v_mov_b32_e32 v120, 0
	ds_read_b32 v120, v120 offset:68
	s_waitcnt lgkmcnt(0)
	v_mul_f32_e32 v120, v121, v120
	buffer_store_dword v120, off, s[0:3], 0 offset:68
.LBB117_356:
	s_or_b64 exec, exec, s[10:11]
	buffer_load_dword v120, off, s[0:3], 0 offset:64
	v_cmp_lt_u32_e64 s[4:5], 16, v0
	s_waitcnt vmcnt(0)
	ds_write_b32 v110, v120
	s_waitcnt lgkmcnt(0)
	; wave barrier
	s_waitcnt lgkmcnt(0)
	s_and_saveexec_b64 s[10:11], s[4:5]
	s_cbranch_execz .LBB117_366
; %bb.357:
	s_andn2_b64 vcc, exec, s[8:9]
	s_cbranch_vccnz .LBB117_359
; %bb.358:
	buffer_load_dword v120, v111, s[0:3], 0 offen
	ds_read_b32 v121, v110
	s_waitcnt vmcnt(0) lgkmcnt(0)
	v_mul_f32_e32 v120, v120, v121
	s_cbranch_execz .LBB117_360
	s_branch .LBB117_361
.LBB117_359:
                                        ; implicit-def: $vgpr120
.LBB117_360:
	ds_read_b32 v120, v110
.LBB117_361:
	s_and_saveexec_b64 s[12:13], s[6:7]
	s_cbranch_execz .LBB117_365
; %bb.362:
	v_mov_b32_e32 v121, 0
	v_add_u32_e32 v121, 0x44, v121
	v_subrev_u32_e32 v122, 17, v0
	s_movk_i32 s14, 0x124
	s_mov_b64 s[6:7], 0
.LBB117_363:                            ; =>This Inner Loop Header: Depth=1
	buffer_load_dword v123, v121, s[0:3], 0 offen
	v_mov_b32_e32 v124, s14
	ds_read_b32 v124, v124
	v_add_u32_e32 v122, -1, v122
	s_add_i32 s14, s14, 4
	v_cmp_eq_u32_e32 vcc, 0, v122
	v_add_u32_e32 v121, 4, v121
	s_or_b64 s[6:7], vcc, s[6:7]
	s_waitcnt vmcnt(0) lgkmcnt(0)
	v_fmac_f32_e32 v120, v123, v124
	s_andn2_b64 exec, exec, s[6:7]
	s_cbranch_execnz .LBB117_363
; %bb.364:
	s_or_b64 exec, exec, s[6:7]
.LBB117_365:
	s_or_b64 exec, exec, s[12:13]
	v_mov_b32_e32 v121, 0
	ds_read_b32 v121, v121 offset:64
	s_waitcnt lgkmcnt(0)
	v_mul_f32_e32 v120, v120, v121
	buffer_store_dword v120, off, s[0:3], 0 offset:64
.LBB117_366:
	s_or_b64 exec, exec, s[10:11]
	buffer_load_dword v120, off, s[0:3], 0 offset:60
	v_cmp_lt_u32_e64 s[6:7], 15, v0
	s_waitcnt vmcnt(0)
	ds_write_b32 v110, v120
	s_waitcnt lgkmcnt(0)
	; wave barrier
	s_waitcnt lgkmcnt(0)
	s_and_saveexec_b64 s[10:11], s[6:7]
	s_cbranch_execz .LBB117_376
; %bb.367:
	s_andn2_b64 vcc, exec, s[8:9]
	s_cbranch_vccnz .LBB117_369
; %bb.368:
	buffer_load_dword v120, v111, s[0:3], 0 offen
	ds_read_b32 v121, v110
	s_waitcnt vmcnt(0) lgkmcnt(0)
	v_mul_f32_e32 v120, v120, v121
	s_cbranch_execz .LBB117_370
	s_branch .LBB117_371
.LBB117_369:
                                        ; implicit-def: $vgpr120
.LBB117_370:
	ds_read_b32 v120, v110
.LBB117_371:
	s_and_saveexec_b64 s[12:13], s[4:5]
	s_cbranch_execz .LBB117_375
; %bb.372:
	v_add_u32_e32 v121, -16, v0
	s_movk_i32 s14, 0x120
	s_mov_b64 s[4:5], 0
.LBB117_373:                            ; =>This Inner Loop Header: Depth=1
	buffer_load_dword v122, v119, s[0:3], 0 offen
	v_mov_b32_e32 v123, s14
	ds_read_b32 v123, v123
	v_add_u32_e32 v121, -1, v121
	s_add_i32 s14, s14, 4
	v_cmp_eq_u32_e32 vcc, 0, v121
	v_add_u32_e32 v119, 4, v119
	s_or_b64 s[4:5], vcc, s[4:5]
	s_waitcnt vmcnt(0) lgkmcnt(0)
	v_fmac_f32_e32 v120, v122, v123
	s_andn2_b64 exec, exec, s[4:5]
	s_cbranch_execnz .LBB117_373
; %bb.374:
	s_or_b64 exec, exec, s[4:5]
.LBB117_375:
	s_or_b64 exec, exec, s[12:13]
	v_mov_b32_e32 v119, 0
	ds_read_b32 v119, v119 offset:60
	s_waitcnt lgkmcnt(0)
	v_mul_f32_e32 v119, v120, v119
	buffer_store_dword v119, off, s[0:3], 0 offset:60
.LBB117_376:
	s_or_b64 exec, exec, s[10:11]
	buffer_load_dword v119, off, s[0:3], 0 offset:56
	v_cmp_lt_u32_e64 s[4:5], 14, v0
	s_waitcnt vmcnt(0)
	ds_write_b32 v110, v119
	s_waitcnt lgkmcnt(0)
	; wave barrier
	s_waitcnt lgkmcnt(0)
	s_and_saveexec_b64 s[10:11], s[4:5]
	s_cbranch_execz .LBB117_386
; %bb.377:
	s_andn2_b64 vcc, exec, s[8:9]
	s_cbranch_vccnz .LBB117_379
; %bb.378:
	buffer_load_dword v119, v111, s[0:3], 0 offen
	ds_read_b32 v120, v110
	s_waitcnt vmcnt(0) lgkmcnt(0)
	v_mul_f32_e32 v119, v119, v120
	s_cbranch_execz .LBB117_380
	s_branch .LBB117_381
.LBB117_379:
                                        ; implicit-def: $vgpr119
.LBB117_380:
	ds_read_b32 v119, v110
.LBB117_381:
	s_and_saveexec_b64 s[12:13], s[6:7]
	s_cbranch_execz .LBB117_385
; %bb.382:
	v_mov_b32_e32 v120, 0
	v_add_u32_e32 v120, 60, v120
	v_add_u32_e32 v121, -15, v0
	s_movk_i32 s14, 0x11c
	s_mov_b64 s[6:7], 0
.LBB117_383:                            ; =>This Inner Loop Header: Depth=1
	buffer_load_dword v122, v120, s[0:3], 0 offen
	v_mov_b32_e32 v123, s14
	ds_read_b32 v123, v123
	v_add_u32_e32 v121, -1, v121
	s_add_i32 s14, s14, 4
	v_cmp_eq_u32_e32 vcc, 0, v121
	v_add_u32_e32 v120, 4, v120
	s_or_b64 s[6:7], vcc, s[6:7]
	s_waitcnt vmcnt(0) lgkmcnt(0)
	v_fmac_f32_e32 v119, v122, v123
	s_andn2_b64 exec, exec, s[6:7]
	s_cbranch_execnz .LBB117_383
; %bb.384:
	s_or_b64 exec, exec, s[6:7]
.LBB117_385:
	s_or_b64 exec, exec, s[12:13]
	v_mov_b32_e32 v120, 0
	ds_read_b32 v120, v120 offset:56
	s_waitcnt lgkmcnt(0)
	v_mul_f32_e32 v119, v119, v120
	buffer_store_dword v119, off, s[0:3], 0 offset:56
.LBB117_386:
	s_or_b64 exec, exec, s[10:11]
	buffer_load_dword v119, off, s[0:3], 0 offset:52
	v_cmp_lt_u32_e64 s[6:7], 13, v0
	s_waitcnt vmcnt(0)
	ds_write_b32 v110, v119
	s_waitcnt lgkmcnt(0)
	; wave barrier
	s_waitcnt lgkmcnt(0)
	s_and_saveexec_b64 s[10:11], s[6:7]
	s_cbranch_execz .LBB117_396
; %bb.387:
	s_andn2_b64 vcc, exec, s[8:9]
	s_cbranch_vccnz .LBB117_389
; %bb.388:
	buffer_load_dword v119, v111, s[0:3], 0 offen
	ds_read_b32 v120, v110
	s_waitcnt vmcnt(0) lgkmcnt(0)
	v_mul_f32_e32 v119, v119, v120
	s_cbranch_execz .LBB117_390
	s_branch .LBB117_391
.LBB117_389:
                                        ; implicit-def: $vgpr119
.LBB117_390:
	ds_read_b32 v119, v110
.LBB117_391:
	s_and_saveexec_b64 s[12:13], s[4:5]
	s_cbranch_execz .LBB117_395
; %bb.392:
	v_add_u32_e32 v120, -14, v0
	s_movk_i32 s14, 0x118
	s_mov_b64 s[4:5], 0
.LBB117_393:                            ; =>This Inner Loop Header: Depth=1
	buffer_load_dword v121, v118, s[0:3], 0 offen
	v_mov_b32_e32 v122, s14
	ds_read_b32 v122, v122
	v_add_u32_e32 v120, -1, v120
	s_add_i32 s14, s14, 4
	v_cmp_eq_u32_e32 vcc, 0, v120
	v_add_u32_e32 v118, 4, v118
	s_or_b64 s[4:5], vcc, s[4:5]
	s_waitcnt vmcnt(0) lgkmcnt(0)
	v_fmac_f32_e32 v119, v121, v122
	s_andn2_b64 exec, exec, s[4:5]
	s_cbranch_execnz .LBB117_393
; %bb.394:
	s_or_b64 exec, exec, s[4:5]
.LBB117_395:
	s_or_b64 exec, exec, s[12:13]
	v_mov_b32_e32 v118, 0
	ds_read_b32 v118, v118 offset:52
	s_waitcnt lgkmcnt(0)
	v_mul_f32_e32 v118, v119, v118
	buffer_store_dword v118, off, s[0:3], 0 offset:52
.LBB117_396:
	s_or_b64 exec, exec, s[10:11]
	buffer_load_dword v118, off, s[0:3], 0 offset:48
	v_cmp_lt_u32_e64 s[4:5], 12, v0
	s_waitcnt vmcnt(0)
	ds_write_b32 v110, v118
	s_waitcnt lgkmcnt(0)
	; wave barrier
	s_waitcnt lgkmcnt(0)
	s_and_saveexec_b64 s[10:11], s[4:5]
	s_cbranch_execz .LBB117_406
; %bb.397:
	s_andn2_b64 vcc, exec, s[8:9]
	s_cbranch_vccnz .LBB117_399
; %bb.398:
	buffer_load_dword v118, v111, s[0:3], 0 offen
	ds_read_b32 v119, v110
	s_waitcnt vmcnt(0) lgkmcnt(0)
	v_mul_f32_e32 v118, v118, v119
	s_cbranch_execz .LBB117_400
	s_branch .LBB117_401
.LBB117_399:
                                        ; implicit-def: $vgpr118
.LBB117_400:
	ds_read_b32 v118, v110
.LBB117_401:
	s_and_saveexec_b64 s[12:13], s[6:7]
	s_cbranch_execz .LBB117_405
; %bb.402:
	v_mov_b32_e32 v119, 0
	v_add_u32_e32 v119, 52, v119
	v_add_u32_e32 v120, -13, v0
	s_movk_i32 s14, 0x114
	s_mov_b64 s[6:7], 0
.LBB117_403:                            ; =>This Inner Loop Header: Depth=1
	buffer_load_dword v121, v119, s[0:3], 0 offen
	v_mov_b32_e32 v122, s14
	ds_read_b32 v122, v122
	v_add_u32_e32 v120, -1, v120
	s_add_i32 s14, s14, 4
	v_cmp_eq_u32_e32 vcc, 0, v120
	v_add_u32_e32 v119, 4, v119
	s_or_b64 s[6:7], vcc, s[6:7]
	s_waitcnt vmcnt(0) lgkmcnt(0)
	v_fmac_f32_e32 v118, v121, v122
	s_andn2_b64 exec, exec, s[6:7]
	s_cbranch_execnz .LBB117_403
; %bb.404:
	s_or_b64 exec, exec, s[6:7]
.LBB117_405:
	s_or_b64 exec, exec, s[12:13]
	v_mov_b32_e32 v119, 0
	ds_read_b32 v119, v119 offset:48
	s_waitcnt lgkmcnt(0)
	v_mul_f32_e32 v118, v118, v119
	buffer_store_dword v118, off, s[0:3], 0 offset:48
.LBB117_406:
	s_or_b64 exec, exec, s[10:11]
	buffer_load_dword v118, off, s[0:3], 0 offset:44
	v_cmp_lt_u32_e64 s[6:7], 11, v0
	s_waitcnt vmcnt(0)
	ds_write_b32 v110, v118
	s_waitcnt lgkmcnt(0)
	; wave barrier
	s_waitcnt lgkmcnt(0)
	s_and_saveexec_b64 s[10:11], s[6:7]
	s_cbranch_execz .LBB117_416
; %bb.407:
	s_andn2_b64 vcc, exec, s[8:9]
	s_cbranch_vccnz .LBB117_409
; %bb.408:
	buffer_load_dword v118, v111, s[0:3], 0 offen
	ds_read_b32 v119, v110
	s_waitcnt vmcnt(0) lgkmcnt(0)
	v_mul_f32_e32 v118, v118, v119
	s_cbranch_execz .LBB117_410
	s_branch .LBB117_411
.LBB117_409:
                                        ; implicit-def: $vgpr118
.LBB117_410:
	ds_read_b32 v118, v110
.LBB117_411:
	s_and_saveexec_b64 s[12:13], s[4:5]
	s_cbranch_execz .LBB117_415
; %bb.412:
	v_add_u32_e32 v119, -12, v0
	s_movk_i32 s14, 0x110
	s_mov_b64 s[4:5], 0
.LBB117_413:                            ; =>This Inner Loop Header: Depth=1
	buffer_load_dword v120, v117, s[0:3], 0 offen
	v_mov_b32_e32 v121, s14
	ds_read_b32 v121, v121
	v_add_u32_e32 v119, -1, v119
	s_add_i32 s14, s14, 4
	v_cmp_eq_u32_e32 vcc, 0, v119
	v_add_u32_e32 v117, 4, v117
	s_or_b64 s[4:5], vcc, s[4:5]
	s_waitcnt vmcnt(0) lgkmcnt(0)
	v_fmac_f32_e32 v118, v120, v121
	s_andn2_b64 exec, exec, s[4:5]
	s_cbranch_execnz .LBB117_413
; %bb.414:
	s_or_b64 exec, exec, s[4:5]
.LBB117_415:
	s_or_b64 exec, exec, s[12:13]
	v_mov_b32_e32 v117, 0
	ds_read_b32 v117, v117 offset:44
	s_waitcnt lgkmcnt(0)
	v_mul_f32_e32 v117, v118, v117
	buffer_store_dword v117, off, s[0:3], 0 offset:44
.LBB117_416:
	s_or_b64 exec, exec, s[10:11]
	buffer_load_dword v117, off, s[0:3], 0 offset:40
	v_cmp_lt_u32_e64 s[4:5], 10, v0
	s_waitcnt vmcnt(0)
	ds_write_b32 v110, v117
	s_waitcnt lgkmcnt(0)
	; wave barrier
	s_waitcnt lgkmcnt(0)
	s_and_saveexec_b64 s[10:11], s[4:5]
	s_cbranch_execz .LBB117_426
; %bb.417:
	s_andn2_b64 vcc, exec, s[8:9]
	s_cbranch_vccnz .LBB117_419
; %bb.418:
	buffer_load_dword v117, v111, s[0:3], 0 offen
	ds_read_b32 v118, v110
	s_waitcnt vmcnt(0) lgkmcnt(0)
	v_mul_f32_e32 v117, v117, v118
	s_cbranch_execz .LBB117_420
	s_branch .LBB117_421
.LBB117_419:
                                        ; implicit-def: $vgpr117
.LBB117_420:
	ds_read_b32 v117, v110
.LBB117_421:
	s_and_saveexec_b64 s[12:13], s[6:7]
	s_cbranch_execz .LBB117_425
; %bb.422:
	v_mov_b32_e32 v118, 0
	v_add_u32_e32 v118, 44, v118
	v_add_u32_e32 v119, -11, v0
	s_movk_i32 s14, 0x10c
	s_mov_b64 s[6:7], 0
.LBB117_423:                            ; =>This Inner Loop Header: Depth=1
	buffer_load_dword v120, v118, s[0:3], 0 offen
	v_mov_b32_e32 v121, s14
	ds_read_b32 v121, v121
	v_add_u32_e32 v119, -1, v119
	s_add_i32 s14, s14, 4
	v_cmp_eq_u32_e32 vcc, 0, v119
	v_add_u32_e32 v118, 4, v118
	s_or_b64 s[6:7], vcc, s[6:7]
	s_waitcnt vmcnt(0) lgkmcnt(0)
	v_fmac_f32_e32 v117, v120, v121
	s_andn2_b64 exec, exec, s[6:7]
	s_cbranch_execnz .LBB117_423
; %bb.424:
	s_or_b64 exec, exec, s[6:7]
.LBB117_425:
	s_or_b64 exec, exec, s[12:13]
	v_mov_b32_e32 v118, 0
	ds_read_b32 v118, v118 offset:40
	s_waitcnt lgkmcnt(0)
	v_mul_f32_e32 v117, v117, v118
	buffer_store_dword v117, off, s[0:3], 0 offset:40
.LBB117_426:
	s_or_b64 exec, exec, s[10:11]
	buffer_load_dword v117, off, s[0:3], 0 offset:36
	v_cmp_lt_u32_e64 s[6:7], 9, v0
	s_waitcnt vmcnt(0)
	ds_write_b32 v110, v117
	s_waitcnt lgkmcnt(0)
	; wave barrier
	s_waitcnt lgkmcnt(0)
	s_and_saveexec_b64 s[10:11], s[6:7]
	s_cbranch_execz .LBB117_436
; %bb.427:
	s_andn2_b64 vcc, exec, s[8:9]
	s_cbranch_vccnz .LBB117_429
; %bb.428:
	buffer_load_dword v117, v111, s[0:3], 0 offen
	ds_read_b32 v118, v110
	s_waitcnt vmcnt(0) lgkmcnt(0)
	v_mul_f32_e32 v117, v117, v118
	s_cbranch_execz .LBB117_430
	s_branch .LBB117_431
.LBB117_429:
                                        ; implicit-def: $vgpr117
.LBB117_430:
	ds_read_b32 v117, v110
.LBB117_431:
	s_and_saveexec_b64 s[12:13], s[4:5]
	s_cbranch_execz .LBB117_435
; %bb.432:
	v_add_u32_e32 v118, -10, v0
	s_movk_i32 s14, 0x108
	s_mov_b64 s[4:5], 0
.LBB117_433:                            ; =>This Inner Loop Header: Depth=1
	buffer_load_dword v119, v116, s[0:3], 0 offen
	v_mov_b32_e32 v120, s14
	ds_read_b32 v120, v120
	v_add_u32_e32 v118, -1, v118
	s_add_i32 s14, s14, 4
	v_cmp_eq_u32_e32 vcc, 0, v118
	v_add_u32_e32 v116, 4, v116
	s_or_b64 s[4:5], vcc, s[4:5]
	s_waitcnt vmcnt(0) lgkmcnt(0)
	v_fmac_f32_e32 v117, v119, v120
	s_andn2_b64 exec, exec, s[4:5]
	s_cbranch_execnz .LBB117_433
; %bb.434:
	s_or_b64 exec, exec, s[4:5]
.LBB117_435:
	s_or_b64 exec, exec, s[12:13]
	v_mov_b32_e32 v116, 0
	ds_read_b32 v116, v116 offset:36
	s_waitcnt lgkmcnt(0)
	v_mul_f32_e32 v116, v117, v116
	buffer_store_dword v116, off, s[0:3], 0 offset:36
.LBB117_436:
	s_or_b64 exec, exec, s[10:11]
	buffer_load_dword v116, off, s[0:3], 0 offset:32
	v_cmp_lt_u32_e64 s[4:5], 8, v0
	s_waitcnt vmcnt(0)
	ds_write_b32 v110, v116
	s_waitcnt lgkmcnt(0)
	; wave barrier
	s_waitcnt lgkmcnt(0)
	s_and_saveexec_b64 s[10:11], s[4:5]
	s_cbranch_execz .LBB117_446
; %bb.437:
	s_andn2_b64 vcc, exec, s[8:9]
	s_cbranch_vccnz .LBB117_439
; %bb.438:
	buffer_load_dword v116, v111, s[0:3], 0 offen
	ds_read_b32 v117, v110
	s_waitcnt vmcnt(0) lgkmcnt(0)
	v_mul_f32_e32 v116, v116, v117
	s_cbranch_execz .LBB117_440
	s_branch .LBB117_441
.LBB117_439:
                                        ; implicit-def: $vgpr116
.LBB117_440:
	ds_read_b32 v116, v110
.LBB117_441:
	s_and_saveexec_b64 s[12:13], s[6:7]
	s_cbranch_execz .LBB117_445
; %bb.442:
	v_mov_b32_e32 v117, 0
	v_add_u32_e32 v117, 36, v117
	v_add_u32_e32 v118, -9, v0
	s_movk_i32 s14, 0x104
	s_mov_b64 s[6:7], 0
.LBB117_443:                            ; =>This Inner Loop Header: Depth=1
	buffer_load_dword v119, v117, s[0:3], 0 offen
	v_mov_b32_e32 v120, s14
	ds_read_b32 v120, v120
	v_add_u32_e32 v118, -1, v118
	s_add_i32 s14, s14, 4
	v_cmp_eq_u32_e32 vcc, 0, v118
	v_add_u32_e32 v117, 4, v117
	s_or_b64 s[6:7], vcc, s[6:7]
	s_waitcnt vmcnt(0) lgkmcnt(0)
	v_fmac_f32_e32 v116, v119, v120
	s_andn2_b64 exec, exec, s[6:7]
	s_cbranch_execnz .LBB117_443
; %bb.444:
	s_or_b64 exec, exec, s[6:7]
.LBB117_445:
	s_or_b64 exec, exec, s[12:13]
	v_mov_b32_e32 v117, 0
	ds_read_b32 v117, v117 offset:32
	s_waitcnt lgkmcnt(0)
	v_mul_f32_e32 v116, v116, v117
	buffer_store_dword v116, off, s[0:3], 0 offset:32
.LBB117_446:
	s_or_b64 exec, exec, s[10:11]
	buffer_load_dword v116, off, s[0:3], 0 offset:28
	v_cmp_lt_u32_e64 s[6:7], 7, v0
	s_waitcnt vmcnt(0)
	ds_write_b32 v110, v116
	s_waitcnt lgkmcnt(0)
	; wave barrier
	s_waitcnt lgkmcnt(0)
	s_and_saveexec_b64 s[10:11], s[6:7]
	s_cbranch_execz .LBB117_456
; %bb.447:
	s_andn2_b64 vcc, exec, s[8:9]
	s_cbranch_vccnz .LBB117_449
; %bb.448:
	buffer_load_dword v116, v111, s[0:3], 0 offen
	ds_read_b32 v117, v110
	s_waitcnt vmcnt(0) lgkmcnt(0)
	v_mul_f32_e32 v116, v116, v117
	s_cbranch_execz .LBB117_450
	s_branch .LBB117_451
.LBB117_449:
                                        ; implicit-def: $vgpr116
.LBB117_450:
	ds_read_b32 v116, v110
.LBB117_451:
	s_and_saveexec_b64 s[12:13], s[4:5]
	s_cbranch_execz .LBB117_455
; %bb.452:
	v_add_u32_e32 v117, -8, v0
	s_movk_i32 s14, 0x100
	s_mov_b64 s[4:5], 0
.LBB117_453:                            ; =>This Inner Loop Header: Depth=1
	buffer_load_dword v118, v115, s[0:3], 0 offen
	v_mov_b32_e32 v119, s14
	ds_read_b32 v119, v119
	v_add_u32_e32 v117, -1, v117
	s_add_i32 s14, s14, 4
	v_cmp_eq_u32_e32 vcc, 0, v117
	v_add_u32_e32 v115, 4, v115
	s_or_b64 s[4:5], vcc, s[4:5]
	s_waitcnt vmcnt(0) lgkmcnt(0)
	v_fmac_f32_e32 v116, v118, v119
	s_andn2_b64 exec, exec, s[4:5]
	s_cbranch_execnz .LBB117_453
; %bb.454:
	s_or_b64 exec, exec, s[4:5]
.LBB117_455:
	s_or_b64 exec, exec, s[12:13]
	v_mov_b32_e32 v115, 0
	ds_read_b32 v115, v115 offset:28
	s_waitcnt lgkmcnt(0)
	v_mul_f32_e32 v115, v116, v115
	buffer_store_dword v115, off, s[0:3], 0 offset:28
.LBB117_456:
	s_or_b64 exec, exec, s[10:11]
	buffer_load_dword v115, off, s[0:3], 0 offset:24
	v_cmp_lt_u32_e64 s[4:5], 6, v0
	s_waitcnt vmcnt(0)
	ds_write_b32 v110, v115
	s_waitcnt lgkmcnt(0)
	; wave barrier
	s_waitcnt lgkmcnt(0)
	s_and_saveexec_b64 s[10:11], s[4:5]
	s_cbranch_execz .LBB117_466
; %bb.457:
	s_andn2_b64 vcc, exec, s[8:9]
	s_cbranch_vccnz .LBB117_459
; %bb.458:
	buffer_load_dword v115, v111, s[0:3], 0 offen
	ds_read_b32 v116, v110
	s_waitcnt vmcnt(0) lgkmcnt(0)
	v_mul_f32_e32 v115, v115, v116
	s_cbranch_execz .LBB117_460
	s_branch .LBB117_461
.LBB117_459:
                                        ; implicit-def: $vgpr115
.LBB117_460:
	ds_read_b32 v115, v110
.LBB117_461:
	s_and_saveexec_b64 s[12:13], s[6:7]
	s_cbranch_execz .LBB117_465
; %bb.462:
	v_mov_b32_e32 v116, 0
	v_add_u32_e32 v116, 28, v116
	v_add_u32_e32 v117, -7, v0
	s_movk_i32 s14, 0xfc
	s_mov_b64 s[6:7], 0
.LBB117_463:                            ; =>This Inner Loop Header: Depth=1
	buffer_load_dword v118, v116, s[0:3], 0 offen
	v_mov_b32_e32 v119, s14
	ds_read_b32 v119, v119
	v_add_u32_e32 v117, -1, v117
	s_add_i32 s14, s14, 4
	v_cmp_eq_u32_e32 vcc, 0, v117
	v_add_u32_e32 v116, 4, v116
	s_or_b64 s[6:7], vcc, s[6:7]
	s_waitcnt vmcnt(0) lgkmcnt(0)
	v_fmac_f32_e32 v115, v118, v119
	s_andn2_b64 exec, exec, s[6:7]
	s_cbranch_execnz .LBB117_463
; %bb.464:
	s_or_b64 exec, exec, s[6:7]
.LBB117_465:
	s_or_b64 exec, exec, s[12:13]
	v_mov_b32_e32 v116, 0
	ds_read_b32 v116, v116 offset:24
	s_waitcnt lgkmcnt(0)
	v_mul_f32_e32 v115, v115, v116
	buffer_store_dword v115, off, s[0:3], 0 offset:24
.LBB117_466:
	s_or_b64 exec, exec, s[10:11]
	buffer_load_dword v115, off, s[0:3], 0 offset:20
	v_cmp_lt_u32_e64 s[6:7], 5, v0
	s_waitcnt vmcnt(0)
	ds_write_b32 v110, v115
	s_waitcnt lgkmcnt(0)
	; wave barrier
	s_waitcnt lgkmcnt(0)
	s_and_saveexec_b64 s[10:11], s[6:7]
	s_cbranch_execz .LBB117_476
; %bb.467:
	s_andn2_b64 vcc, exec, s[8:9]
	s_cbranch_vccnz .LBB117_469
; %bb.468:
	buffer_load_dword v115, v111, s[0:3], 0 offen
	ds_read_b32 v116, v110
	s_waitcnt vmcnt(0) lgkmcnt(0)
	v_mul_f32_e32 v115, v115, v116
	s_cbranch_execz .LBB117_470
	s_branch .LBB117_471
.LBB117_469:
                                        ; implicit-def: $vgpr115
.LBB117_470:
	ds_read_b32 v115, v110
.LBB117_471:
	s_and_saveexec_b64 s[12:13], s[4:5]
	s_cbranch_execz .LBB117_475
; %bb.472:
	v_add_u32_e32 v116, -6, v0
	s_movk_i32 s14, 0xf8
	s_mov_b64 s[4:5], 0
.LBB117_473:                            ; =>This Inner Loop Header: Depth=1
	buffer_load_dword v117, v114, s[0:3], 0 offen
	v_mov_b32_e32 v118, s14
	ds_read_b32 v118, v118
	v_add_u32_e32 v116, -1, v116
	s_add_i32 s14, s14, 4
	v_cmp_eq_u32_e32 vcc, 0, v116
	v_add_u32_e32 v114, 4, v114
	s_or_b64 s[4:5], vcc, s[4:5]
	s_waitcnt vmcnt(0) lgkmcnt(0)
	v_fmac_f32_e32 v115, v117, v118
	s_andn2_b64 exec, exec, s[4:5]
	s_cbranch_execnz .LBB117_473
; %bb.474:
	s_or_b64 exec, exec, s[4:5]
.LBB117_475:
	s_or_b64 exec, exec, s[12:13]
	v_mov_b32_e32 v114, 0
	ds_read_b32 v114, v114 offset:20
	s_waitcnt lgkmcnt(0)
	v_mul_f32_e32 v114, v115, v114
	buffer_store_dword v114, off, s[0:3], 0 offset:20
.LBB117_476:
	s_or_b64 exec, exec, s[10:11]
	buffer_load_dword v114, off, s[0:3], 0 offset:16
	v_cmp_lt_u32_e64 s[4:5], 4, v0
	s_waitcnt vmcnt(0)
	ds_write_b32 v110, v114
	s_waitcnt lgkmcnt(0)
	; wave barrier
	s_waitcnt lgkmcnt(0)
	s_and_saveexec_b64 s[10:11], s[4:5]
	s_cbranch_execz .LBB117_486
; %bb.477:
	s_andn2_b64 vcc, exec, s[8:9]
	s_cbranch_vccnz .LBB117_479
; %bb.478:
	buffer_load_dword v114, v111, s[0:3], 0 offen
	ds_read_b32 v115, v110
	s_waitcnt vmcnt(0) lgkmcnt(0)
	v_mul_f32_e32 v114, v114, v115
	s_cbranch_execz .LBB117_480
	s_branch .LBB117_481
.LBB117_479:
                                        ; implicit-def: $vgpr114
.LBB117_480:
	ds_read_b32 v114, v110
.LBB117_481:
	s_and_saveexec_b64 s[12:13], s[6:7]
	s_cbranch_execz .LBB117_485
; %bb.482:
	v_mov_b32_e32 v115, 0
	v_add_u32_e32 v115, 20, v115
	v_add_u32_e32 v116, -5, v0
	s_movk_i32 s14, 0xf4
	s_mov_b64 s[6:7], 0
.LBB117_483:                            ; =>This Inner Loop Header: Depth=1
	buffer_load_dword v117, v115, s[0:3], 0 offen
	v_mov_b32_e32 v118, s14
	ds_read_b32 v118, v118
	v_add_u32_e32 v116, -1, v116
	s_add_i32 s14, s14, 4
	v_cmp_eq_u32_e32 vcc, 0, v116
	v_add_u32_e32 v115, 4, v115
	s_or_b64 s[6:7], vcc, s[6:7]
	s_waitcnt vmcnt(0) lgkmcnt(0)
	v_fmac_f32_e32 v114, v117, v118
	s_andn2_b64 exec, exec, s[6:7]
	s_cbranch_execnz .LBB117_483
; %bb.484:
	s_or_b64 exec, exec, s[6:7]
.LBB117_485:
	s_or_b64 exec, exec, s[12:13]
	v_mov_b32_e32 v115, 0
	ds_read_b32 v115, v115 offset:16
	s_waitcnt lgkmcnt(0)
	v_mul_f32_e32 v114, v114, v115
	buffer_store_dword v114, off, s[0:3], 0 offset:16
.LBB117_486:
	s_or_b64 exec, exec, s[10:11]
	buffer_load_dword v114, off, s[0:3], 0 offset:12
	v_cmp_lt_u32_e64 s[6:7], 3, v0
	s_waitcnt vmcnt(0)
	ds_write_b32 v110, v114
	s_waitcnt lgkmcnt(0)
	; wave barrier
	s_waitcnt lgkmcnt(0)
	s_and_saveexec_b64 s[10:11], s[6:7]
	s_cbranch_execz .LBB117_496
; %bb.487:
	s_andn2_b64 vcc, exec, s[8:9]
	s_cbranch_vccnz .LBB117_489
; %bb.488:
	buffer_load_dword v114, v111, s[0:3], 0 offen
	ds_read_b32 v115, v110
	s_waitcnt vmcnt(0) lgkmcnt(0)
	v_mul_f32_e32 v114, v114, v115
	s_cbranch_execz .LBB117_490
	s_branch .LBB117_491
.LBB117_489:
                                        ; implicit-def: $vgpr114
.LBB117_490:
	ds_read_b32 v114, v110
.LBB117_491:
	s_and_saveexec_b64 s[12:13], s[4:5]
	s_cbranch_execz .LBB117_495
; %bb.492:
	v_add_u32_e32 v115, -4, v0
	s_movk_i32 s14, 0xf0
	s_mov_b64 s[4:5], 0
.LBB117_493:                            ; =>This Inner Loop Header: Depth=1
	buffer_load_dword v116, v113, s[0:3], 0 offen
	v_mov_b32_e32 v117, s14
	ds_read_b32 v117, v117
	v_add_u32_e32 v115, -1, v115
	s_add_i32 s14, s14, 4
	v_cmp_eq_u32_e32 vcc, 0, v115
	v_add_u32_e32 v113, 4, v113
	s_or_b64 s[4:5], vcc, s[4:5]
	s_waitcnt vmcnt(0) lgkmcnt(0)
	v_fmac_f32_e32 v114, v116, v117
	s_andn2_b64 exec, exec, s[4:5]
	s_cbranch_execnz .LBB117_493
; %bb.494:
	s_or_b64 exec, exec, s[4:5]
.LBB117_495:
	s_or_b64 exec, exec, s[12:13]
	v_mov_b32_e32 v113, 0
	ds_read_b32 v113, v113 offset:12
	s_waitcnt lgkmcnt(0)
	v_mul_f32_e32 v113, v114, v113
	buffer_store_dword v113, off, s[0:3], 0 offset:12
.LBB117_496:
	s_or_b64 exec, exec, s[10:11]
	buffer_load_dword v113, off, s[0:3], 0 offset:8
	v_cmp_lt_u32_e64 s[4:5], 2, v0
	s_waitcnt vmcnt(0)
	ds_write_b32 v110, v113
	s_waitcnt lgkmcnt(0)
	; wave barrier
	s_waitcnt lgkmcnt(0)
	s_and_saveexec_b64 s[10:11], s[4:5]
	s_cbranch_execz .LBB117_506
; %bb.497:
	s_andn2_b64 vcc, exec, s[8:9]
	s_cbranch_vccnz .LBB117_499
; %bb.498:
	buffer_load_dword v113, v111, s[0:3], 0 offen
	ds_read_b32 v114, v110
	s_waitcnt vmcnt(0) lgkmcnt(0)
	v_mul_f32_e32 v113, v113, v114
	s_cbranch_execz .LBB117_500
	s_branch .LBB117_501
.LBB117_499:
                                        ; implicit-def: $vgpr113
.LBB117_500:
	ds_read_b32 v113, v110
.LBB117_501:
	s_and_saveexec_b64 s[12:13], s[6:7]
	s_cbranch_execz .LBB117_505
; %bb.502:
	v_mov_b32_e32 v114, 0
	v_or_b32_e32 v114, 12, v114
	v_add_u32_e32 v115, -3, v0
	s_movk_i32 s14, 0xec
	s_mov_b64 s[6:7], 0
.LBB117_503:                            ; =>This Inner Loop Header: Depth=1
	buffer_load_dword v116, v114, s[0:3], 0 offen
	v_mov_b32_e32 v117, s14
	ds_read_b32 v117, v117
	v_add_u32_e32 v115, -1, v115
	s_add_i32 s14, s14, 4
	v_cmp_eq_u32_e32 vcc, 0, v115
	v_add_u32_e32 v114, 4, v114
	s_or_b64 s[6:7], vcc, s[6:7]
	s_waitcnt vmcnt(0) lgkmcnt(0)
	v_fmac_f32_e32 v113, v116, v117
	s_andn2_b64 exec, exec, s[6:7]
	s_cbranch_execnz .LBB117_503
; %bb.504:
	s_or_b64 exec, exec, s[6:7]
.LBB117_505:
	s_or_b64 exec, exec, s[12:13]
	v_mov_b32_e32 v114, 0
	ds_read_b32 v114, v114 offset:8
	s_waitcnt lgkmcnt(0)
	v_mul_f32_e32 v113, v113, v114
	buffer_store_dword v113, off, s[0:3], 0 offset:8
.LBB117_506:
	s_or_b64 exec, exec, s[10:11]
	buffer_load_dword v113, off, s[0:3], 0 offset:4
	v_cmp_lt_u32_e64 s[6:7], 1, v0
	s_waitcnt vmcnt(0)
	ds_write_b32 v110, v113
	s_waitcnt lgkmcnt(0)
	; wave barrier
	s_waitcnt lgkmcnt(0)
	s_and_saveexec_b64 s[10:11], s[6:7]
	s_cbranch_execz .LBB117_516
; %bb.507:
	s_andn2_b64 vcc, exec, s[8:9]
	s_cbranch_vccnz .LBB117_509
; %bb.508:
	buffer_load_dword v113, v111, s[0:3], 0 offen
	ds_read_b32 v114, v110
	s_waitcnt vmcnt(0) lgkmcnt(0)
	v_mul_f32_e32 v113, v113, v114
	s_cbranch_execz .LBB117_510
	s_branch .LBB117_511
.LBB117_509:
                                        ; implicit-def: $vgpr113
.LBB117_510:
	ds_read_b32 v113, v110
.LBB117_511:
	s_and_saveexec_b64 s[12:13], s[4:5]
	s_cbranch_execz .LBB117_515
; %bb.512:
	v_add_u32_e32 v114, -2, v0
	s_movk_i32 s14, 0xe8
	s_mov_b64 s[4:5], 0
.LBB117_513:                            ; =>This Inner Loop Header: Depth=1
	buffer_load_dword v115, v112, s[0:3], 0 offen
	v_mov_b32_e32 v116, s14
	ds_read_b32 v116, v116
	v_add_u32_e32 v114, -1, v114
	s_add_i32 s14, s14, 4
	v_cmp_eq_u32_e32 vcc, 0, v114
	v_add_u32_e32 v112, 4, v112
	s_or_b64 s[4:5], vcc, s[4:5]
	s_waitcnt vmcnt(0) lgkmcnt(0)
	v_fmac_f32_e32 v113, v115, v116
	s_andn2_b64 exec, exec, s[4:5]
	s_cbranch_execnz .LBB117_513
; %bb.514:
	s_or_b64 exec, exec, s[4:5]
.LBB117_515:
	s_or_b64 exec, exec, s[12:13]
	v_mov_b32_e32 v112, 0
	ds_read_b32 v112, v112 offset:4
	s_waitcnt lgkmcnt(0)
	v_mul_f32_e32 v112, v113, v112
	buffer_store_dword v112, off, s[0:3], 0 offset:4
.LBB117_516:
	s_or_b64 exec, exec, s[10:11]
	buffer_load_dword v112, off, s[0:3], 0
	v_cmp_ne_u32_e32 vcc, 0, v0
	s_waitcnt vmcnt(0)
	ds_write_b32 v110, v112
	s_waitcnt lgkmcnt(0)
	; wave barrier
	s_waitcnt lgkmcnt(0)
	s_and_saveexec_b64 s[4:5], vcc
	s_cbranch_execz .LBB117_526
; %bb.517:
	s_andn2_b64 vcc, exec, s[8:9]
	s_cbranch_vccnz .LBB117_519
; %bb.518:
	buffer_load_dword v112, v111, s[0:3], 0 offen
	ds_read_b32 v113, v110
	s_waitcnt vmcnt(0) lgkmcnt(0)
	v_mul_f32_e32 v112, v112, v113
	s_cbranch_execz .LBB117_520
	s_branch .LBB117_521
.LBB117_519:
                                        ; implicit-def: $vgpr112
.LBB117_520:
	ds_read_b32 v112, v110
.LBB117_521:
	s_and_saveexec_b64 s[10:11], s[6:7]
	s_cbranch_execz .LBB117_525
; %bb.522:
	v_mov_b32_e32 v113, 0
	v_or_b32_e32 v113, 4, v113
	v_add_u32_e32 v114, -1, v0
	s_movk_i32 s12, 0xe4
	s_mov_b64 s[6:7], 0
.LBB117_523:                            ; =>This Inner Loop Header: Depth=1
	buffer_load_dword v115, v113, s[0:3], 0 offen
	v_mov_b32_e32 v116, s12
	ds_read_b32 v116, v116
	v_add_u32_e32 v114, -1, v114
	s_add_i32 s12, s12, 4
	v_cmp_eq_u32_e32 vcc, 0, v114
	v_add_u32_e32 v113, 4, v113
	s_or_b64 s[6:7], vcc, s[6:7]
	s_waitcnt vmcnt(0) lgkmcnt(0)
	v_fmac_f32_e32 v112, v115, v116
	s_andn2_b64 exec, exec, s[6:7]
	s_cbranch_execnz .LBB117_523
; %bb.524:
	s_or_b64 exec, exec, s[6:7]
.LBB117_525:
	s_or_b64 exec, exec, s[10:11]
	v_mov_b32_e32 v113, 0
	ds_read_b32 v113, v113
	s_waitcnt lgkmcnt(0)
	v_mul_f32_e32 v112, v112, v113
	buffer_store_dword v112, off, s[0:3], 0
.LBB117_526:
	s_or_b64 exec, exec, s[4:5]
	s_mov_b64 s[4:5], 0
.LBB117_527:
	s_and_b64 vcc, exec, s[4:5]
	s_cbranch_vccz .LBB117_1051
; %bb.528:
	buffer_load_dword v112, off, s[0:3], 0 offset:4
	v_cmp_eq_u32_e64 s[6:7], 0, v0
	s_waitcnt vmcnt(0)
	ds_write_b32 v110, v112
	s_waitcnt lgkmcnt(0)
	; wave barrier
	s_waitcnt lgkmcnt(0)
	s_and_saveexec_b64 s[4:5], s[6:7]
	s_cbranch_execz .LBB117_534
; %bb.529:
	s_and_b64 vcc, exec, s[8:9]
	s_cbranch_vccz .LBB117_531
; %bb.530:
	buffer_load_dword v112, v111, s[0:3], 0 offen
	ds_read_b32 v113, v110
	s_waitcnt vmcnt(0) lgkmcnt(0)
	v_mul_f32_e32 v112, v112, v113
	s_cbranch_execz .LBB117_532
	s_branch .LBB117_533
.LBB117_531:
                                        ; implicit-def: $vgpr112
.LBB117_532:
	ds_read_b32 v112, v110
.LBB117_533:
	v_mov_b32_e32 v113, 0
	ds_read_b32 v113, v113 offset:4
	s_waitcnt lgkmcnt(0)
	v_mul_f32_e32 v112, v112, v113
	buffer_store_dword v112, off, s[0:3], 0 offset:4
.LBB117_534:
	s_or_b64 exec, exec, s[4:5]
	buffer_load_dword v112, off, s[0:3], 0 offset:8
	v_cndmask_b32_e64 v113, 0, 1, s[8:9]
	v_cmp_gt_u32_e32 vcc, 2, v0
	v_cmp_ne_u32_e64 s[4:5], 1, v113
	s_waitcnt vmcnt(0)
	ds_write_b32 v110, v112
	s_waitcnt lgkmcnt(0)
	; wave barrier
	s_waitcnt lgkmcnt(0)
	s_and_saveexec_b64 s[8:9], vcc
	s_cbranch_execz .LBB117_542
; %bb.535:
	s_and_b64 vcc, exec, s[4:5]
	s_cbranch_vccnz .LBB117_537
; %bb.536:
	buffer_load_dword v112, v111, s[0:3], 0 offen
	ds_read_b32 v113, v110
	s_waitcnt vmcnt(0) lgkmcnt(0)
	v_mul_f32_e32 v112, v112, v113
	s_cbranch_execz .LBB117_538
	s_branch .LBB117_539
.LBB117_537:
                                        ; implicit-def: $vgpr112
.LBB117_538:
	ds_read_b32 v112, v110
.LBB117_539:
	s_and_saveexec_b64 s[10:11], s[6:7]
	s_cbranch_execz .LBB117_541
; %bb.540:
	buffer_load_dword v113, v111, s[0:3], 0 offen offset:4
	ds_read_b32 v114, v110 offset:4
	s_waitcnt vmcnt(0) lgkmcnt(0)
	v_fmac_f32_e32 v112, v113, v114
.LBB117_541:
	s_or_b64 exec, exec, s[10:11]
	v_mov_b32_e32 v113, 0
	ds_read_b32 v113, v113 offset:8
	s_waitcnt lgkmcnt(0)
	v_mul_f32_e32 v112, v112, v113
	buffer_store_dword v112, off, s[0:3], 0 offset:8
.LBB117_542:
	s_or_b64 exec, exec, s[8:9]
	buffer_load_dword v112, off, s[0:3], 0 offset:12
	v_cmp_gt_u32_e32 vcc, 3, v0
	s_waitcnt vmcnt(0)
	ds_write_b32 v110, v112
	s_waitcnt lgkmcnt(0)
	; wave barrier
	s_waitcnt lgkmcnt(0)
	s_and_saveexec_b64 s[8:9], vcc
	s_cbranch_execz .LBB117_550
; %bb.543:
	s_and_b64 vcc, exec, s[4:5]
	s_cbranch_vccnz .LBB117_545
; %bb.544:
	buffer_load_dword v112, v111, s[0:3], 0 offen
	ds_read_b32 v113, v110
	s_waitcnt vmcnt(0) lgkmcnt(0)
	v_mul_f32_e32 v112, v112, v113
	s_cbranch_execz .LBB117_546
	s_branch .LBB117_547
.LBB117_545:
                                        ; implicit-def: $vgpr112
.LBB117_546:
	ds_read_b32 v112, v110
.LBB117_547:
	v_cmp_ne_u32_e32 vcc, 2, v0
	s_and_saveexec_b64 s[10:11], vcc
	s_cbranch_execz .LBB117_549
; %bb.548:
	buffer_load_dword v113, v111, s[0:3], 0 offen offset:4
	buffer_load_dword v114, off, s[0:3], 0 offset:8
	v_mov_b32_e32 v115, 0
	ds_read_b32 v116, v110 offset:4
	ds_read_b32 v115, v115 offset:232
	s_waitcnt vmcnt(1) lgkmcnt(1)
	v_fmac_f32_e32 v112, v113, v116
	s_waitcnt vmcnt(0) lgkmcnt(0)
	v_fma_f32 v113, v114, v115, v112
	v_cndmask_b32_e64 v112, v112, v113, s[6:7]
.LBB117_549:
	s_or_b64 exec, exec, s[10:11]
	v_mov_b32_e32 v113, 0
	ds_read_b32 v113, v113 offset:12
	s_waitcnt lgkmcnt(0)
	v_mul_f32_e32 v112, v112, v113
	buffer_store_dword v112, off, s[0:3], 0 offset:12
.LBB117_550:
	s_or_b64 exec, exec, s[8:9]
	buffer_load_dword v112, off, s[0:3], 0 offset:16
	v_cmp_gt_u32_e32 vcc, 4, v0
	s_waitcnt vmcnt(0)
	ds_write_b32 v110, v112
	s_waitcnt lgkmcnt(0)
	; wave barrier
	s_waitcnt lgkmcnt(0)
	s_and_saveexec_b64 s[6:7], vcc
	s_cbranch_execz .LBB117_560
; %bb.551:
	s_and_b64 vcc, exec, s[4:5]
	s_cbranch_vccnz .LBB117_553
; %bb.552:
	buffer_load_dword v112, v111, s[0:3], 0 offen
	ds_read_b32 v113, v110
	s_waitcnt vmcnt(0) lgkmcnt(0)
	v_mul_f32_e32 v112, v112, v113
	s_cbranch_execz .LBB117_554
	s_branch .LBB117_555
.LBB117_553:
                                        ; implicit-def: $vgpr112
.LBB117_554:
	ds_read_b32 v112, v110
.LBB117_555:
	v_cmp_ne_u32_e32 vcc, 3, v0
	s_and_saveexec_b64 s[8:9], vcc
	s_cbranch_execz .LBB117_559
; %bb.556:
	v_mov_b32_e32 v114, 0
	v_add_u32_e32 v113, 0xe4, v1
	v_add3_u32 v114, v1, v114, 4
	s_mov_b64 s[10:11], 0
	v_mov_b32_e32 v115, v0
.LBB117_557:                            ; =>This Inner Loop Header: Depth=1
	buffer_load_dword v116, v114, s[0:3], 0 offen
	ds_read_b32 v117, v113
	v_add_u32_e32 v115, 1, v115
	v_cmp_lt_u32_e32 vcc, 2, v115
	v_add_u32_e32 v113, 4, v113
	v_add_u32_e32 v114, 4, v114
	s_or_b64 s[10:11], vcc, s[10:11]
	s_waitcnt vmcnt(0) lgkmcnt(0)
	v_fmac_f32_e32 v112, v116, v117
	s_andn2_b64 exec, exec, s[10:11]
	s_cbranch_execnz .LBB117_557
; %bb.558:
	s_or_b64 exec, exec, s[10:11]
.LBB117_559:
	s_or_b64 exec, exec, s[8:9]
	v_mov_b32_e32 v113, 0
	ds_read_b32 v113, v113 offset:16
	s_waitcnt lgkmcnt(0)
	v_mul_f32_e32 v112, v112, v113
	buffer_store_dword v112, off, s[0:3], 0 offset:16
.LBB117_560:
	s_or_b64 exec, exec, s[6:7]
	buffer_load_dword v112, off, s[0:3], 0 offset:20
	v_cmp_gt_u32_e32 vcc, 5, v0
	s_waitcnt vmcnt(0)
	ds_write_b32 v110, v112
	s_waitcnt lgkmcnt(0)
	; wave barrier
	s_waitcnt lgkmcnt(0)
	s_and_saveexec_b64 s[6:7], vcc
	s_cbranch_execz .LBB117_570
; %bb.561:
	s_and_b64 vcc, exec, s[4:5]
	s_cbranch_vccnz .LBB117_563
; %bb.562:
	buffer_load_dword v112, v111, s[0:3], 0 offen
	ds_read_b32 v113, v110
	s_waitcnt vmcnt(0) lgkmcnt(0)
	v_mul_f32_e32 v112, v112, v113
	s_cbranch_execz .LBB117_564
	s_branch .LBB117_565
.LBB117_563:
                                        ; implicit-def: $vgpr112
.LBB117_564:
	ds_read_b32 v112, v110
.LBB117_565:
	v_cmp_ne_u32_e32 vcc, 4, v0
	s_and_saveexec_b64 s[8:9], vcc
	s_cbranch_execz .LBB117_569
; %bb.566:
	v_mov_b32_e32 v114, 0
	v_add_u32_e32 v113, 0xe4, v1
	v_add3_u32 v114, v1, v114, 4
	s_mov_b64 s[10:11], 0
	v_mov_b32_e32 v115, v0
.LBB117_567:                            ; =>This Inner Loop Header: Depth=1
	buffer_load_dword v116, v114, s[0:3], 0 offen
	ds_read_b32 v117, v113
	v_add_u32_e32 v115, 1, v115
	v_cmp_lt_u32_e32 vcc, 3, v115
	v_add_u32_e32 v113, 4, v113
	v_add_u32_e32 v114, 4, v114
	s_or_b64 s[10:11], vcc, s[10:11]
	s_waitcnt vmcnt(0) lgkmcnt(0)
	v_fmac_f32_e32 v112, v116, v117
	s_andn2_b64 exec, exec, s[10:11]
	s_cbranch_execnz .LBB117_567
; %bb.568:
	s_or_b64 exec, exec, s[10:11]
.LBB117_569:
	s_or_b64 exec, exec, s[8:9]
	v_mov_b32_e32 v113, 0
	ds_read_b32 v113, v113 offset:20
	s_waitcnt lgkmcnt(0)
	v_mul_f32_e32 v112, v112, v113
	buffer_store_dword v112, off, s[0:3], 0 offset:20
.LBB117_570:
	;; [unrolled: 56-line block ×45, first 2 shown]
	s_or_b64 exec, exec, s[6:7]
	buffer_load_dword v112, off, s[0:3], 0 offset:196
	v_cmp_gt_u32_e32 vcc, 49, v0
	s_waitcnt vmcnt(0)
	ds_write_b32 v110, v112
	s_waitcnt lgkmcnt(0)
	; wave barrier
	s_waitcnt lgkmcnt(0)
	s_and_saveexec_b64 s[6:7], vcc
	s_cbranch_execz .LBB117_1010
; %bb.1001:
	s_and_b64 vcc, exec, s[4:5]
	s_cbranch_vccnz .LBB117_1003
; %bb.1002:
	buffer_load_dword v112, v111, s[0:3], 0 offen
	ds_read_b32 v113, v110
	s_waitcnt vmcnt(0) lgkmcnt(0)
	v_mul_f32_e32 v112, v112, v113
	s_cbranch_execz .LBB117_1004
	s_branch .LBB117_1005
.LBB117_1003:
                                        ; implicit-def: $vgpr112
.LBB117_1004:
	ds_read_b32 v112, v110
.LBB117_1005:
	v_cmp_ne_u32_e32 vcc, 48, v0
	s_and_saveexec_b64 s[8:9], vcc
	s_cbranch_execz .LBB117_1009
; %bb.1006:
	v_mov_b32_e32 v114, 0
	v_add_u32_e32 v113, 0xe4, v1
	v_add3_u32 v114, v1, v114, 4
	s_mov_b64 s[10:11], 0
	v_mov_b32_e32 v115, v0
.LBB117_1007:                           ; =>This Inner Loop Header: Depth=1
	buffer_load_dword v116, v114, s[0:3], 0 offen
	ds_read_b32 v117, v113
	v_add_u32_e32 v115, 1, v115
	v_cmp_lt_u32_e32 vcc, 47, v115
	v_add_u32_e32 v113, 4, v113
	v_add_u32_e32 v114, 4, v114
	s_or_b64 s[10:11], vcc, s[10:11]
	s_waitcnt vmcnt(0) lgkmcnt(0)
	v_fmac_f32_e32 v112, v116, v117
	s_andn2_b64 exec, exec, s[10:11]
	s_cbranch_execnz .LBB117_1007
; %bb.1008:
	s_or_b64 exec, exec, s[10:11]
.LBB117_1009:
	s_or_b64 exec, exec, s[8:9]
	v_mov_b32_e32 v113, 0
	ds_read_b32 v113, v113 offset:196
	s_waitcnt lgkmcnt(0)
	v_mul_f32_e32 v112, v112, v113
	buffer_store_dword v112, off, s[0:3], 0 offset:196
.LBB117_1010:
	s_or_b64 exec, exec, s[6:7]
	buffer_load_dword v112, off, s[0:3], 0 offset:200
	v_cmp_gt_u32_e32 vcc, 50, v0
	s_waitcnt vmcnt(0)
	ds_write_b32 v110, v112
	s_waitcnt lgkmcnt(0)
	; wave barrier
	s_waitcnt lgkmcnt(0)
	s_and_saveexec_b64 s[6:7], vcc
	s_cbranch_execz .LBB117_1020
; %bb.1011:
	s_and_b64 vcc, exec, s[4:5]
	s_cbranch_vccnz .LBB117_1013
; %bb.1012:
	buffer_load_dword v112, v111, s[0:3], 0 offen
	ds_read_b32 v113, v110
	s_waitcnt vmcnt(0) lgkmcnt(0)
	v_mul_f32_e32 v112, v112, v113
	s_cbranch_execz .LBB117_1014
	s_branch .LBB117_1015
.LBB117_1013:
                                        ; implicit-def: $vgpr112
.LBB117_1014:
	ds_read_b32 v112, v110
.LBB117_1015:
	v_cmp_ne_u32_e32 vcc, 49, v0
	s_and_saveexec_b64 s[8:9], vcc
	s_cbranch_execz .LBB117_1019
; %bb.1016:
	v_mov_b32_e32 v114, 0
	v_add_u32_e32 v113, 0xe4, v1
	v_add3_u32 v114, v1, v114, 4
	s_mov_b64 s[10:11], 0
	v_mov_b32_e32 v115, v0
.LBB117_1017:                           ; =>This Inner Loop Header: Depth=1
	buffer_load_dword v116, v114, s[0:3], 0 offen
	ds_read_b32 v117, v113
	v_add_u32_e32 v115, 1, v115
	v_cmp_lt_u32_e32 vcc, 48, v115
	v_add_u32_e32 v113, 4, v113
	v_add_u32_e32 v114, 4, v114
	s_or_b64 s[10:11], vcc, s[10:11]
	s_waitcnt vmcnt(0) lgkmcnt(0)
	v_fmac_f32_e32 v112, v116, v117
	s_andn2_b64 exec, exec, s[10:11]
	s_cbranch_execnz .LBB117_1017
; %bb.1018:
	s_or_b64 exec, exec, s[10:11]
.LBB117_1019:
	s_or_b64 exec, exec, s[8:9]
	v_mov_b32_e32 v113, 0
	ds_read_b32 v113, v113 offset:200
	s_waitcnt lgkmcnt(0)
	v_mul_f32_e32 v112, v112, v113
	buffer_store_dword v112, off, s[0:3], 0 offset:200
.LBB117_1020:
	;; [unrolled: 56-line block ×3, first 2 shown]
	s_or_b64 exec, exec, s[6:7]
	buffer_load_dword v112, off, s[0:3], 0 offset:208
	v_cmp_gt_u32_e64 s[6:7], 52, v0
	s_waitcnt vmcnt(0)
	ds_write_b32 v110, v112
	s_waitcnt lgkmcnt(0)
	; wave barrier
	s_waitcnt lgkmcnt(0)
	s_and_saveexec_b64 s[8:9], s[6:7]
	s_cbranch_execz .LBB117_1040
; %bb.1031:
	s_and_b64 vcc, exec, s[4:5]
	s_cbranch_vccnz .LBB117_1033
; %bb.1032:
	buffer_load_dword v112, v111, s[0:3], 0 offen
	ds_read_b32 v113, v110
	s_waitcnt vmcnt(0) lgkmcnt(0)
	v_mul_f32_e32 v112, v112, v113
	s_cbranch_execz .LBB117_1034
	s_branch .LBB117_1035
.LBB117_1033:
                                        ; implicit-def: $vgpr112
.LBB117_1034:
	ds_read_b32 v112, v110
.LBB117_1035:
	v_cmp_ne_u32_e32 vcc, 51, v0
	s_and_saveexec_b64 s[10:11], vcc
	s_cbranch_execz .LBB117_1039
; %bb.1036:
	v_mov_b32_e32 v114, 0
	v_add_u32_e32 v113, 0xe4, v1
	v_add3_u32 v114, v1, v114, 4
	s_mov_b64 s[12:13], 0
	v_mov_b32_e32 v115, v0
.LBB117_1037:                           ; =>This Inner Loop Header: Depth=1
	buffer_load_dword v116, v114, s[0:3], 0 offen
	ds_read_b32 v117, v113
	v_add_u32_e32 v115, 1, v115
	v_cmp_lt_u32_e32 vcc, 50, v115
	v_add_u32_e32 v113, 4, v113
	v_add_u32_e32 v114, 4, v114
	s_or_b64 s[12:13], vcc, s[12:13]
	s_waitcnt vmcnt(0) lgkmcnt(0)
	v_fmac_f32_e32 v112, v116, v117
	s_andn2_b64 exec, exec, s[12:13]
	s_cbranch_execnz .LBB117_1037
; %bb.1038:
	s_or_b64 exec, exec, s[12:13]
.LBB117_1039:
	s_or_b64 exec, exec, s[10:11]
	v_mov_b32_e32 v113, 0
	ds_read_b32 v113, v113 offset:208
	s_waitcnt lgkmcnt(0)
	v_mul_f32_e32 v112, v112, v113
	buffer_store_dword v112, off, s[0:3], 0 offset:208
.LBB117_1040:
	s_or_b64 exec, exec, s[8:9]
	buffer_load_dword v112, off, s[0:3], 0 offset:212
	v_cmp_ne_u32_e32 vcc, 53, v0
	s_waitcnt vmcnt(0)
	ds_write_b32 v110, v112
	s_waitcnt lgkmcnt(0)
	; wave barrier
	s_waitcnt lgkmcnt(0)
	s_and_saveexec_b64 s[8:9], vcc
	s_cbranch_execz .LBB117_1050
; %bb.1041:
	s_and_b64 vcc, exec, s[4:5]
	s_cbranch_vccnz .LBB117_1043
; %bb.1042:
	buffer_load_dword v111, v111, s[0:3], 0 offen
	ds_read_b32 v112, v110
	s_waitcnt vmcnt(0) lgkmcnt(0)
	v_mul_f32_e32 v111, v111, v112
	s_cbranch_execz .LBB117_1044
	s_branch .LBB117_1045
.LBB117_1043:
                                        ; implicit-def: $vgpr111
.LBB117_1044:
	ds_read_b32 v111, v110
.LBB117_1045:
	s_and_saveexec_b64 s[4:5], s[6:7]
	s_cbranch_execz .LBB117_1049
; %bb.1046:
	v_mov_b32_e32 v112, 0
	v_add_u32_e32 v110, 0xe4, v1
	v_add3_u32 v1, v1, v112, 4
	s_mov_b64 s[6:7], 0
.LBB117_1047:                           ; =>This Inner Loop Header: Depth=1
	buffer_load_dword v112, v1, s[0:3], 0 offen
	ds_read_b32 v113, v110
	v_add_u32_e32 v0, 1, v0
	v_cmp_lt_u32_e32 vcc, 51, v0
	v_add_u32_e32 v110, 4, v110
	v_add_u32_e32 v1, 4, v1
	s_or_b64 s[6:7], vcc, s[6:7]
	s_waitcnt vmcnt(0) lgkmcnt(0)
	v_fmac_f32_e32 v111, v112, v113
	s_andn2_b64 exec, exec, s[6:7]
	s_cbranch_execnz .LBB117_1047
; %bb.1048:
	s_or_b64 exec, exec, s[6:7]
.LBB117_1049:
	s_or_b64 exec, exec, s[4:5]
	v_mov_b32_e32 v0, 0
	ds_read_b32 v0, v0 offset:212
	s_waitcnt lgkmcnt(0)
	v_mul_f32_e32 v0, v111, v0
	buffer_store_dword v0, off, s[0:3], 0 offset:212
.LBB117_1050:
	s_or_b64 exec, exec, s[8:9]
.LBB117_1051:
	buffer_load_dword v0, off, s[0:3], 0
	buffer_load_dword v1, off, s[0:3], 0 offset:4
	buffer_load_dword v110, off, s[0:3], 0 offset:8
	;; [unrolled: 1-line block ×53, first 2 shown]
	s_waitcnt vmcnt(53)
	global_store_dword v[104:105], v0, off
	s_waitcnt vmcnt(53)
	global_store_dword v[106:107], v1, off
	;; [unrolled: 2-line block ×54, first 2 shown]
.LBB117_1052:
	s_endpgm
	.section	.rodata,"a",@progbits
	.p2align	6, 0x0
	.amdhsa_kernel _ZN9rocsolver6v33100L18trti2_kernel_smallILi54EfPKPfEEv13rocblas_fill_17rocblas_diagonal_T1_iil
		.amdhsa_group_segment_fixed_size 440
		.amdhsa_private_segment_fixed_size 224
		.amdhsa_kernarg_size 32
		.amdhsa_user_sgpr_count 8
		.amdhsa_user_sgpr_private_segment_buffer 1
		.amdhsa_user_sgpr_dispatch_ptr 0
		.amdhsa_user_sgpr_queue_ptr 0
		.amdhsa_user_sgpr_kernarg_segment_ptr 1
		.amdhsa_user_sgpr_dispatch_id 0
		.amdhsa_user_sgpr_flat_scratch_init 1
		.amdhsa_user_sgpr_kernarg_preload_length 0
		.amdhsa_user_sgpr_kernarg_preload_offset 0
		.amdhsa_user_sgpr_private_segment_size 0
		.amdhsa_uses_dynamic_stack 0
		.amdhsa_system_sgpr_private_segment_wavefront_offset 1
		.amdhsa_system_sgpr_workgroup_id_x 1
		.amdhsa_system_sgpr_workgroup_id_y 0
		.amdhsa_system_sgpr_workgroup_id_z 0
		.amdhsa_system_sgpr_workgroup_info 0
		.amdhsa_system_vgpr_workitem_id 0
		.amdhsa_next_free_vgpr 164
		.amdhsa_next_free_sgpr 16
		.amdhsa_accum_offset 164
		.amdhsa_reserve_vcc 1
		.amdhsa_reserve_flat_scratch 0
		.amdhsa_float_round_mode_32 0
		.amdhsa_float_round_mode_16_64 0
		.amdhsa_float_denorm_mode_32 3
		.amdhsa_float_denorm_mode_16_64 3
		.amdhsa_dx10_clamp 1
		.amdhsa_ieee_mode 1
		.amdhsa_fp16_overflow 0
		.amdhsa_tg_split 0
		.amdhsa_exception_fp_ieee_invalid_op 0
		.amdhsa_exception_fp_denorm_src 0
		.amdhsa_exception_fp_ieee_div_zero 0
		.amdhsa_exception_fp_ieee_overflow 0
		.amdhsa_exception_fp_ieee_underflow 0
		.amdhsa_exception_fp_ieee_inexact 0
		.amdhsa_exception_int_div_zero 0
	.end_amdhsa_kernel
	.section	.text._ZN9rocsolver6v33100L18trti2_kernel_smallILi54EfPKPfEEv13rocblas_fill_17rocblas_diagonal_T1_iil,"axG",@progbits,_ZN9rocsolver6v33100L18trti2_kernel_smallILi54EfPKPfEEv13rocblas_fill_17rocblas_diagonal_T1_iil,comdat
.Lfunc_end117:
	.size	_ZN9rocsolver6v33100L18trti2_kernel_smallILi54EfPKPfEEv13rocblas_fill_17rocblas_diagonal_T1_iil, .Lfunc_end117-_ZN9rocsolver6v33100L18trti2_kernel_smallILi54EfPKPfEEv13rocblas_fill_17rocblas_diagonal_T1_iil
                                        ; -- End function
	.section	.AMDGPU.csdata,"",@progbits
; Kernel info:
; codeLenInByte = 26448
; NumSgprs: 20
; NumVgprs: 164
; NumAgprs: 0
; TotalNumVgprs: 164
; ScratchSize: 224
; MemoryBound: 0
; FloatMode: 240
; IeeeMode: 1
; LDSByteSize: 440 bytes/workgroup (compile time only)
; SGPRBlocks: 2
; VGPRBlocks: 20
; NumSGPRsForWavesPerEU: 20
; NumVGPRsForWavesPerEU: 164
; AccumOffset: 164
; Occupancy: 3
; WaveLimiterHint : 1
; COMPUTE_PGM_RSRC2:SCRATCH_EN: 1
; COMPUTE_PGM_RSRC2:USER_SGPR: 8
; COMPUTE_PGM_RSRC2:TRAP_HANDLER: 0
; COMPUTE_PGM_RSRC2:TGID_X_EN: 1
; COMPUTE_PGM_RSRC2:TGID_Y_EN: 0
; COMPUTE_PGM_RSRC2:TGID_Z_EN: 0
; COMPUTE_PGM_RSRC2:TIDIG_COMP_CNT: 0
; COMPUTE_PGM_RSRC3_GFX90A:ACCUM_OFFSET: 40
; COMPUTE_PGM_RSRC3_GFX90A:TG_SPLIT: 0
	.section	.text._ZN9rocsolver6v33100L18trti2_kernel_smallILi55EfPKPfEEv13rocblas_fill_17rocblas_diagonal_T1_iil,"axG",@progbits,_ZN9rocsolver6v33100L18trti2_kernel_smallILi55EfPKPfEEv13rocblas_fill_17rocblas_diagonal_T1_iil,comdat
	.globl	_ZN9rocsolver6v33100L18trti2_kernel_smallILi55EfPKPfEEv13rocblas_fill_17rocblas_diagonal_T1_iil ; -- Begin function _ZN9rocsolver6v33100L18trti2_kernel_smallILi55EfPKPfEEv13rocblas_fill_17rocblas_diagonal_T1_iil
	.p2align	8
	.type	_ZN9rocsolver6v33100L18trti2_kernel_smallILi55EfPKPfEEv13rocblas_fill_17rocblas_diagonal_T1_iil,@function
_ZN9rocsolver6v33100L18trti2_kernel_smallILi55EfPKPfEEv13rocblas_fill_17rocblas_diagonal_T1_iil: ; @_ZN9rocsolver6v33100L18trti2_kernel_smallILi55EfPKPfEEv13rocblas_fill_17rocblas_diagonal_T1_iil
; %bb.0:
	s_add_u32 s0, s0, s9
	s_addc_u32 s1, s1, 0
	v_cmp_gt_u32_e32 vcc, 55, v0
	s_and_saveexec_b64 s[6:7], vcc
	s_cbranch_execz .LBB118_1072
; %bb.1:
	s_load_dwordx2 s[6:7], s[4:5], 0x10
	s_load_dwordx4 s[12:15], s[4:5], 0x0
	s_ashr_i32 s9, s8, 31
	s_lshl_b64 s[4:5], s[8:9], 3
	s_waitcnt lgkmcnt(0)
	s_ashr_i32 s9, s6, 31
	s_add_u32 s4, s14, s4
	s_addc_u32 s5, s15, s5
	s_load_dwordx2 s[4:5], s[4:5], 0x0
	s_mov_b32 s8, s6
	s_lshl_b64 s[8:9], s[8:9], 2
	s_waitcnt lgkmcnt(0)
	s_add_u32 s4, s4, s8
	s_addc_u32 s5, s5, s9
	s_add_i32 s6, s7, s7
	v_add_u32_e32 v4, s6, v0
	v_ashrrev_i32_e32 v5, 31, v4
	v_lshlrev_b64 v[2:3], 2, v[4:5]
	v_add_u32_e32 v6, s7, v4
	v_mov_b32_e32 v1, s5
	v_add_co_u32_e32 v2, vcc, s4, v2
	v_ashrrev_i32_e32 v7, 31, v6
	v_addc_co_u32_e32 v3, vcc, v1, v3, vcc
	v_lshlrev_b64 v[4:5], 2, v[6:7]
	v_add_u32_e32 v8, s7, v6
	v_add_co_u32_e32 v4, vcc, s4, v4
	v_ashrrev_i32_e32 v9, 31, v8
	v_addc_co_u32_e32 v5, vcc, v1, v5, vcc
	v_lshlrev_b64 v[6:7], 2, v[8:9]
	v_add_u32_e32 v10, s7, v8
	;; [unrolled: 5-line block ×47, first 2 shown]
	v_add_co_u32_e32 v96, vcc, s4, v96
	v_ashrrev_i32_e32 v101, 31, v100
	v_addc_co_u32_e32 v97, vcc, v1, v97, vcc
	v_lshlrev_b64 v[98:99], 2, v[100:101]
	v_add_co_u32_e32 v98, vcc, s4, v98
	v_addc_co_u32_e32 v99, vcc, v1, v99, vcc
	v_lshlrev_b32_e32 v1, 2, v0
	v_add_u32_e32 v102, s7, v100
	v_mov_b32_e32 v100, s5
	v_add_co_u32_e32 v110, vcc, s4, v1
	s_ashr_i32 s9, s7, 31
	s_mov_b32 s8, s7
	v_addc_co_u32_e32 v111, vcc, 0, v100, vcc
	s_lshl_b64 s[8:9], s[8:9], 2
	v_mov_b32_e32 v100, s9
	v_add_co_u32_e32 v108, vcc, s8, v110
	v_addc_co_u32_e32 v109, vcc, v111, v100, vcc
	global_load_dword v112, v1, s[4:5]
	global_load_dword v113, v[108:109], off
	global_load_dword v114, v[2:3], off
	v_ashrrev_i32_e32 v103, 31, v102
	v_lshlrev_b64 v[100:101], 2, v[102:103]
	v_mov_b32_e32 v104, s5
	v_add_co_u32_e32 v100, vcc, s4, v100
	v_addc_co_u32_e32 v101, vcc, v104, v101, vcc
	v_add_u32_e32 v104, s7, v102
	v_ashrrev_i32_e32 v105, 31, v104
	v_lshlrev_b64 v[102:103], 2, v[104:105]
	v_mov_b32_e32 v106, s5
	v_add_co_u32_e32 v102, vcc, s4, v102
	v_addc_co_u32_e32 v103, vcc, v106, v103, vcc
	v_add_u32_e32 v106, s7, v104
	v_ashrrev_i32_e32 v107, 31, v106
	v_lshlrev_b64 v[104:105], 2, v[106:107]
	v_add_u32_e32 v106, s7, v106
	v_mov_b32_e32 v115, s5
	v_add_co_u32_e32 v104, vcc, s4, v104
	v_ashrrev_i32_e32 v107, 31, v106
	v_addc_co_u32_e32 v105, vcc, v115, v105, vcc
	v_lshlrev_b64 v[106:107], 2, v[106:107]
	v_add_co_u32_e32 v106, vcc, s4, v106
	v_addc_co_u32_e32 v107, vcc, v115, v107, vcc
	global_load_dword v115, v[4:5], off
	global_load_dword v116, v[6:7], off
	;; [unrolled: 1-line block ×47, first 2 shown]
	s_waitcnt vmcnt(49)
	buffer_store_dword v112, off, s[0:3], 0
	s_waitcnt vmcnt(49)
	buffer_store_dword v113, off, s[0:3], 0 offset:4
	s_waitcnt vmcnt(49)
	buffer_store_dword v114, off, s[0:3], 0 offset:8
	global_load_dword v112, v[96:97], off
	global_load_dword v113, v[102:103], off
	s_nop 0
	global_load_dword v114, v[100:101], off
	global_load_dword v162, v[98:99], off
	;; [unrolled: 1-line block ×3, first 2 shown]
	s_cmpk_lg_i32 s13, 0x84
	s_waitcnt vmcnt(54)
	buffer_store_dword v115, off, s[0:3], 0 offset:12
	s_waitcnt vmcnt(54)
	buffer_store_dword v116, off, s[0:3], 0 offset:16
	;; [unrolled: 2-line block ×9, first 2 shown]
	buffer_store_dword v122, off, s[0:3], 0 offset:48
	buffer_store_dword v123, off, s[0:3], 0 offset:52
	buffer_store_dword v124, off, s[0:3], 0 offset:56
	buffer_store_dword v125, off, s[0:3], 0 offset:60
	buffer_store_dword v126, off, s[0:3], 0 offset:64
	s_waitcnt vmcnt(54)
	buffer_store_dword v129, off, s[0:3], 0 offset:68
	s_waitcnt vmcnt(54)
	buffer_store_dword v130, off, s[0:3], 0 offset:72
	;; [unrolled: 2-line block ×5, first 2 shown]
	buffer_store_dword v133, off, s[0:3], 0 offset:92
	buffer_store_dword v134, off, s[0:3], 0 offset:88
	s_waitcnt vmcnt(53)
	buffer_store_dword v137, off, s[0:3], 0 offset:100
	buffer_store_dword v132, off, s[0:3], 0 offset:96
	s_waitcnt vmcnt(49)
	buffer_store_dword v143, off, s[0:3], 0 offset:108
	s_waitcnt vmcnt(49)
	buffer_store_dword v144, off, s[0:3], 0 offset:104
	buffer_store_dword v141, off, s[0:3], 0 offset:116
	buffer_store_dword v142, off, s[0:3], 0 offset:112
	buffer_store_dword v139, off, s[0:3], 0 offset:124
	buffer_store_dword v140, off, s[0:3], 0 offset:120
	s_waitcnt vmcnt(53)
	buffer_store_dword v145, off, s[0:3], 0 offset:132
	buffer_store_dword v138, off, s[0:3], 0 offset:128
	s_waitcnt vmcnt(49)
	buffer_store_dword v151, off, s[0:3], 0 offset:140
	s_waitcnt vmcnt(49)
	buffer_store_dword v152, off, s[0:3], 0 offset:136
	buffer_store_dword v149, off, s[0:3], 0 offset:148
	buffer_store_dword v150, off, s[0:3], 0 offset:144
	;; [unrolled: 11-line block ×3, first 2 shown]
	buffer_store_dword v155, off, s[0:3], 0 offset:188
	buffer_store_dword v156, off, s[0:3], 0 offset:184
	s_waitcnt vmcnt(49)
	buffer_store_dword v112, off, s[0:3], 0 offset:196
	buffer_store_dword v154, off, s[0:3], 0 offset:192
	s_waitcnt vmcnt(49)
	buffer_store_dword v114, off, s[0:3], 0 offset:204
	s_waitcnt vmcnt(49)
	;; [unrolled: 2-line block ×3, first 2 shown]
	buffer_store_dword v163, off, s[0:3], 0 offset:212
	buffer_store_dword v113, off, s[0:3], 0 offset:208
	;; [unrolled: 1-line block ×3, first 2 shown]
	s_cselect_b64 s[10:11], -1, 0
	s_cmpk_eq_i32 s13, 0x84
	v_mov_b32_e32 v139, 0
	v_mov_b32_e32 v112, -1.0
	s_cbranch_scc1 .LBB118_3
; %bb.2:
	v_lshl_add_u32 v112, v0, 2, v139
	buffer_load_dword v113, v112, s[0:3], 0 offen
	s_waitcnt vmcnt(0)
	v_div_scale_f32 v114, s[4:5], v113, v113, 1.0
	v_rcp_f32_e32 v115, v114
	v_div_scale_f32 v116, vcc, 1.0, v113, 1.0
	v_fma_f32 v117, -v114, v115, 1.0
	v_fmac_f32_e32 v115, v117, v115
	v_mul_f32_e32 v117, v116, v115
	v_fma_f32 v118, -v114, v117, v116
	v_fmac_f32_e32 v117, v118, v115
	v_fma_f32 v114, -v114, v117, v116
	v_div_fmas_f32 v114, v114, v115, v117
	v_div_fixup_f32 v113, v114, v113, 1.0
	buffer_store_dword v113, v112, s[0:3], 0 offen
	v_xor_b32_e32 v112, 0x80000000, v113
.LBB118_3:
	ds_write_b32 v1, v112
	s_cmpk_eq_i32 s12, 0x79
	v_add_u32_e32 v112, 0xe0, v1
	v_add_u32_e32 v113, 0, v1
	s_mov_b64 s[4:5], -1
	s_cbranch_scc1 .LBB118_537
; %bb.4:
	buffer_load_dword v114, off, s[0:3], 0 offset:212
	v_cmp_eq_u32_e64 s[4:5], 54, v0
	s_waitcnt vmcnt(0)
	ds_write_b32 v112, v114
	s_waitcnt lgkmcnt(0)
	; wave barrier
	s_waitcnt lgkmcnt(0)
	s_and_saveexec_b64 s[6:7], s[4:5]
	s_cbranch_execz .LBB118_10
; %bb.5:
	s_and_b64 vcc, exec, s[10:11]
	s_cbranch_vccz .LBB118_7
; %bb.6:
	buffer_load_dword v114, v113, s[0:3], 0 offen
	ds_read_b32 v115, v112
	s_waitcnt vmcnt(0) lgkmcnt(0)
	v_mul_f32_e32 v114, v114, v115
	s_cbranch_execz .LBB118_8
	s_branch .LBB118_9
.LBB118_7:
                                        ; implicit-def: $vgpr114
.LBB118_8:
	ds_read_b32 v114, v112
.LBB118_9:
	v_mov_b32_e32 v115, 0
	ds_read_b32 v115, v115 offset:212
	s_waitcnt lgkmcnt(0)
	v_mul_f32_e32 v114, v114, v115
	buffer_store_dword v114, off, s[0:3], 0 offset:212
.LBB118_10:
	s_or_b64 exec, exec, s[6:7]
	buffer_load_dword v140, off, s[0:3], 0 offset:208
	v_or_b32_e32 v114, 8, v139
	v_add_u32_e32 v115, 16, v139
	v_add_u32_e32 v116, 24, v139
	;; [unrolled: 1-line block ×25, first 2 shown]
	v_cmp_lt_u32_e64 s[8:9], 52, v0
	s_waitcnt vmcnt(0)
	ds_write_b32 v112, v140
	s_waitcnt lgkmcnt(0)
	; wave barrier
	s_waitcnt lgkmcnt(0)
	s_and_saveexec_b64 s[6:7], s[8:9]
	s_cbranch_execz .LBB118_16
; %bb.11:
	s_andn2_b64 vcc, exec, s[10:11]
	s_cbranch_vccnz .LBB118_13
; %bb.12:
	buffer_load_dword v140, v113, s[0:3], 0 offen
	ds_read_b32 v141, v112
	s_waitcnt vmcnt(0) lgkmcnt(0)
	v_mul_f32_e32 v140, v140, v141
	s_cbranch_execz .LBB118_14
	s_branch .LBB118_15
.LBB118_13:
                                        ; implicit-def: $vgpr140
.LBB118_14:
	ds_read_b32 v140, v112
.LBB118_15:
	buffer_load_dword v141, off, s[0:3], 0 offset:212
	v_mov_b32_e32 v142, 0
	ds_read2_b32 v[142:143], v142 offset0:52 offset1:109
	s_waitcnt vmcnt(0) lgkmcnt(0)
	v_fma_f32 v141, v141, v143, v140
	v_cndmask_b32_e64 v140, v140, v141, s[4:5]
	v_mul_f32_e32 v140, v140, v142
	buffer_store_dword v140, off, s[0:3], 0 offset:208
.LBB118_16:
	s_or_b64 exec, exec, s[6:7]
	buffer_load_dword v140, off, s[0:3], 0 offset:204
	v_cmp_lt_u32_e64 s[6:7], 51, v0
	s_waitcnt vmcnt(0)
	ds_write_b32 v112, v140
	s_waitcnt lgkmcnt(0)
	; wave barrier
	s_waitcnt lgkmcnt(0)
	s_and_saveexec_b64 s[4:5], s[6:7]
	s_cbranch_execz .LBB118_26
; %bb.17:
	s_andn2_b64 vcc, exec, s[10:11]
	s_cbranch_vccnz .LBB118_19
; %bb.18:
	buffer_load_dword v140, v113, s[0:3], 0 offen
	ds_read_b32 v141, v112
	s_waitcnt vmcnt(0) lgkmcnt(0)
	v_mul_f32_e32 v140, v140, v141
	s_cbranch_execz .LBB118_20
	s_branch .LBB118_21
.LBB118_19:
                                        ; implicit-def: $vgpr140
.LBB118_20:
	ds_read_b32 v140, v112
.LBB118_21:
	s_and_saveexec_b64 s[12:13], s[8:9]
	s_cbranch_execz .LBB118_25
; %bb.22:
	v_subrev_u32_e32 v141, 52, v0
	s_movk_i32 s14, 0x1b0
	s_mov_b64 s[8:9], 0
.LBB118_23:                             ; =>This Inner Loop Header: Depth=1
	buffer_load_dword v142, v139, s[0:3], 0 offen
	v_mov_b32_e32 v143, s14
	ds_read_b32 v143, v143
	v_add_u32_e32 v141, -1, v141
	s_add_i32 s14, s14, 4
	v_cmp_eq_u32_e32 vcc, 0, v141
	v_add_u32_e32 v139, 4, v139
	s_or_b64 s[8:9], vcc, s[8:9]
	s_waitcnt vmcnt(0) lgkmcnt(0)
	v_fmac_f32_e32 v140, v142, v143
	s_andn2_b64 exec, exec, s[8:9]
	s_cbranch_execnz .LBB118_23
; %bb.24:
	s_or_b64 exec, exec, s[8:9]
.LBB118_25:
	s_or_b64 exec, exec, s[12:13]
	v_mov_b32_e32 v139, 0
	ds_read_b32 v139, v139 offset:204
	s_waitcnt lgkmcnt(0)
	v_mul_f32_e32 v139, v140, v139
	buffer_store_dword v139, off, s[0:3], 0 offset:204
.LBB118_26:
	s_or_b64 exec, exec, s[4:5]
	buffer_load_dword v139, off, s[0:3], 0 offset:200
	v_cmp_lt_u32_e64 s[4:5], 50, v0
	s_waitcnt vmcnt(0)
	ds_write_b32 v112, v139
	s_waitcnt lgkmcnt(0)
	; wave barrier
	s_waitcnt lgkmcnt(0)
	s_and_saveexec_b64 s[8:9], s[4:5]
	s_cbranch_execz .LBB118_36
; %bb.27:
	s_andn2_b64 vcc, exec, s[10:11]
	s_cbranch_vccnz .LBB118_29
; %bb.28:
	buffer_load_dword v139, v113, s[0:3], 0 offen
	ds_read_b32 v140, v112
	s_waitcnt vmcnt(0) lgkmcnt(0)
	v_mul_f32_e32 v139, v139, v140
	s_cbranch_execz .LBB118_30
	s_branch .LBB118_31
.LBB118_29:
                                        ; implicit-def: $vgpr139
.LBB118_30:
	ds_read_b32 v139, v112
.LBB118_31:
	s_and_saveexec_b64 s[12:13], s[6:7]
	s_cbranch_execz .LBB118_35
; %bb.32:
	v_mov_b32_e32 v140, 0
	v_add_u32_e32 v140, 0xcc, v140
	v_subrev_u32_e32 v141, 51, v0
	s_movk_i32 s14, 0x1ac
	s_mov_b64 s[6:7], 0
.LBB118_33:                             ; =>This Inner Loop Header: Depth=1
	buffer_load_dword v142, v140, s[0:3], 0 offen
	v_mov_b32_e32 v143, s14
	ds_read_b32 v143, v143
	v_add_u32_e32 v141, -1, v141
	s_add_i32 s14, s14, 4
	v_cmp_eq_u32_e32 vcc, 0, v141
	v_add_u32_e32 v140, 4, v140
	s_or_b64 s[6:7], vcc, s[6:7]
	s_waitcnt vmcnt(0) lgkmcnt(0)
	v_fmac_f32_e32 v139, v142, v143
	s_andn2_b64 exec, exec, s[6:7]
	s_cbranch_execnz .LBB118_33
; %bb.34:
	s_or_b64 exec, exec, s[6:7]
.LBB118_35:
	s_or_b64 exec, exec, s[12:13]
	v_mov_b32_e32 v140, 0
	ds_read_b32 v140, v140 offset:200
	s_waitcnt lgkmcnt(0)
	v_mul_f32_e32 v139, v139, v140
	buffer_store_dword v139, off, s[0:3], 0 offset:200
.LBB118_36:
	s_or_b64 exec, exec, s[8:9]
	buffer_load_dword v139, off, s[0:3], 0 offset:196
	v_cmp_lt_u32_e64 s[6:7], 49, v0
	s_waitcnt vmcnt(0)
	ds_write_b32 v112, v139
	s_waitcnt lgkmcnt(0)
	; wave barrier
	s_waitcnt lgkmcnt(0)
	s_and_saveexec_b64 s[8:9], s[6:7]
	s_cbranch_execz .LBB118_46
; %bb.37:
	s_andn2_b64 vcc, exec, s[10:11]
	s_cbranch_vccnz .LBB118_39
; %bb.38:
	buffer_load_dword v139, v113, s[0:3], 0 offen
	ds_read_b32 v140, v112
	s_waitcnt vmcnt(0) lgkmcnt(0)
	v_mul_f32_e32 v139, v139, v140
	s_cbranch_execz .LBB118_40
	s_branch .LBB118_41
.LBB118_39:
                                        ; implicit-def: $vgpr139
.LBB118_40:
	ds_read_b32 v139, v112
.LBB118_41:
	s_and_saveexec_b64 s[12:13], s[4:5]
	s_cbranch_execz .LBB118_45
; %bb.42:
	v_subrev_u32_e32 v140, 50, v0
	s_movk_i32 s14, 0x1a8
	s_mov_b64 s[4:5], 0
.LBB118_43:                             ; =>This Inner Loop Header: Depth=1
	buffer_load_dword v141, v138, s[0:3], 0 offen
	v_mov_b32_e32 v142, s14
	ds_read_b32 v142, v142
	v_add_u32_e32 v140, -1, v140
	s_add_i32 s14, s14, 4
	v_cmp_eq_u32_e32 vcc, 0, v140
	v_add_u32_e32 v138, 4, v138
	s_or_b64 s[4:5], vcc, s[4:5]
	s_waitcnt vmcnt(0) lgkmcnt(0)
	v_fmac_f32_e32 v139, v141, v142
	s_andn2_b64 exec, exec, s[4:5]
	s_cbranch_execnz .LBB118_43
; %bb.44:
	s_or_b64 exec, exec, s[4:5]
.LBB118_45:
	s_or_b64 exec, exec, s[12:13]
	v_mov_b32_e32 v138, 0
	ds_read_b32 v138, v138 offset:196
	s_waitcnt lgkmcnt(0)
	v_mul_f32_e32 v138, v139, v138
	buffer_store_dword v138, off, s[0:3], 0 offset:196
.LBB118_46:
	s_or_b64 exec, exec, s[8:9]
	buffer_load_dword v138, off, s[0:3], 0 offset:192
	v_cmp_lt_u32_e64 s[4:5], 48, v0
	s_waitcnt vmcnt(0)
	ds_write_b32 v112, v138
	s_waitcnt lgkmcnt(0)
	; wave barrier
	s_waitcnt lgkmcnt(0)
	s_and_saveexec_b64 s[8:9], s[4:5]
	s_cbranch_execz .LBB118_56
; %bb.47:
	s_andn2_b64 vcc, exec, s[10:11]
	s_cbranch_vccnz .LBB118_49
; %bb.48:
	buffer_load_dword v138, v113, s[0:3], 0 offen
	ds_read_b32 v139, v112
	s_waitcnt vmcnt(0) lgkmcnt(0)
	v_mul_f32_e32 v138, v138, v139
	s_cbranch_execz .LBB118_50
	s_branch .LBB118_51
.LBB118_49:
                                        ; implicit-def: $vgpr138
.LBB118_50:
	ds_read_b32 v138, v112
.LBB118_51:
	s_and_saveexec_b64 s[12:13], s[6:7]
	s_cbranch_execz .LBB118_55
; %bb.52:
	v_mov_b32_e32 v139, 0
	v_add_u32_e32 v139, 0xc4, v139
	v_subrev_u32_e32 v140, 49, v0
	s_movk_i32 s14, 0x1a4
	s_mov_b64 s[6:7], 0
.LBB118_53:                             ; =>This Inner Loop Header: Depth=1
	buffer_load_dword v141, v139, s[0:3], 0 offen
	v_mov_b32_e32 v142, s14
	ds_read_b32 v142, v142
	v_add_u32_e32 v140, -1, v140
	s_add_i32 s14, s14, 4
	v_cmp_eq_u32_e32 vcc, 0, v140
	v_add_u32_e32 v139, 4, v139
	s_or_b64 s[6:7], vcc, s[6:7]
	s_waitcnt vmcnt(0) lgkmcnt(0)
	v_fmac_f32_e32 v138, v141, v142
	s_andn2_b64 exec, exec, s[6:7]
	s_cbranch_execnz .LBB118_53
; %bb.54:
	s_or_b64 exec, exec, s[6:7]
.LBB118_55:
	s_or_b64 exec, exec, s[12:13]
	v_mov_b32_e32 v139, 0
	ds_read_b32 v139, v139 offset:192
	s_waitcnt lgkmcnt(0)
	v_mul_f32_e32 v138, v138, v139
	buffer_store_dword v138, off, s[0:3], 0 offset:192
.LBB118_56:
	s_or_b64 exec, exec, s[8:9]
	buffer_load_dword v138, off, s[0:3], 0 offset:188
	v_cmp_lt_u32_e64 s[6:7], 47, v0
	s_waitcnt vmcnt(0)
	ds_write_b32 v112, v138
	s_waitcnt lgkmcnt(0)
	; wave barrier
	s_waitcnt lgkmcnt(0)
	s_and_saveexec_b64 s[8:9], s[6:7]
	s_cbranch_execz .LBB118_66
; %bb.57:
	s_andn2_b64 vcc, exec, s[10:11]
	s_cbranch_vccnz .LBB118_59
; %bb.58:
	buffer_load_dword v138, v113, s[0:3], 0 offen
	ds_read_b32 v139, v112
	s_waitcnt vmcnt(0) lgkmcnt(0)
	v_mul_f32_e32 v138, v138, v139
	s_cbranch_execz .LBB118_60
	s_branch .LBB118_61
.LBB118_59:
                                        ; implicit-def: $vgpr138
.LBB118_60:
	ds_read_b32 v138, v112
.LBB118_61:
	s_and_saveexec_b64 s[12:13], s[4:5]
	s_cbranch_execz .LBB118_65
; %bb.62:
	v_subrev_u32_e32 v139, 48, v0
	s_movk_i32 s14, 0x1a0
	s_mov_b64 s[4:5], 0
.LBB118_63:                             ; =>This Inner Loop Header: Depth=1
	buffer_load_dword v140, v137, s[0:3], 0 offen
	v_mov_b32_e32 v141, s14
	ds_read_b32 v141, v141
	v_add_u32_e32 v139, -1, v139
	s_add_i32 s14, s14, 4
	v_cmp_eq_u32_e32 vcc, 0, v139
	v_add_u32_e32 v137, 4, v137
	s_or_b64 s[4:5], vcc, s[4:5]
	s_waitcnt vmcnt(0) lgkmcnt(0)
	v_fmac_f32_e32 v138, v140, v141
	s_andn2_b64 exec, exec, s[4:5]
	s_cbranch_execnz .LBB118_63
; %bb.64:
	s_or_b64 exec, exec, s[4:5]
.LBB118_65:
	s_or_b64 exec, exec, s[12:13]
	v_mov_b32_e32 v137, 0
	ds_read_b32 v137, v137 offset:188
	s_waitcnt lgkmcnt(0)
	v_mul_f32_e32 v137, v138, v137
	buffer_store_dword v137, off, s[0:3], 0 offset:188
.LBB118_66:
	s_or_b64 exec, exec, s[8:9]
	buffer_load_dword v137, off, s[0:3], 0 offset:184
	v_cmp_lt_u32_e64 s[4:5], 46, v0
	s_waitcnt vmcnt(0)
	ds_write_b32 v112, v137
	s_waitcnt lgkmcnt(0)
	; wave barrier
	s_waitcnt lgkmcnt(0)
	s_and_saveexec_b64 s[8:9], s[4:5]
	s_cbranch_execz .LBB118_76
; %bb.67:
	s_andn2_b64 vcc, exec, s[10:11]
	s_cbranch_vccnz .LBB118_69
; %bb.68:
	buffer_load_dword v137, v113, s[0:3], 0 offen
	ds_read_b32 v138, v112
	s_waitcnt vmcnt(0) lgkmcnt(0)
	v_mul_f32_e32 v137, v137, v138
	s_cbranch_execz .LBB118_70
	s_branch .LBB118_71
.LBB118_69:
                                        ; implicit-def: $vgpr137
.LBB118_70:
	ds_read_b32 v137, v112
.LBB118_71:
	s_and_saveexec_b64 s[12:13], s[6:7]
	s_cbranch_execz .LBB118_75
; %bb.72:
	v_mov_b32_e32 v138, 0
	v_add_u32_e32 v138, 0xbc, v138
	v_subrev_u32_e32 v139, 47, v0
	s_movk_i32 s14, 0x19c
	s_mov_b64 s[6:7], 0
.LBB118_73:                             ; =>This Inner Loop Header: Depth=1
	buffer_load_dword v140, v138, s[0:3], 0 offen
	v_mov_b32_e32 v141, s14
	ds_read_b32 v141, v141
	v_add_u32_e32 v139, -1, v139
	s_add_i32 s14, s14, 4
	v_cmp_eq_u32_e32 vcc, 0, v139
	v_add_u32_e32 v138, 4, v138
	s_or_b64 s[6:7], vcc, s[6:7]
	s_waitcnt vmcnt(0) lgkmcnt(0)
	v_fmac_f32_e32 v137, v140, v141
	s_andn2_b64 exec, exec, s[6:7]
	s_cbranch_execnz .LBB118_73
; %bb.74:
	s_or_b64 exec, exec, s[6:7]
.LBB118_75:
	s_or_b64 exec, exec, s[12:13]
	v_mov_b32_e32 v138, 0
	ds_read_b32 v138, v138 offset:184
	s_waitcnt lgkmcnt(0)
	v_mul_f32_e32 v137, v137, v138
	buffer_store_dword v137, off, s[0:3], 0 offset:184
.LBB118_76:
	s_or_b64 exec, exec, s[8:9]
	buffer_load_dword v137, off, s[0:3], 0 offset:180
	v_cmp_lt_u32_e64 s[6:7], 45, v0
	s_waitcnt vmcnt(0)
	ds_write_b32 v112, v137
	s_waitcnt lgkmcnt(0)
	; wave barrier
	s_waitcnt lgkmcnt(0)
	s_and_saveexec_b64 s[8:9], s[6:7]
	s_cbranch_execz .LBB118_86
; %bb.77:
	s_andn2_b64 vcc, exec, s[10:11]
	s_cbranch_vccnz .LBB118_79
; %bb.78:
	buffer_load_dword v137, v113, s[0:3], 0 offen
	ds_read_b32 v138, v112
	s_waitcnt vmcnt(0) lgkmcnt(0)
	v_mul_f32_e32 v137, v137, v138
	s_cbranch_execz .LBB118_80
	s_branch .LBB118_81
.LBB118_79:
                                        ; implicit-def: $vgpr137
.LBB118_80:
	ds_read_b32 v137, v112
.LBB118_81:
	s_and_saveexec_b64 s[12:13], s[4:5]
	s_cbranch_execz .LBB118_85
; %bb.82:
	v_subrev_u32_e32 v138, 46, v0
	s_movk_i32 s14, 0x198
	s_mov_b64 s[4:5], 0
.LBB118_83:                             ; =>This Inner Loop Header: Depth=1
	buffer_load_dword v139, v136, s[0:3], 0 offen
	v_mov_b32_e32 v140, s14
	ds_read_b32 v140, v140
	v_add_u32_e32 v138, -1, v138
	s_add_i32 s14, s14, 4
	v_cmp_eq_u32_e32 vcc, 0, v138
	v_add_u32_e32 v136, 4, v136
	s_or_b64 s[4:5], vcc, s[4:5]
	s_waitcnt vmcnt(0) lgkmcnt(0)
	v_fmac_f32_e32 v137, v139, v140
	s_andn2_b64 exec, exec, s[4:5]
	s_cbranch_execnz .LBB118_83
; %bb.84:
	s_or_b64 exec, exec, s[4:5]
.LBB118_85:
	s_or_b64 exec, exec, s[12:13]
	v_mov_b32_e32 v136, 0
	ds_read_b32 v136, v136 offset:180
	s_waitcnt lgkmcnt(0)
	v_mul_f32_e32 v136, v137, v136
	buffer_store_dword v136, off, s[0:3], 0 offset:180
.LBB118_86:
	s_or_b64 exec, exec, s[8:9]
	buffer_load_dword v136, off, s[0:3], 0 offset:176
	v_cmp_lt_u32_e64 s[4:5], 44, v0
	s_waitcnt vmcnt(0)
	ds_write_b32 v112, v136
	s_waitcnt lgkmcnt(0)
	; wave barrier
	s_waitcnt lgkmcnt(0)
	s_and_saveexec_b64 s[8:9], s[4:5]
	s_cbranch_execz .LBB118_96
; %bb.87:
	s_andn2_b64 vcc, exec, s[10:11]
	s_cbranch_vccnz .LBB118_89
; %bb.88:
	buffer_load_dword v136, v113, s[0:3], 0 offen
	ds_read_b32 v137, v112
	s_waitcnt vmcnt(0) lgkmcnt(0)
	v_mul_f32_e32 v136, v136, v137
	s_cbranch_execz .LBB118_90
	s_branch .LBB118_91
.LBB118_89:
                                        ; implicit-def: $vgpr136
.LBB118_90:
	ds_read_b32 v136, v112
.LBB118_91:
	s_and_saveexec_b64 s[12:13], s[6:7]
	s_cbranch_execz .LBB118_95
; %bb.92:
	v_mov_b32_e32 v137, 0
	v_add_u32_e32 v137, 0xb4, v137
	v_subrev_u32_e32 v138, 45, v0
	s_movk_i32 s14, 0x194
	s_mov_b64 s[6:7], 0
.LBB118_93:                             ; =>This Inner Loop Header: Depth=1
	buffer_load_dword v139, v137, s[0:3], 0 offen
	v_mov_b32_e32 v140, s14
	ds_read_b32 v140, v140
	v_add_u32_e32 v138, -1, v138
	s_add_i32 s14, s14, 4
	v_cmp_eq_u32_e32 vcc, 0, v138
	v_add_u32_e32 v137, 4, v137
	s_or_b64 s[6:7], vcc, s[6:7]
	s_waitcnt vmcnt(0) lgkmcnt(0)
	v_fmac_f32_e32 v136, v139, v140
	s_andn2_b64 exec, exec, s[6:7]
	s_cbranch_execnz .LBB118_93
; %bb.94:
	s_or_b64 exec, exec, s[6:7]
.LBB118_95:
	s_or_b64 exec, exec, s[12:13]
	v_mov_b32_e32 v137, 0
	ds_read_b32 v137, v137 offset:176
	s_waitcnt lgkmcnt(0)
	v_mul_f32_e32 v136, v136, v137
	buffer_store_dword v136, off, s[0:3], 0 offset:176
.LBB118_96:
	s_or_b64 exec, exec, s[8:9]
	buffer_load_dword v136, off, s[0:3], 0 offset:172
	v_cmp_lt_u32_e64 s[6:7], 43, v0
	s_waitcnt vmcnt(0)
	ds_write_b32 v112, v136
	s_waitcnt lgkmcnt(0)
	; wave barrier
	s_waitcnt lgkmcnt(0)
	s_and_saveexec_b64 s[8:9], s[6:7]
	s_cbranch_execz .LBB118_106
; %bb.97:
	s_andn2_b64 vcc, exec, s[10:11]
	s_cbranch_vccnz .LBB118_99
; %bb.98:
	buffer_load_dword v136, v113, s[0:3], 0 offen
	ds_read_b32 v137, v112
	s_waitcnt vmcnt(0) lgkmcnt(0)
	v_mul_f32_e32 v136, v136, v137
	s_cbranch_execz .LBB118_100
	s_branch .LBB118_101
.LBB118_99:
                                        ; implicit-def: $vgpr136
.LBB118_100:
	ds_read_b32 v136, v112
.LBB118_101:
	s_and_saveexec_b64 s[12:13], s[4:5]
	s_cbranch_execz .LBB118_105
; %bb.102:
	v_subrev_u32_e32 v137, 44, v0
	s_movk_i32 s14, 0x190
	s_mov_b64 s[4:5], 0
.LBB118_103:                            ; =>This Inner Loop Header: Depth=1
	buffer_load_dword v138, v135, s[0:3], 0 offen
	v_mov_b32_e32 v139, s14
	ds_read_b32 v139, v139
	v_add_u32_e32 v137, -1, v137
	s_add_i32 s14, s14, 4
	v_cmp_eq_u32_e32 vcc, 0, v137
	v_add_u32_e32 v135, 4, v135
	s_or_b64 s[4:5], vcc, s[4:5]
	s_waitcnt vmcnt(0) lgkmcnt(0)
	v_fmac_f32_e32 v136, v138, v139
	s_andn2_b64 exec, exec, s[4:5]
	s_cbranch_execnz .LBB118_103
; %bb.104:
	s_or_b64 exec, exec, s[4:5]
.LBB118_105:
	s_or_b64 exec, exec, s[12:13]
	v_mov_b32_e32 v135, 0
	ds_read_b32 v135, v135 offset:172
	s_waitcnt lgkmcnt(0)
	v_mul_f32_e32 v135, v136, v135
	buffer_store_dword v135, off, s[0:3], 0 offset:172
.LBB118_106:
	s_or_b64 exec, exec, s[8:9]
	buffer_load_dword v135, off, s[0:3], 0 offset:168
	v_cmp_lt_u32_e64 s[4:5], 42, v0
	s_waitcnt vmcnt(0)
	ds_write_b32 v112, v135
	s_waitcnt lgkmcnt(0)
	; wave barrier
	s_waitcnt lgkmcnt(0)
	s_and_saveexec_b64 s[8:9], s[4:5]
	s_cbranch_execz .LBB118_116
; %bb.107:
	s_andn2_b64 vcc, exec, s[10:11]
	s_cbranch_vccnz .LBB118_109
; %bb.108:
	buffer_load_dword v135, v113, s[0:3], 0 offen
	ds_read_b32 v136, v112
	s_waitcnt vmcnt(0) lgkmcnt(0)
	v_mul_f32_e32 v135, v135, v136
	s_cbranch_execz .LBB118_110
	s_branch .LBB118_111
.LBB118_109:
                                        ; implicit-def: $vgpr135
.LBB118_110:
	ds_read_b32 v135, v112
.LBB118_111:
	s_and_saveexec_b64 s[12:13], s[6:7]
	s_cbranch_execz .LBB118_115
; %bb.112:
	v_mov_b32_e32 v136, 0
	v_add_u32_e32 v136, 0xac, v136
	v_subrev_u32_e32 v137, 43, v0
	s_movk_i32 s14, 0x18c
	s_mov_b64 s[6:7], 0
.LBB118_113:                            ; =>This Inner Loop Header: Depth=1
	buffer_load_dword v138, v136, s[0:3], 0 offen
	v_mov_b32_e32 v139, s14
	ds_read_b32 v139, v139
	v_add_u32_e32 v137, -1, v137
	s_add_i32 s14, s14, 4
	v_cmp_eq_u32_e32 vcc, 0, v137
	v_add_u32_e32 v136, 4, v136
	s_or_b64 s[6:7], vcc, s[6:7]
	s_waitcnt vmcnt(0) lgkmcnt(0)
	v_fmac_f32_e32 v135, v138, v139
	s_andn2_b64 exec, exec, s[6:7]
	s_cbranch_execnz .LBB118_113
; %bb.114:
	s_or_b64 exec, exec, s[6:7]
.LBB118_115:
	s_or_b64 exec, exec, s[12:13]
	v_mov_b32_e32 v136, 0
	ds_read_b32 v136, v136 offset:168
	s_waitcnt lgkmcnt(0)
	v_mul_f32_e32 v135, v135, v136
	buffer_store_dword v135, off, s[0:3], 0 offset:168
.LBB118_116:
	s_or_b64 exec, exec, s[8:9]
	buffer_load_dword v135, off, s[0:3], 0 offset:164
	v_cmp_lt_u32_e64 s[6:7], 41, v0
	s_waitcnt vmcnt(0)
	ds_write_b32 v112, v135
	s_waitcnt lgkmcnt(0)
	; wave barrier
	s_waitcnt lgkmcnt(0)
	s_and_saveexec_b64 s[8:9], s[6:7]
	s_cbranch_execz .LBB118_126
; %bb.117:
	s_andn2_b64 vcc, exec, s[10:11]
	s_cbranch_vccnz .LBB118_119
; %bb.118:
	buffer_load_dword v135, v113, s[0:3], 0 offen
	ds_read_b32 v136, v112
	s_waitcnt vmcnt(0) lgkmcnt(0)
	v_mul_f32_e32 v135, v135, v136
	s_cbranch_execz .LBB118_120
	s_branch .LBB118_121
.LBB118_119:
                                        ; implicit-def: $vgpr135
.LBB118_120:
	ds_read_b32 v135, v112
.LBB118_121:
	s_and_saveexec_b64 s[12:13], s[4:5]
	s_cbranch_execz .LBB118_125
; %bb.122:
	v_subrev_u32_e32 v136, 42, v0
	s_movk_i32 s14, 0x188
	s_mov_b64 s[4:5], 0
.LBB118_123:                            ; =>This Inner Loop Header: Depth=1
	buffer_load_dword v137, v134, s[0:3], 0 offen
	v_mov_b32_e32 v138, s14
	ds_read_b32 v138, v138
	v_add_u32_e32 v136, -1, v136
	s_add_i32 s14, s14, 4
	v_cmp_eq_u32_e32 vcc, 0, v136
	v_add_u32_e32 v134, 4, v134
	s_or_b64 s[4:5], vcc, s[4:5]
	s_waitcnt vmcnt(0) lgkmcnt(0)
	v_fmac_f32_e32 v135, v137, v138
	s_andn2_b64 exec, exec, s[4:5]
	s_cbranch_execnz .LBB118_123
; %bb.124:
	s_or_b64 exec, exec, s[4:5]
.LBB118_125:
	s_or_b64 exec, exec, s[12:13]
	v_mov_b32_e32 v134, 0
	ds_read_b32 v134, v134 offset:164
	s_waitcnt lgkmcnt(0)
	v_mul_f32_e32 v134, v135, v134
	buffer_store_dword v134, off, s[0:3], 0 offset:164
.LBB118_126:
	s_or_b64 exec, exec, s[8:9]
	buffer_load_dword v134, off, s[0:3], 0 offset:160
	v_cmp_lt_u32_e64 s[4:5], 40, v0
	s_waitcnt vmcnt(0)
	ds_write_b32 v112, v134
	s_waitcnt lgkmcnt(0)
	; wave barrier
	s_waitcnt lgkmcnt(0)
	s_and_saveexec_b64 s[8:9], s[4:5]
	s_cbranch_execz .LBB118_136
; %bb.127:
	s_andn2_b64 vcc, exec, s[10:11]
	s_cbranch_vccnz .LBB118_129
; %bb.128:
	buffer_load_dword v134, v113, s[0:3], 0 offen
	ds_read_b32 v135, v112
	s_waitcnt vmcnt(0) lgkmcnt(0)
	v_mul_f32_e32 v134, v134, v135
	s_cbranch_execz .LBB118_130
	s_branch .LBB118_131
.LBB118_129:
                                        ; implicit-def: $vgpr134
.LBB118_130:
	ds_read_b32 v134, v112
.LBB118_131:
	s_and_saveexec_b64 s[12:13], s[6:7]
	s_cbranch_execz .LBB118_135
; %bb.132:
	v_mov_b32_e32 v135, 0
	v_add_u32_e32 v135, 0xa4, v135
	v_subrev_u32_e32 v136, 41, v0
	s_movk_i32 s14, 0x184
	s_mov_b64 s[6:7], 0
.LBB118_133:                            ; =>This Inner Loop Header: Depth=1
	buffer_load_dword v137, v135, s[0:3], 0 offen
	v_mov_b32_e32 v138, s14
	ds_read_b32 v138, v138
	v_add_u32_e32 v136, -1, v136
	s_add_i32 s14, s14, 4
	v_cmp_eq_u32_e32 vcc, 0, v136
	v_add_u32_e32 v135, 4, v135
	s_or_b64 s[6:7], vcc, s[6:7]
	s_waitcnt vmcnt(0) lgkmcnt(0)
	v_fmac_f32_e32 v134, v137, v138
	s_andn2_b64 exec, exec, s[6:7]
	s_cbranch_execnz .LBB118_133
; %bb.134:
	s_or_b64 exec, exec, s[6:7]
.LBB118_135:
	s_or_b64 exec, exec, s[12:13]
	v_mov_b32_e32 v135, 0
	ds_read_b32 v135, v135 offset:160
	s_waitcnt lgkmcnt(0)
	v_mul_f32_e32 v134, v134, v135
	buffer_store_dword v134, off, s[0:3], 0 offset:160
.LBB118_136:
	s_or_b64 exec, exec, s[8:9]
	buffer_load_dword v134, off, s[0:3], 0 offset:156
	v_cmp_lt_u32_e64 s[6:7], 39, v0
	s_waitcnt vmcnt(0)
	ds_write_b32 v112, v134
	s_waitcnt lgkmcnt(0)
	; wave barrier
	s_waitcnt lgkmcnt(0)
	s_and_saveexec_b64 s[8:9], s[6:7]
	s_cbranch_execz .LBB118_146
; %bb.137:
	s_andn2_b64 vcc, exec, s[10:11]
	s_cbranch_vccnz .LBB118_139
; %bb.138:
	buffer_load_dword v134, v113, s[0:3], 0 offen
	ds_read_b32 v135, v112
	s_waitcnt vmcnt(0) lgkmcnt(0)
	v_mul_f32_e32 v134, v134, v135
	s_cbranch_execz .LBB118_140
	s_branch .LBB118_141
.LBB118_139:
                                        ; implicit-def: $vgpr134
.LBB118_140:
	ds_read_b32 v134, v112
.LBB118_141:
	s_and_saveexec_b64 s[12:13], s[4:5]
	s_cbranch_execz .LBB118_145
; %bb.142:
	v_subrev_u32_e32 v135, 40, v0
	s_movk_i32 s14, 0x180
	s_mov_b64 s[4:5], 0
.LBB118_143:                            ; =>This Inner Loop Header: Depth=1
	buffer_load_dword v136, v133, s[0:3], 0 offen
	v_mov_b32_e32 v137, s14
	ds_read_b32 v137, v137
	v_add_u32_e32 v135, -1, v135
	s_add_i32 s14, s14, 4
	v_cmp_eq_u32_e32 vcc, 0, v135
	v_add_u32_e32 v133, 4, v133
	s_or_b64 s[4:5], vcc, s[4:5]
	s_waitcnt vmcnt(0) lgkmcnt(0)
	v_fmac_f32_e32 v134, v136, v137
	s_andn2_b64 exec, exec, s[4:5]
	s_cbranch_execnz .LBB118_143
; %bb.144:
	s_or_b64 exec, exec, s[4:5]
.LBB118_145:
	s_or_b64 exec, exec, s[12:13]
	v_mov_b32_e32 v133, 0
	ds_read_b32 v133, v133 offset:156
	s_waitcnt lgkmcnt(0)
	v_mul_f32_e32 v133, v134, v133
	buffer_store_dword v133, off, s[0:3], 0 offset:156
.LBB118_146:
	s_or_b64 exec, exec, s[8:9]
	buffer_load_dword v133, off, s[0:3], 0 offset:152
	v_cmp_lt_u32_e64 s[4:5], 38, v0
	s_waitcnt vmcnt(0)
	ds_write_b32 v112, v133
	s_waitcnt lgkmcnt(0)
	; wave barrier
	s_waitcnt lgkmcnt(0)
	s_and_saveexec_b64 s[8:9], s[4:5]
	s_cbranch_execz .LBB118_156
; %bb.147:
	s_andn2_b64 vcc, exec, s[10:11]
	s_cbranch_vccnz .LBB118_149
; %bb.148:
	buffer_load_dword v133, v113, s[0:3], 0 offen
	ds_read_b32 v134, v112
	s_waitcnt vmcnt(0) lgkmcnt(0)
	v_mul_f32_e32 v133, v133, v134
	s_cbranch_execz .LBB118_150
	s_branch .LBB118_151
.LBB118_149:
                                        ; implicit-def: $vgpr133
.LBB118_150:
	ds_read_b32 v133, v112
.LBB118_151:
	s_and_saveexec_b64 s[12:13], s[6:7]
	s_cbranch_execz .LBB118_155
; %bb.152:
	v_mov_b32_e32 v134, 0
	v_add_u32_e32 v134, 0x9c, v134
	v_subrev_u32_e32 v135, 39, v0
	s_movk_i32 s14, 0x17c
	s_mov_b64 s[6:7], 0
.LBB118_153:                            ; =>This Inner Loop Header: Depth=1
	buffer_load_dword v136, v134, s[0:3], 0 offen
	v_mov_b32_e32 v137, s14
	ds_read_b32 v137, v137
	v_add_u32_e32 v135, -1, v135
	s_add_i32 s14, s14, 4
	v_cmp_eq_u32_e32 vcc, 0, v135
	v_add_u32_e32 v134, 4, v134
	s_or_b64 s[6:7], vcc, s[6:7]
	s_waitcnt vmcnt(0) lgkmcnt(0)
	v_fmac_f32_e32 v133, v136, v137
	s_andn2_b64 exec, exec, s[6:7]
	s_cbranch_execnz .LBB118_153
; %bb.154:
	s_or_b64 exec, exec, s[6:7]
.LBB118_155:
	s_or_b64 exec, exec, s[12:13]
	v_mov_b32_e32 v134, 0
	ds_read_b32 v134, v134 offset:152
	s_waitcnt lgkmcnt(0)
	v_mul_f32_e32 v133, v133, v134
	buffer_store_dword v133, off, s[0:3], 0 offset:152
.LBB118_156:
	s_or_b64 exec, exec, s[8:9]
	buffer_load_dword v133, off, s[0:3], 0 offset:148
	v_cmp_lt_u32_e64 s[6:7], 37, v0
	s_waitcnt vmcnt(0)
	ds_write_b32 v112, v133
	s_waitcnt lgkmcnt(0)
	; wave barrier
	s_waitcnt lgkmcnt(0)
	s_and_saveexec_b64 s[8:9], s[6:7]
	s_cbranch_execz .LBB118_166
; %bb.157:
	s_andn2_b64 vcc, exec, s[10:11]
	s_cbranch_vccnz .LBB118_159
; %bb.158:
	buffer_load_dword v133, v113, s[0:3], 0 offen
	ds_read_b32 v134, v112
	s_waitcnt vmcnt(0) lgkmcnt(0)
	v_mul_f32_e32 v133, v133, v134
	s_cbranch_execz .LBB118_160
	s_branch .LBB118_161
.LBB118_159:
                                        ; implicit-def: $vgpr133
.LBB118_160:
	ds_read_b32 v133, v112
.LBB118_161:
	s_and_saveexec_b64 s[12:13], s[4:5]
	s_cbranch_execz .LBB118_165
; %bb.162:
	v_subrev_u32_e32 v134, 38, v0
	s_movk_i32 s14, 0x178
	s_mov_b64 s[4:5], 0
.LBB118_163:                            ; =>This Inner Loop Header: Depth=1
	buffer_load_dword v135, v132, s[0:3], 0 offen
	v_mov_b32_e32 v136, s14
	ds_read_b32 v136, v136
	v_add_u32_e32 v134, -1, v134
	s_add_i32 s14, s14, 4
	v_cmp_eq_u32_e32 vcc, 0, v134
	v_add_u32_e32 v132, 4, v132
	s_or_b64 s[4:5], vcc, s[4:5]
	s_waitcnt vmcnt(0) lgkmcnt(0)
	v_fmac_f32_e32 v133, v135, v136
	s_andn2_b64 exec, exec, s[4:5]
	s_cbranch_execnz .LBB118_163
; %bb.164:
	s_or_b64 exec, exec, s[4:5]
.LBB118_165:
	s_or_b64 exec, exec, s[12:13]
	v_mov_b32_e32 v132, 0
	ds_read_b32 v132, v132 offset:148
	s_waitcnt lgkmcnt(0)
	v_mul_f32_e32 v132, v133, v132
	buffer_store_dword v132, off, s[0:3], 0 offset:148
.LBB118_166:
	s_or_b64 exec, exec, s[8:9]
	buffer_load_dword v132, off, s[0:3], 0 offset:144
	v_cmp_lt_u32_e64 s[4:5], 36, v0
	s_waitcnt vmcnt(0)
	ds_write_b32 v112, v132
	s_waitcnt lgkmcnt(0)
	; wave barrier
	s_waitcnt lgkmcnt(0)
	s_and_saveexec_b64 s[8:9], s[4:5]
	s_cbranch_execz .LBB118_176
; %bb.167:
	s_andn2_b64 vcc, exec, s[10:11]
	s_cbranch_vccnz .LBB118_169
; %bb.168:
	buffer_load_dword v132, v113, s[0:3], 0 offen
	ds_read_b32 v133, v112
	s_waitcnt vmcnt(0) lgkmcnt(0)
	v_mul_f32_e32 v132, v132, v133
	s_cbranch_execz .LBB118_170
	s_branch .LBB118_171
.LBB118_169:
                                        ; implicit-def: $vgpr132
.LBB118_170:
	ds_read_b32 v132, v112
.LBB118_171:
	s_and_saveexec_b64 s[12:13], s[6:7]
	s_cbranch_execz .LBB118_175
; %bb.172:
	v_mov_b32_e32 v133, 0
	v_add_u32_e32 v133, 0x94, v133
	v_subrev_u32_e32 v134, 37, v0
	s_movk_i32 s14, 0x174
	s_mov_b64 s[6:7], 0
.LBB118_173:                            ; =>This Inner Loop Header: Depth=1
	buffer_load_dword v135, v133, s[0:3], 0 offen
	v_mov_b32_e32 v136, s14
	ds_read_b32 v136, v136
	v_add_u32_e32 v134, -1, v134
	s_add_i32 s14, s14, 4
	v_cmp_eq_u32_e32 vcc, 0, v134
	v_add_u32_e32 v133, 4, v133
	s_or_b64 s[6:7], vcc, s[6:7]
	s_waitcnt vmcnt(0) lgkmcnt(0)
	v_fmac_f32_e32 v132, v135, v136
	s_andn2_b64 exec, exec, s[6:7]
	s_cbranch_execnz .LBB118_173
; %bb.174:
	s_or_b64 exec, exec, s[6:7]
.LBB118_175:
	s_or_b64 exec, exec, s[12:13]
	v_mov_b32_e32 v133, 0
	ds_read_b32 v133, v133 offset:144
	s_waitcnt lgkmcnt(0)
	v_mul_f32_e32 v132, v132, v133
	buffer_store_dword v132, off, s[0:3], 0 offset:144
.LBB118_176:
	s_or_b64 exec, exec, s[8:9]
	buffer_load_dword v132, off, s[0:3], 0 offset:140
	v_cmp_lt_u32_e64 s[6:7], 35, v0
	s_waitcnt vmcnt(0)
	ds_write_b32 v112, v132
	s_waitcnt lgkmcnt(0)
	; wave barrier
	s_waitcnt lgkmcnt(0)
	s_and_saveexec_b64 s[8:9], s[6:7]
	s_cbranch_execz .LBB118_186
; %bb.177:
	s_andn2_b64 vcc, exec, s[10:11]
	s_cbranch_vccnz .LBB118_179
; %bb.178:
	buffer_load_dword v132, v113, s[0:3], 0 offen
	ds_read_b32 v133, v112
	s_waitcnt vmcnt(0) lgkmcnt(0)
	v_mul_f32_e32 v132, v132, v133
	s_cbranch_execz .LBB118_180
	s_branch .LBB118_181
.LBB118_179:
                                        ; implicit-def: $vgpr132
.LBB118_180:
	ds_read_b32 v132, v112
.LBB118_181:
	s_and_saveexec_b64 s[12:13], s[4:5]
	s_cbranch_execz .LBB118_185
; %bb.182:
	v_subrev_u32_e32 v133, 36, v0
	s_movk_i32 s14, 0x170
	s_mov_b64 s[4:5], 0
.LBB118_183:                            ; =>This Inner Loop Header: Depth=1
	buffer_load_dword v134, v131, s[0:3], 0 offen
	v_mov_b32_e32 v135, s14
	ds_read_b32 v135, v135
	v_add_u32_e32 v133, -1, v133
	s_add_i32 s14, s14, 4
	v_cmp_eq_u32_e32 vcc, 0, v133
	v_add_u32_e32 v131, 4, v131
	s_or_b64 s[4:5], vcc, s[4:5]
	s_waitcnt vmcnt(0) lgkmcnt(0)
	v_fmac_f32_e32 v132, v134, v135
	s_andn2_b64 exec, exec, s[4:5]
	s_cbranch_execnz .LBB118_183
; %bb.184:
	s_or_b64 exec, exec, s[4:5]
.LBB118_185:
	s_or_b64 exec, exec, s[12:13]
	v_mov_b32_e32 v131, 0
	ds_read_b32 v131, v131 offset:140
	s_waitcnt lgkmcnt(0)
	v_mul_f32_e32 v131, v132, v131
	buffer_store_dword v131, off, s[0:3], 0 offset:140
.LBB118_186:
	s_or_b64 exec, exec, s[8:9]
	buffer_load_dword v131, off, s[0:3], 0 offset:136
	v_cmp_lt_u32_e64 s[4:5], 34, v0
	s_waitcnt vmcnt(0)
	ds_write_b32 v112, v131
	s_waitcnt lgkmcnt(0)
	; wave barrier
	s_waitcnt lgkmcnt(0)
	s_and_saveexec_b64 s[8:9], s[4:5]
	s_cbranch_execz .LBB118_196
; %bb.187:
	s_andn2_b64 vcc, exec, s[10:11]
	s_cbranch_vccnz .LBB118_189
; %bb.188:
	buffer_load_dword v131, v113, s[0:3], 0 offen
	ds_read_b32 v132, v112
	s_waitcnt vmcnt(0) lgkmcnt(0)
	v_mul_f32_e32 v131, v131, v132
	s_cbranch_execz .LBB118_190
	s_branch .LBB118_191
.LBB118_189:
                                        ; implicit-def: $vgpr131
.LBB118_190:
	ds_read_b32 v131, v112
.LBB118_191:
	s_and_saveexec_b64 s[12:13], s[6:7]
	s_cbranch_execz .LBB118_195
; %bb.192:
	v_mov_b32_e32 v132, 0
	v_add_u32_e32 v132, 0x8c, v132
	v_subrev_u32_e32 v133, 35, v0
	s_movk_i32 s14, 0x16c
	s_mov_b64 s[6:7], 0
.LBB118_193:                            ; =>This Inner Loop Header: Depth=1
	buffer_load_dword v134, v132, s[0:3], 0 offen
	v_mov_b32_e32 v135, s14
	ds_read_b32 v135, v135
	v_add_u32_e32 v133, -1, v133
	s_add_i32 s14, s14, 4
	v_cmp_eq_u32_e32 vcc, 0, v133
	v_add_u32_e32 v132, 4, v132
	s_or_b64 s[6:7], vcc, s[6:7]
	s_waitcnt vmcnt(0) lgkmcnt(0)
	v_fmac_f32_e32 v131, v134, v135
	s_andn2_b64 exec, exec, s[6:7]
	s_cbranch_execnz .LBB118_193
; %bb.194:
	s_or_b64 exec, exec, s[6:7]
.LBB118_195:
	s_or_b64 exec, exec, s[12:13]
	v_mov_b32_e32 v132, 0
	ds_read_b32 v132, v132 offset:136
	s_waitcnt lgkmcnt(0)
	v_mul_f32_e32 v131, v131, v132
	buffer_store_dword v131, off, s[0:3], 0 offset:136
.LBB118_196:
	s_or_b64 exec, exec, s[8:9]
	buffer_load_dword v131, off, s[0:3], 0 offset:132
	v_cmp_lt_u32_e64 s[6:7], 33, v0
	s_waitcnt vmcnt(0)
	ds_write_b32 v112, v131
	s_waitcnt lgkmcnt(0)
	; wave barrier
	s_waitcnt lgkmcnt(0)
	s_and_saveexec_b64 s[8:9], s[6:7]
	s_cbranch_execz .LBB118_206
; %bb.197:
	s_andn2_b64 vcc, exec, s[10:11]
	s_cbranch_vccnz .LBB118_199
; %bb.198:
	buffer_load_dword v131, v113, s[0:3], 0 offen
	ds_read_b32 v132, v112
	s_waitcnt vmcnt(0) lgkmcnt(0)
	v_mul_f32_e32 v131, v131, v132
	s_cbranch_execz .LBB118_200
	s_branch .LBB118_201
.LBB118_199:
                                        ; implicit-def: $vgpr131
.LBB118_200:
	ds_read_b32 v131, v112
.LBB118_201:
	s_and_saveexec_b64 s[12:13], s[4:5]
	s_cbranch_execz .LBB118_205
; %bb.202:
	v_subrev_u32_e32 v132, 34, v0
	s_movk_i32 s14, 0x168
	s_mov_b64 s[4:5], 0
.LBB118_203:                            ; =>This Inner Loop Header: Depth=1
	buffer_load_dword v133, v130, s[0:3], 0 offen
	v_mov_b32_e32 v134, s14
	ds_read_b32 v134, v134
	v_add_u32_e32 v132, -1, v132
	s_add_i32 s14, s14, 4
	v_cmp_eq_u32_e32 vcc, 0, v132
	v_add_u32_e32 v130, 4, v130
	s_or_b64 s[4:5], vcc, s[4:5]
	s_waitcnt vmcnt(0) lgkmcnt(0)
	v_fmac_f32_e32 v131, v133, v134
	s_andn2_b64 exec, exec, s[4:5]
	s_cbranch_execnz .LBB118_203
; %bb.204:
	s_or_b64 exec, exec, s[4:5]
.LBB118_205:
	s_or_b64 exec, exec, s[12:13]
	v_mov_b32_e32 v130, 0
	ds_read_b32 v130, v130 offset:132
	s_waitcnt lgkmcnt(0)
	v_mul_f32_e32 v130, v131, v130
	buffer_store_dword v130, off, s[0:3], 0 offset:132
.LBB118_206:
	s_or_b64 exec, exec, s[8:9]
	buffer_load_dword v130, off, s[0:3], 0 offset:128
	v_cmp_lt_u32_e64 s[4:5], 32, v0
	s_waitcnt vmcnt(0)
	ds_write_b32 v112, v130
	s_waitcnt lgkmcnt(0)
	; wave barrier
	s_waitcnt lgkmcnt(0)
	s_and_saveexec_b64 s[8:9], s[4:5]
	s_cbranch_execz .LBB118_216
; %bb.207:
	s_andn2_b64 vcc, exec, s[10:11]
	s_cbranch_vccnz .LBB118_209
; %bb.208:
	buffer_load_dword v130, v113, s[0:3], 0 offen
	ds_read_b32 v131, v112
	s_waitcnt vmcnt(0) lgkmcnt(0)
	v_mul_f32_e32 v130, v130, v131
	s_cbranch_execz .LBB118_210
	s_branch .LBB118_211
.LBB118_209:
                                        ; implicit-def: $vgpr130
.LBB118_210:
	ds_read_b32 v130, v112
.LBB118_211:
	s_and_saveexec_b64 s[12:13], s[6:7]
	s_cbranch_execz .LBB118_215
; %bb.212:
	v_mov_b32_e32 v131, 0
	v_add_u32_e32 v131, 0x84, v131
	v_subrev_u32_e32 v132, 33, v0
	s_movk_i32 s14, 0x164
	s_mov_b64 s[6:7], 0
.LBB118_213:                            ; =>This Inner Loop Header: Depth=1
	buffer_load_dword v133, v131, s[0:3], 0 offen
	v_mov_b32_e32 v134, s14
	ds_read_b32 v134, v134
	v_add_u32_e32 v132, -1, v132
	s_add_i32 s14, s14, 4
	v_cmp_eq_u32_e32 vcc, 0, v132
	v_add_u32_e32 v131, 4, v131
	s_or_b64 s[6:7], vcc, s[6:7]
	s_waitcnt vmcnt(0) lgkmcnt(0)
	v_fmac_f32_e32 v130, v133, v134
	s_andn2_b64 exec, exec, s[6:7]
	s_cbranch_execnz .LBB118_213
; %bb.214:
	s_or_b64 exec, exec, s[6:7]
.LBB118_215:
	s_or_b64 exec, exec, s[12:13]
	v_mov_b32_e32 v131, 0
	ds_read_b32 v131, v131 offset:128
	s_waitcnt lgkmcnt(0)
	v_mul_f32_e32 v130, v130, v131
	buffer_store_dword v130, off, s[0:3], 0 offset:128
.LBB118_216:
	s_or_b64 exec, exec, s[8:9]
	buffer_load_dword v130, off, s[0:3], 0 offset:124
	v_cmp_lt_u32_e64 s[6:7], 31, v0
	s_waitcnt vmcnt(0)
	ds_write_b32 v112, v130
	s_waitcnt lgkmcnt(0)
	; wave barrier
	s_waitcnt lgkmcnt(0)
	s_and_saveexec_b64 s[8:9], s[6:7]
	s_cbranch_execz .LBB118_226
; %bb.217:
	s_andn2_b64 vcc, exec, s[10:11]
	s_cbranch_vccnz .LBB118_219
; %bb.218:
	buffer_load_dword v130, v113, s[0:3], 0 offen
	ds_read_b32 v131, v112
	s_waitcnt vmcnt(0) lgkmcnt(0)
	v_mul_f32_e32 v130, v130, v131
	s_cbranch_execz .LBB118_220
	s_branch .LBB118_221
.LBB118_219:
                                        ; implicit-def: $vgpr130
.LBB118_220:
	ds_read_b32 v130, v112
.LBB118_221:
	s_and_saveexec_b64 s[12:13], s[4:5]
	s_cbranch_execz .LBB118_225
; %bb.222:
	v_subrev_u32_e32 v131, 32, v0
	s_movk_i32 s14, 0x160
	s_mov_b64 s[4:5], 0
.LBB118_223:                            ; =>This Inner Loop Header: Depth=1
	buffer_load_dword v132, v129, s[0:3], 0 offen
	v_mov_b32_e32 v133, s14
	ds_read_b32 v133, v133
	v_add_u32_e32 v131, -1, v131
	s_add_i32 s14, s14, 4
	v_cmp_eq_u32_e32 vcc, 0, v131
	v_add_u32_e32 v129, 4, v129
	s_or_b64 s[4:5], vcc, s[4:5]
	s_waitcnt vmcnt(0) lgkmcnt(0)
	v_fmac_f32_e32 v130, v132, v133
	s_andn2_b64 exec, exec, s[4:5]
	s_cbranch_execnz .LBB118_223
; %bb.224:
	s_or_b64 exec, exec, s[4:5]
.LBB118_225:
	s_or_b64 exec, exec, s[12:13]
	v_mov_b32_e32 v129, 0
	ds_read_b32 v129, v129 offset:124
	s_waitcnt lgkmcnt(0)
	v_mul_f32_e32 v129, v130, v129
	buffer_store_dword v129, off, s[0:3], 0 offset:124
.LBB118_226:
	s_or_b64 exec, exec, s[8:9]
	buffer_load_dword v129, off, s[0:3], 0 offset:120
	v_cmp_lt_u32_e64 s[4:5], 30, v0
	s_waitcnt vmcnt(0)
	ds_write_b32 v112, v129
	s_waitcnt lgkmcnt(0)
	; wave barrier
	s_waitcnt lgkmcnt(0)
	s_and_saveexec_b64 s[8:9], s[4:5]
	s_cbranch_execz .LBB118_236
; %bb.227:
	s_andn2_b64 vcc, exec, s[10:11]
	s_cbranch_vccnz .LBB118_229
; %bb.228:
	buffer_load_dword v129, v113, s[0:3], 0 offen
	ds_read_b32 v130, v112
	s_waitcnt vmcnt(0) lgkmcnt(0)
	v_mul_f32_e32 v129, v129, v130
	s_cbranch_execz .LBB118_230
	s_branch .LBB118_231
.LBB118_229:
                                        ; implicit-def: $vgpr129
.LBB118_230:
	ds_read_b32 v129, v112
.LBB118_231:
	s_and_saveexec_b64 s[12:13], s[6:7]
	s_cbranch_execz .LBB118_235
; %bb.232:
	v_mov_b32_e32 v130, 0
	v_add_u32_e32 v130, 0x7c, v130
	v_subrev_u32_e32 v131, 31, v0
	s_movk_i32 s14, 0x15c
	s_mov_b64 s[6:7], 0
.LBB118_233:                            ; =>This Inner Loop Header: Depth=1
	buffer_load_dword v132, v130, s[0:3], 0 offen
	v_mov_b32_e32 v133, s14
	ds_read_b32 v133, v133
	v_add_u32_e32 v131, -1, v131
	s_add_i32 s14, s14, 4
	v_cmp_eq_u32_e32 vcc, 0, v131
	v_add_u32_e32 v130, 4, v130
	s_or_b64 s[6:7], vcc, s[6:7]
	s_waitcnt vmcnt(0) lgkmcnt(0)
	v_fmac_f32_e32 v129, v132, v133
	s_andn2_b64 exec, exec, s[6:7]
	s_cbranch_execnz .LBB118_233
; %bb.234:
	s_or_b64 exec, exec, s[6:7]
.LBB118_235:
	s_or_b64 exec, exec, s[12:13]
	v_mov_b32_e32 v130, 0
	ds_read_b32 v130, v130 offset:120
	s_waitcnt lgkmcnt(0)
	v_mul_f32_e32 v129, v129, v130
	buffer_store_dword v129, off, s[0:3], 0 offset:120
.LBB118_236:
	s_or_b64 exec, exec, s[8:9]
	buffer_load_dword v129, off, s[0:3], 0 offset:116
	v_cmp_lt_u32_e64 s[6:7], 29, v0
	s_waitcnt vmcnt(0)
	ds_write_b32 v112, v129
	s_waitcnt lgkmcnt(0)
	; wave barrier
	s_waitcnt lgkmcnt(0)
	s_and_saveexec_b64 s[8:9], s[6:7]
	s_cbranch_execz .LBB118_246
; %bb.237:
	s_andn2_b64 vcc, exec, s[10:11]
	s_cbranch_vccnz .LBB118_239
; %bb.238:
	buffer_load_dword v129, v113, s[0:3], 0 offen
	ds_read_b32 v130, v112
	s_waitcnt vmcnt(0) lgkmcnt(0)
	v_mul_f32_e32 v129, v129, v130
	s_cbranch_execz .LBB118_240
	s_branch .LBB118_241
.LBB118_239:
                                        ; implicit-def: $vgpr129
.LBB118_240:
	ds_read_b32 v129, v112
.LBB118_241:
	s_and_saveexec_b64 s[12:13], s[4:5]
	s_cbranch_execz .LBB118_245
; %bb.242:
	v_subrev_u32_e32 v130, 30, v0
	s_movk_i32 s14, 0x158
	s_mov_b64 s[4:5], 0
.LBB118_243:                            ; =>This Inner Loop Header: Depth=1
	buffer_load_dword v131, v128, s[0:3], 0 offen
	v_mov_b32_e32 v132, s14
	ds_read_b32 v132, v132
	v_add_u32_e32 v130, -1, v130
	s_add_i32 s14, s14, 4
	v_cmp_eq_u32_e32 vcc, 0, v130
	v_add_u32_e32 v128, 4, v128
	s_or_b64 s[4:5], vcc, s[4:5]
	s_waitcnt vmcnt(0) lgkmcnt(0)
	v_fmac_f32_e32 v129, v131, v132
	s_andn2_b64 exec, exec, s[4:5]
	s_cbranch_execnz .LBB118_243
; %bb.244:
	s_or_b64 exec, exec, s[4:5]
.LBB118_245:
	s_or_b64 exec, exec, s[12:13]
	v_mov_b32_e32 v128, 0
	ds_read_b32 v128, v128 offset:116
	s_waitcnt lgkmcnt(0)
	v_mul_f32_e32 v128, v129, v128
	buffer_store_dword v128, off, s[0:3], 0 offset:116
.LBB118_246:
	s_or_b64 exec, exec, s[8:9]
	buffer_load_dword v128, off, s[0:3], 0 offset:112
	v_cmp_lt_u32_e64 s[4:5], 28, v0
	s_waitcnt vmcnt(0)
	ds_write_b32 v112, v128
	s_waitcnt lgkmcnt(0)
	; wave barrier
	s_waitcnt lgkmcnt(0)
	s_and_saveexec_b64 s[8:9], s[4:5]
	s_cbranch_execz .LBB118_256
; %bb.247:
	s_andn2_b64 vcc, exec, s[10:11]
	s_cbranch_vccnz .LBB118_249
; %bb.248:
	buffer_load_dword v128, v113, s[0:3], 0 offen
	ds_read_b32 v129, v112
	s_waitcnt vmcnt(0) lgkmcnt(0)
	v_mul_f32_e32 v128, v128, v129
	s_cbranch_execz .LBB118_250
	s_branch .LBB118_251
.LBB118_249:
                                        ; implicit-def: $vgpr128
.LBB118_250:
	ds_read_b32 v128, v112
.LBB118_251:
	s_and_saveexec_b64 s[12:13], s[6:7]
	s_cbranch_execz .LBB118_255
; %bb.252:
	v_mov_b32_e32 v129, 0
	v_add_u32_e32 v129, 0x74, v129
	v_subrev_u32_e32 v130, 29, v0
	s_movk_i32 s14, 0x154
	s_mov_b64 s[6:7], 0
.LBB118_253:                            ; =>This Inner Loop Header: Depth=1
	buffer_load_dword v131, v129, s[0:3], 0 offen
	v_mov_b32_e32 v132, s14
	ds_read_b32 v132, v132
	v_add_u32_e32 v130, -1, v130
	s_add_i32 s14, s14, 4
	v_cmp_eq_u32_e32 vcc, 0, v130
	v_add_u32_e32 v129, 4, v129
	s_or_b64 s[6:7], vcc, s[6:7]
	s_waitcnt vmcnt(0) lgkmcnt(0)
	v_fmac_f32_e32 v128, v131, v132
	s_andn2_b64 exec, exec, s[6:7]
	s_cbranch_execnz .LBB118_253
; %bb.254:
	s_or_b64 exec, exec, s[6:7]
.LBB118_255:
	s_or_b64 exec, exec, s[12:13]
	v_mov_b32_e32 v129, 0
	ds_read_b32 v129, v129 offset:112
	s_waitcnt lgkmcnt(0)
	v_mul_f32_e32 v128, v128, v129
	buffer_store_dword v128, off, s[0:3], 0 offset:112
.LBB118_256:
	s_or_b64 exec, exec, s[8:9]
	buffer_load_dword v128, off, s[0:3], 0 offset:108
	v_cmp_lt_u32_e64 s[6:7], 27, v0
	s_waitcnt vmcnt(0)
	ds_write_b32 v112, v128
	s_waitcnt lgkmcnt(0)
	; wave barrier
	s_waitcnt lgkmcnt(0)
	s_and_saveexec_b64 s[8:9], s[6:7]
	s_cbranch_execz .LBB118_266
; %bb.257:
	s_andn2_b64 vcc, exec, s[10:11]
	s_cbranch_vccnz .LBB118_259
; %bb.258:
	buffer_load_dword v128, v113, s[0:3], 0 offen
	ds_read_b32 v129, v112
	s_waitcnt vmcnt(0) lgkmcnt(0)
	v_mul_f32_e32 v128, v128, v129
	s_cbranch_execz .LBB118_260
	s_branch .LBB118_261
.LBB118_259:
                                        ; implicit-def: $vgpr128
.LBB118_260:
	ds_read_b32 v128, v112
.LBB118_261:
	s_and_saveexec_b64 s[12:13], s[4:5]
	s_cbranch_execz .LBB118_265
; %bb.262:
	v_subrev_u32_e32 v129, 28, v0
	s_movk_i32 s14, 0x150
	s_mov_b64 s[4:5], 0
.LBB118_263:                            ; =>This Inner Loop Header: Depth=1
	buffer_load_dword v130, v127, s[0:3], 0 offen
	v_mov_b32_e32 v131, s14
	ds_read_b32 v131, v131
	v_add_u32_e32 v129, -1, v129
	s_add_i32 s14, s14, 4
	v_cmp_eq_u32_e32 vcc, 0, v129
	v_add_u32_e32 v127, 4, v127
	s_or_b64 s[4:5], vcc, s[4:5]
	s_waitcnt vmcnt(0) lgkmcnt(0)
	v_fmac_f32_e32 v128, v130, v131
	s_andn2_b64 exec, exec, s[4:5]
	s_cbranch_execnz .LBB118_263
; %bb.264:
	s_or_b64 exec, exec, s[4:5]
.LBB118_265:
	s_or_b64 exec, exec, s[12:13]
	v_mov_b32_e32 v127, 0
	ds_read_b32 v127, v127 offset:108
	s_waitcnt lgkmcnt(0)
	v_mul_f32_e32 v127, v128, v127
	buffer_store_dword v127, off, s[0:3], 0 offset:108
.LBB118_266:
	s_or_b64 exec, exec, s[8:9]
	buffer_load_dword v127, off, s[0:3], 0 offset:104
	v_cmp_lt_u32_e64 s[4:5], 26, v0
	s_waitcnt vmcnt(0)
	ds_write_b32 v112, v127
	s_waitcnt lgkmcnt(0)
	; wave barrier
	s_waitcnt lgkmcnt(0)
	s_and_saveexec_b64 s[8:9], s[4:5]
	s_cbranch_execz .LBB118_276
; %bb.267:
	s_andn2_b64 vcc, exec, s[10:11]
	s_cbranch_vccnz .LBB118_269
; %bb.268:
	buffer_load_dword v127, v113, s[0:3], 0 offen
	ds_read_b32 v128, v112
	s_waitcnt vmcnt(0) lgkmcnt(0)
	v_mul_f32_e32 v127, v127, v128
	s_cbranch_execz .LBB118_270
	s_branch .LBB118_271
.LBB118_269:
                                        ; implicit-def: $vgpr127
.LBB118_270:
	ds_read_b32 v127, v112
.LBB118_271:
	s_and_saveexec_b64 s[12:13], s[6:7]
	s_cbranch_execz .LBB118_275
; %bb.272:
	v_mov_b32_e32 v128, 0
	v_add_u32_e32 v128, 0x6c, v128
	v_subrev_u32_e32 v129, 27, v0
	s_movk_i32 s14, 0x14c
	s_mov_b64 s[6:7], 0
.LBB118_273:                            ; =>This Inner Loop Header: Depth=1
	buffer_load_dword v130, v128, s[0:3], 0 offen
	v_mov_b32_e32 v131, s14
	ds_read_b32 v131, v131
	v_add_u32_e32 v129, -1, v129
	s_add_i32 s14, s14, 4
	v_cmp_eq_u32_e32 vcc, 0, v129
	v_add_u32_e32 v128, 4, v128
	s_or_b64 s[6:7], vcc, s[6:7]
	s_waitcnt vmcnt(0) lgkmcnt(0)
	v_fmac_f32_e32 v127, v130, v131
	s_andn2_b64 exec, exec, s[6:7]
	s_cbranch_execnz .LBB118_273
; %bb.274:
	s_or_b64 exec, exec, s[6:7]
.LBB118_275:
	s_or_b64 exec, exec, s[12:13]
	v_mov_b32_e32 v128, 0
	ds_read_b32 v128, v128 offset:104
	s_waitcnt lgkmcnt(0)
	v_mul_f32_e32 v127, v127, v128
	buffer_store_dword v127, off, s[0:3], 0 offset:104
.LBB118_276:
	s_or_b64 exec, exec, s[8:9]
	buffer_load_dword v127, off, s[0:3], 0 offset:100
	v_cmp_lt_u32_e64 s[6:7], 25, v0
	s_waitcnt vmcnt(0)
	ds_write_b32 v112, v127
	s_waitcnt lgkmcnt(0)
	; wave barrier
	s_waitcnt lgkmcnt(0)
	s_and_saveexec_b64 s[8:9], s[6:7]
	s_cbranch_execz .LBB118_286
; %bb.277:
	s_andn2_b64 vcc, exec, s[10:11]
	s_cbranch_vccnz .LBB118_279
; %bb.278:
	buffer_load_dword v127, v113, s[0:3], 0 offen
	ds_read_b32 v128, v112
	s_waitcnt vmcnt(0) lgkmcnt(0)
	v_mul_f32_e32 v127, v127, v128
	s_cbranch_execz .LBB118_280
	s_branch .LBB118_281
.LBB118_279:
                                        ; implicit-def: $vgpr127
.LBB118_280:
	ds_read_b32 v127, v112
.LBB118_281:
	s_and_saveexec_b64 s[12:13], s[4:5]
	s_cbranch_execz .LBB118_285
; %bb.282:
	v_subrev_u32_e32 v128, 26, v0
	s_movk_i32 s14, 0x148
	s_mov_b64 s[4:5], 0
.LBB118_283:                            ; =>This Inner Loop Header: Depth=1
	buffer_load_dword v129, v126, s[0:3], 0 offen
	v_mov_b32_e32 v130, s14
	ds_read_b32 v130, v130
	v_add_u32_e32 v128, -1, v128
	s_add_i32 s14, s14, 4
	v_cmp_eq_u32_e32 vcc, 0, v128
	v_add_u32_e32 v126, 4, v126
	s_or_b64 s[4:5], vcc, s[4:5]
	s_waitcnt vmcnt(0) lgkmcnt(0)
	v_fmac_f32_e32 v127, v129, v130
	s_andn2_b64 exec, exec, s[4:5]
	s_cbranch_execnz .LBB118_283
; %bb.284:
	s_or_b64 exec, exec, s[4:5]
.LBB118_285:
	s_or_b64 exec, exec, s[12:13]
	v_mov_b32_e32 v126, 0
	ds_read_b32 v126, v126 offset:100
	s_waitcnt lgkmcnt(0)
	v_mul_f32_e32 v126, v127, v126
	buffer_store_dword v126, off, s[0:3], 0 offset:100
.LBB118_286:
	s_or_b64 exec, exec, s[8:9]
	buffer_load_dword v126, off, s[0:3], 0 offset:96
	v_cmp_lt_u32_e64 s[4:5], 24, v0
	s_waitcnt vmcnt(0)
	ds_write_b32 v112, v126
	s_waitcnt lgkmcnt(0)
	; wave barrier
	s_waitcnt lgkmcnt(0)
	s_and_saveexec_b64 s[8:9], s[4:5]
	s_cbranch_execz .LBB118_296
; %bb.287:
	s_andn2_b64 vcc, exec, s[10:11]
	s_cbranch_vccnz .LBB118_289
; %bb.288:
	buffer_load_dword v126, v113, s[0:3], 0 offen
	ds_read_b32 v127, v112
	s_waitcnt vmcnt(0) lgkmcnt(0)
	v_mul_f32_e32 v126, v126, v127
	s_cbranch_execz .LBB118_290
	s_branch .LBB118_291
.LBB118_289:
                                        ; implicit-def: $vgpr126
.LBB118_290:
	ds_read_b32 v126, v112
.LBB118_291:
	s_and_saveexec_b64 s[12:13], s[6:7]
	s_cbranch_execz .LBB118_295
; %bb.292:
	v_mov_b32_e32 v127, 0
	v_add_u32_e32 v127, 0x64, v127
	v_subrev_u32_e32 v128, 25, v0
	s_movk_i32 s14, 0x144
	s_mov_b64 s[6:7], 0
.LBB118_293:                            ; =>This Inner Loop Header: Depth=1
	buffer_load_dword v129, v127, s[0:3], 0 offen
	v_mov_b32_e32 v130, s14
	ds_read_b32 v130, v130
	v_add_u32_e32 v128, -1, v128
	s_add_i32 s14, s14, 4
	v_cmp_eq_u32_e32 vcc, 0, v128
	v_add_u32_e32 v127, 4, v127
	s_or_b64 s[6:7], vcc, s[6:7]
	s_waitcnt vmcnt(0) lgkmcnt(0)
	v_fmac_f32_e32 v126, v129, v130
	s_andn2_b64 exec, exec, s[6:7]
	s_cbranch_execnz .LBB118_293
; %bb.294:
	s_or_b64 exec, exec, s[6:7]
.LBB118_295:
	s_or_b64 exec, exec, s[12:13]
	v_mov_b32_e32 v127, 0
	ds_read_b32 v127, v127 offset:96
	s_waitcnt lgkmcnt(0)
	v_mul_f32_e32 v126, v126, v127
	buffer_store_dword v126, off, s[0:3], 0 offset:96
.LBB118_296:
	s_or_b64 exec, exec, s[8:9]
	buffer_load_dword v126, off, s[0:3], 0 offset:92
	v_cmp_lt_u32_e64 s[6:7], 23, v0
	s_waitcnt vmcnt(0)
	ds_write_b32 v112, v126
	s_waitcnt lgkmcnt(0)
	; wave barrier
	s_waitcnt lgkmcnt(0)
	s_and_saveexec_b64 s[8:9], s[6:7]
	s_cbranch_execz .LBB118_306
; %bb.297:
	s_andn2_b64 vcc, exec, s[10:11]
	s_cbranch_vccnz .LBB118_299
; %bb.298:
	buffer_load_dword v126, v113, s[0:3], 0 offen
	ds_read_b32 v127, v112
	s_waitcnt vmcnt(0) lgkmcnt(0)
	v_mul_f32_e32 v126, v126, v127
	s_cbranch_execz .LBB118_300
	s_branch .LBB118_301
.LBB118_299:
                                        ; implicit-def: $vgpr126
.LBB118_300:
	ds_read_b32 v126, v112
.LBB118_301:
	s_and_saveexec_b64 s[12:13], s[4:5]
	s_cbranch_execz .LBB118_305
; %bb.302:
	v_subrev_u32_e32 v127, 24, v0
	s_movk_i32 s14, 0x140
	s_mov_b64 s[4:5], 0
.LBB118_303:                            ; =>This Inner Loop Header: Depth=1
	buffer_load_dword v128, v125, s[0:3], 0 offen
	v_mov_b32_e32 v129, s14
	ds_read_b32 v129, v129
	v_add_u32_e32 v127, -1, v127
	s_add_i32 s14, s14, 4
	v_cmp_eq_u32_e32 vcc, 0, v127
	v_add_u32_e32 v125, 4, v125
	s_or_b64 s[4:5], vcc, s[4:5]
	s_waitcnt vmcnt(0) lgkmcnt(0)
	v_fmac_f32_e32 v126, v128, v129
	s_andn2_b64 exec, exec, s[4:5]
	s_cbranch_execnz .LBB118_303
; %bb.304:
	s_or_b64 exec, exec, s[4:5]
.LBB118_305:
	s_or_b64 exec, exec, s[12:13]
	v_mov_b32_e32 v125, 0
	ds_read_b32 v125, v125 offset:92
	s_waitcnt lgkmcnt(0)
	v_mul_f32_e32 v125, v126, v125
	buffer_store_dword v125, off, s[0:3], 0 offset:92
.LBB118_306:
	s_or_b64 exec, exec, s[8:9]
	buffer_load_dword v125, off, s[0:3], 0 offset:88
	v_cmp_lt_u32_e64 s[4:5], 22, v0
	s_waitcnt vmcnt(0)
	ds_write_b32 v112, v125
	s_waitcnt lgkmcnt(0)
	; wave barrier
	s_waitcnt lgkmcnt(0)
	s_and_saveexec_b64 s[8:9], s[4:5]
	s_cbranch_execz .LBB118_316
; %bb.307:
	s_andn2_b64 vcc, exec, s[10:11]
	s_cbranch_vccnz .LBB118_309
; %bb.308:
	buffer_load_dword v125, v113, s[0:3], 0 offen
	ds_read_b32 v126, v112
	s_waitcnt vmcnt(0) lgkmcnt(0)
	v_mul_f32_e32 v125, v125, v126
	s_cbranch_execz .LBB118_310
	s_branch .LBB118_311
.LBB118_309:
                                        ; implicit-def: $vgpr125
.LBB118_310:
	ds_read_b32 v125, v112
.LBB118_311:
	s_and_saveexec_b64 s[12:13], s[6:7]
	s_cbranch_execz .LBB118_315
; %bb.312:
	v_mov_b32_e32 v126, 0
	v_add_u32_e32 v126, 0x5c, v126
	v_subrev_u32_e32 v127, 23, v0
	s_movk_i32 s14, 0x13c
	s_mov_b64 s[6:7], 0
.LBB118_313:                            ; =>This Inner Loop Header: Depth=1
	buffer_load_dword v128, v126, s[0:3], 0 offen
	v_mov_b32_e32 v129, s14
	ds_read_b32 v129, v129
	v_add_u32_e32 v127, -1, v127
	s_add_i32 s14, s14, 4
	v_cmp_eq_u32_e32 vcc, 0, v127
	v_add_u32_e32 v126, 4, v126
	s_or_b64 s[6:7], vcc, s[6:7]
	s_waitcnt vmcnt(0) lgkmcnt(0)
	v_fmac_f32_e32 v125, v128, v129
	s_andn2_b64 exec, exec, s[6:7]
	s_cbranch_execnz .LBB118_313
; %bb.314:
	s_or_b64 exec, exec, s[6:7]
.LBB118_315:
	s_or_b64 exec, exec, s[12:13]
	v_mov_b32_e32 v126, 0
	ds_read_b32 v126, v126 offset:88
	s_waitcnt lgkmcnt(0)
	v_mul_f32_e32 v125, v125, v126
	buffer_store_dword v125, off, s[0:3], 0 offset:88
.LBB118_316:
	s_or_b64 exec, exec, s[8:9]
	buffer_load_dword v125, off, s[0:3], 0 offset:84
	v_cmp_lt_u32_e64 s[6:7], 21, v0
	s_waitcnt vmcnt(0)
	ds_write_b32 v112, v125
	s_waitcnt lgkmcnt(0)
	; wave barrier
	s_waitcnt lgkmcnt(0)
	s_and_saveexec_b64 s[8:9], s[6:7]
	s_cbranch_execz .LBB118_326
; %bb.317:
	s_andn2_b64 vcc, exec, s[10:11]
	s_cbranch_vccnz .LBB118_319
; %bb.318:
	buffer_load_dword v125, v113, s[0:3], 0 offen
	ds_read_b32 v126, v112
	s_waitcnt vmcnt(0) lgkmcnt(0)
	v_mul_f32_e32 v125, v125, v126
	s_cbranch_execz .LBB118_320
	s_branch .LBB118_321
.LBB118_319:
                                        ; implicit-def: $vgpr125
.LBB118_320:
	ds_read_b32 v125, v112
.LBB118_321:
	s_and_saveexec_b64 s[12:13], s[4:5]
	s_cbranch_execz .LBB118_325
; %bb.322:
	v_subrev_u32_e32 v126, 22, v0
	s_movk_i32 s14, 0x138
	s_mov_b64 s[4:5], 0
.LBB118_323:                            ; =>This Inner Loop Header: Depth=1
	buffer_load_dword v127, v124, s[0:3], 0 offen
	v_mov_b32_e32 v128, s14
	ds_read_b32 v128, v128
	v_add_u32_e32 v126, -1, v126
	s_add_i32 s14, s14, 4
	v_cmp_eq_u32_e32 vcc, 0, v126
	v_add_u32_e32 v124, 4, v124
	s_or_b64 s[4:5], vcc, s[4:5]
	s_waitcnt vmcnt(0) lgkmcnt(0)
	v_fmac_f32_e32 v125, v127, v128
	s_andn2_b64 exec, exec, s[4:5]
	s_cbranch_execnz .LBB118_323
; %bb.324:
	s_or_b64 exec, exec, s[4:5]
.LBB118_325:
	s_or_b64 exec, exec, s[12:13]
	v_mov_b32_e32 v124, 0
	ds_read_b32 v124, v124 offset:84
	s_waitcnt lgkmcnt(0)
	v_mul_f32_e32 v124, v125, v124
	buffer_store_dword v124, off, s[0:3], 0 offset:84
.LBB118_326:
	s_or_b64 exec, exec, s[8:9]
	buffer_load_dword v124, off, s[0:3], 0 offset:80
	v_cmp_lt_u32_e64 s[4:5], 20, v0
	s_waitcnt vmcnt(0)
	ds_write_b32 v112, v124
	s_waitcnt lgkmcnt(0)
	; wave barrier
	s_waitcnt lgkmcnt(0)
	s_and_saveexec_b64 s[8:9], s[4:5]
	s_cbranch_execz .LBB118_336
; %bb.327:
	s_andn2_b64 vcc, exec, s[10:11]
	s_cbranch_vccnz .LBB118_329
; %bb.328:
	buffer_load_dword v124, v113, s[0:3], 0 offen
	ds_read_b32 v125, v112
	s_waitcnt vmcnt(0) lgkmcnt(0)
	v_mul_f32_e32 v124, v124, v125
	s_cbranch_execz .LBB118_330
	s_branch .LBB118_331
.LBB118_329:
                                        ; implicit-def: $vgpr124
.LBB118_330:
	ds_read_b32 v124, v112
.LBB118_331:
	s_and_saveexec_b64 s[12:13], s[6:7]
	s_cbranch_execz .LBB118_335
; %bb.332:
	v_mov_b32_e32 v125, 0
	v_add_u32_e32 v125, 0x54, v125
	v_subrev_u32_e32 v126, 21, v0
	s_movk_i32 s14, 0x134
	s_mov_b64 s[6:7], 0
.LBB118_333:                            ; =>This Inner Loop Header: Depth=1
	buffer_load_dword v127, v125, s[0:3], 0 offen
	v_mov_b32_e32 v128, s14
	ds_read_b32 v128, v128
	v_add_u32_e32 v126, -1, v126
	s_add_i32 s14, s14, 4
	v_cmp_eq_u32_e32 vcc, 0, v126
	v_add_u32_e32 v125, 4, v125
	s_or_b64 s[6:7], vcc, s[6:7]
	s_waitcnt vmcnt(0) lgkmcnt(0)
	v_fmac_f32_e32 v124, v127, v128
	s_andn2_b64 exec, exec, s[6:7]
	s_cbranch_execnz .LBB118_333
; %bb.334:
	s_or_b64 exec, exec, s[6:7]
.LBB118_335:
	s_or_b64 exec, exec, s[12:13]
	v_mov_b32_e32 v125, 0
	ds_read_b32 v125, v125 offset:80
	s_waitcnt lgkmcnt(0)
	v_mul_f32_e32 v124, v124, v125
	buffer_store_dword v124, off, s[0:3], 0 offset:80
.LBB118_336:
	s_or_b64 exec, exec, s[8:9]
	buffer_load_dword v124, off, s[0:3], 0 offset:76
	v_cmp_lt_u32_e64 s[6:7], 19, v0
	s_waitcnt vmcnt(0)
	ds_write_b32 v112, v124
	s_waitcnt lgkmcnt(0)
	; wave barrier
	s_waitcnt lgkmcnt(0)
	s_and_saveexec_b64 s[8:9], s[6:7]
	s_cbranch_execz .LBB118_346
; %bb.337:
	s_andn2_b64 vcc, exec, s[10:11]
	s_cbranch_vccnz .LBB118_339
; %bb.338:
	buffer_load_dword v124, v113, s[0:3], 0 offen
	ds_read_b32 v125, v112
	s_waitcnt vmcnt(0) lgkmcnt(0)
	v_mul_f32_e32 v124, v124, v125
	s_cbranch_execz .LBB118_340
	s_branch .LBB118_341
.LBB118_339:
                                        ; implicit-def: $vgpr124
.LBB118_340:
	ds_read_b32 v124, v112
.LBB118_341:
	s_and_saveexec_b64 s[12:13], s[4:5]
	s_cbranch_execz .LBB118_345
; %bb.342:
	v_subrev_u32_e32 v125, 20, v0
	s_movk_i32 s14, 0x130
	s_mov_b64 s[4:5], 0
.LBB118_343:                            ; =>This Inner Loop Header: Depth=1
	buffer_load_dword v126, v123, s[0:3], 0 offen
	v_mov_b32_e32 v127, s14
	ds_read_b32 v127, v127
	v_add_u32_e32 v125, -1, v125
	s_add_i32 s14, s14, 4
	v_cmp_eq_u32_e32 vcc, 0, v125
	v_add_u32_e32 v123, 4, v123
	s_or_b64 s[4:5], vcc, s[4:5]
	s_waitcnt vmcnt(0) lgkmcnt(0)
	v_fmac_f32_e32 v124, v126, v127
	s_andn2_b64 exec, exec, s[4:5]
	s_cbranch_execnz .LBB118_343
; %bb.344:
	s_or_b64 exec, exec, s[4:5]
.LBB118_345:
	s_or_b64 exec, exec, s[12:13]
	v_mov_b32_e32 v123, 0
	ds_read_b32 v123, v123 offset:76
	s_waitcnt lgkmcnt(0)
	v_mul_f32_e32 v123, v124, v123
	buffer_store_dword v123, off, s[0:3], 0 offset:76
.LBB118_346:
	s_or_b64 exec, exec, s[8:9]
	buffer_load_dword v123, off, s[0:3], 0 offset:72
	v_cmp_lt_u32_e64 s[4:5], 18, v0
	s_waitcnt vmcnt(0)
	ds_write_b32 v112, v123
	s_waitcnt lgkmcnt(0)
	; wave barrier
	s_waitcnt lgkmcnt(0)
	s_and_saveexec_b64 s[8:9], s[4:5]
	s_cbranch_execz .LBB118_356
; %bb.347:
	s_andn2_b64 vcc, exec, s[10:11]
	s_cbranch_vccnz .LBB118_349
; %bb.348:
	buffer_load_dword v123, v113, s[0:3], 0 offen
	ds_read_b32 v124, v112
	s_waitcnt vmcnt(0) lgkmcnt(0)
	v_mul_f32_e32 v123, v123, v124
	s_cbranch_execz .LBB118_350
	s_branch .LBB118_351
.LBB118_349:
                                        ; implicit-def: $vgpr123
.LBB118_350:
	ds_read_b32 v123, v112
.LBB118_351:
	s_and_saveexec_b64 s[12:13], s[6:7]
	s_cbranch_execz .LBB118_355
; %bb.352:
	v_mov_b32_e32 v124, 0
	v_add_u32_e32 v124, 0x4c, v124
	v_subrev_u32_e32 v125, 19, v0
	s_movk_i32 s14, 0x12c
	s_mov_b64 s[6:7], 0
.LBB118_353:                            ; =>This Inner Loop Header: Depth=1
	buffer_load_dword v126, v124, s[0:3], 0 offen
	v_mov_b32_e32 v127, s14
	ds_read_b32 v127, v127
	v_add_u32_e32 v125, -1, v125
	s_add_i32 s14, s14, 4
	v_cmp_eq_u32_e32 vcc, 0, v125
	v_add_u32_e32 v124, 4, v124
	s_or_b64 s[6:7], vcc, s[6:7]
	s_waitcnt vmcnt(0) lgkmcnt(0)
	v_fmac_f32_e32 v123, v126, v127
	s_andn2_b64 exec, exec, s[6:7]
	s_cbranch_execnz .LBB118_353
; %bb.354:
	s_or_b64 exec, exec, s[6:7]
.LBB118_355:
	s_or_b64 exec, exec, s[12:13]
	v_mov_b32_e32 v124, 0
	ds_read_b32 v124, v124 offset:72
	s_waitcnt lgkmcnt(0)
	v_mul_f32_e32 v123, v123, v124
	buffer_store_dword v123, off, s[0:3], 0 offset:72
.LBB118_356:
	s_or_b64 exec, exec, s[8:9]
	buffer_load_dword v123, off, s[0:3], 0 offset:68
	v_cmp_lt_u32_e64 s[6:7], 17, v0
	s_waitcnt vmcnt(0)
	ds_write_b32 v112, v123
	s_waitcnt lgkmcnt(0)
	; wave barrier
	s_waitcnt lgkmcnt(0)
	s_and_saveexec_b64 s[8:9], s[6:7]
	s_cbranch_execz .LBB118_366
; %bb.357:
	s_andn2_b64 vcc, exec, s[10:11]
	s_cbranch_vccnz .LBB118_359
; %bb.358:
	buffer_load_dword v123, v113, s[0:3], 0 offen
	ds_read_b32 v124, v112
	s_waitcnt vmcnt(0) lgkmcnt(0)
	v_mul_f32_e32 v123, v123, v124
	s_cbranch_execz .LBB118_360
	s_branch .LBB118_361
.LBB118_359:
                                        ; implicit-def: $vgpr123
.LBB118_360:
	ds_read_b32 v123, v112
.LBB118_361:
	s_and_saveexec_b64 s[12:13], s[4:5]
	s_cbranch_execz .LBB118_365
; %bb.362:
	v_subrev_u32_e32 v124, 18, v0
	s_movk_i32 s14, 0x128
	s_mov_b64 s[4:5], 0
.LBB118_363:                            ; =>This Inner Loop Header: Depth=1
	buffer_load_dword v125, v122, s[0:3], 0 offen
	v_mov_b32_e32 v126, s14
	ds_read_b32 v126, v126
	v_add_u32_e32 v124, -1, v124
	s_add_i32 s14, s14, 4
	v_cmp_eq_u32_e32 vcc, 0, v124
	v_add_u32_e32 v122, 4, v122
	s_or_b64 s[4:5], vcc, s[4:5]
	s_waitcnt vmcnt(0) lgkmcnt(0)
	v_fmac_f32_e32 v123, v125, v126
	s_andn2_b64 exec, exec, s[4:5]
	s_cbranch_execnz .LBB118_363
; %bb.364:
	s_or_b64 exec, exec, s[4:5]
.LBB118_365:
	s_or_b64 exec, exec, s[12:13]
	v_mov_b32_e32 v122, 0
	ds_read_b32 v122, v122 offset:68
	s_waitcnt lgkmcnt(0)
	v_mul_f32_e32 v122, v123, v122
	buffer_store_dword v122, off, s[0:3], 0 offset:68
.LBB118_366:
	s_or_b64 exec, exec, s[8:9]
	buffer_load_dword v122, off, s[0:3], 0 offset:64
	v_cmp_lt_u32_e64 s[4:5], 16, v0
	s_waitcnt vmcnt(0)
	ds_write_b32 v112, v122
	s_waitcnt lgkmcnt(0)
	; wave barrier
	s_waitcnt lgkmcnt(0)
	s_and_saveexec_b64 s[8:9], s[4:5]
	s_cbranch_execz .LBB118_376
; %bb.367:
	s_andn2_b64 vcc, exec, s[10:11]
	s_cbranch_vccnz .LBB118_369
; %bb.368:
	buffer_load_dword v122, v113, s[0:3], 0 offen
	ds_read_b32 v123, v112
	s_waitcnt vmcnt(0) lgkmcnt(0)
	v_mul_f32_e32 v122, v122, v123
	s_cbranch_execz .LBB118_370
	s_branch .LBB118_371
.LBB118_369:
                                        ; implicit-def: $vgpr122
.LBB118_370:
	ds_read_b32 v122, v112
.LBB118_371:
	s_and_saveexec_b64 s[12:13], s[6:7]
	s_cbranch_execz .LBB118_375
; %bb.372:
	v_mov_b32_e32 v123, 0
	v_add_u32_e32 v123, 0x44, v123
	v_subrev_u32_e32 v124, 17, v0
	s_movk_i32 s14, 0x124
	s_mov_b64 s[6:7], 0
.LBB118_373:                            ; =>This Inner Loop Header: Depth=1
	buffer_load_dword v125, v123, s[0:3], 0 offen
	v_mov_b32_e32 v126, s14
	ds_read_b32 v126, v126
	v_add_u32_e32 v124, -1, v124
	s_add_i32 s14, s14, 4
	v_cmp_eq_u32_e32 vcc, 0, v124
	v_add_u32_e32 v123, 4, v123
	s_or_b64 s[6:7], vcc, s[6:7]
	s_waitcnt vmcnt(0) lgkmcnt(0)
	v_fmac_f32_e32 v122, v125, v126
	s_andn2_b64 exec, exec, s[6:7]
	s_cbranch_execnz .LBB118_373
; %bb.374:
	s_or_b64 exec, exec, s[6:7]
.LBB118_375:
	s_or_b64 exec, exec, s[12:13]
	v_mov_b32_e32 v123, 0
	ds_read_b32 v123, v123 offset:64
	s_waitcnt lgkmcnt(0)
	v_mul_f32_e32 v122, v122, v123
	buffer_store_dword v122, off, s[0:3], 0 offset:64
.LBB118_376:
	s_or_b64 exec, exec, s[8:9]
	buffer_load_dword v122, off, s[0:3], 0 offset:60
	v_cmp_lt_u32_e64 s[6:7], 15, v0
	s_waitcnt vmcnt(0)
	ds_write_b32 v112, v122
	s_waitcnt lgkmcnt(0)
	; wave barrier
	s_waitcnt lgkmcnt(0)
	s_and_saveexec_b64 s[8:9], s[6:7]
	s_cbranch_execz .LBB118_386
; %bb.377:
	s_andn2_b64 vcc, exec, s[10:11]
	s_cbranch_vccnz .LBB118_379
; %bb.378:
	buffer_load_dword v122, v113, s[0:3], 0 offen
	ds_read_b32 v123, v112
	s_waitcnt vmcnt(0) lgkmcnt(0)
	v_mul_f32_e32 v122, v122, v123
	s_cbranch_execz .LBB118_380
	s_branch .LBB118_381
.LBB118_379:
                                        ; implicit-def: $vgpr122
.LBB118_380:
	ds_read_b32 v122, v112
.LBB118_381:
	s_and_saveexec_b64 s[12:13], s[4:5]
	s_cbranch_execz .LBB118_385
; %bb.382:
	v_add_u32_e32 v123, -16, v0
	s_movk_i32 s14, 0x120
	s_mov_b64 s[4:5], 0
.LBB118_383:                            ; =>This Inner Loop Header: Depth=1
	buffer_load_dword v124, v121, s[0:3], 0 offen
	v_mov_b32_e32 v125, s14
	ds_read_b32 v125, v125
	v_add_u32_e32 v123, -1, v123
	s_add_i32 s14, s14, 4
	v_cmp_eq_u32_e32 vcc, 0, v123
	v_add_u32_e32 v121, 4, v121
	s_or_b64 s[4:5], vcc, s[4:5]
	s_waitcnt vmcnt(0) lgkmcnt(0)
	v_fmac_f32_e32 v122, v124, v125
	s_andn2_b64 exec, exec, s[4:5]
	s_cbranch_execnz .LBB118_383
; %bb.384:
	s_or_b64 exec, exec, s[4:5]
.LBB118_385:
	s_or_b64 exec, exec, s[12:13]
	v_mov_b32_e32 v121, 0
	ds_read_b32 v121, v121 offset:60
	s_waitcnt lgkmcnt(0)
	v_mul_f32_e32 v121, v122, v121
	buffer_store_dword v121, off, s[0:3], 0 offset:60
.LBB118_386:
	s_or_b64 exec, exec, s[8:9]
	buffer_load_dword v121, off, s[0:3], 0 offset:56
	v_cmp_lt_u32_e64 s[4:5], 14, v0
	s_waitcnt vmcnt(0)
	ds_write_b32 v112, v121
	s_waitcnt lgkmcnt(0)
	; wave barrier
	s_waitcnt lgkmcnt(0)
	s_and_saveexec_b64 s[8:9], s[4:5]
	s_cbranch_execz .LBB118_396
; %bb.387:
	s_andn2_b64 vcc, exec, s[10:11]
	s_cbranch_vccnz .LBB118_389
; %bb.388:
	buffer_load_dword v121, v113, s[0:3], 0 offen
	ds_read_b32 v122, v112
	s_waitcnt vmcnt(0) lgkmcnt(0)
	v_mul_f32_e32 v121, v121, v122
	s_cbranch_execz .LBB118_390
	s_branch .LBB118_391
.LBB118_389:
                                        ; implicit-def: $vgpr121
.LBB118_390:
	ds_read_b32 v121, v112
.LBB118_391:
	s_and_saveexec_b64 s[12:13], s[6:7]
	s_cbranch_execz .LBB118_395
; %bb.392:
	v_mov_b32_e32 v122, 0
	v_add_u32_e32 v122, 60, v122
	v_add_u32_e32 v123, -15, v0
	s_movk_i32 s14, 0x11c
	s_mov_b64 s[6:7], 0
.LBB118_393:                            ; =>This Inner Loop Header: Depth=1
	buffer_load_dword v124, v122, s[0:3], 0 offen
	v_mov_b32_e32 v125, s14
	ds_read_b32 v125, v125
	v_add_u32_e32 v123, -1, v123
	s_add_i32 s14, s14, 4
	v_cmp_eq_u32_e32 vcc, 0, v123
	v_add_u32_e32 v122, 4, v122
	s_or_b64 s[6:7], vcc, s[6:7]
	s_waitcnt vmcnt(0) lgkmcnt(0)
	v_fmac_f32_e32 v121, v124, v125
	s_andn2_b64 exec, exec, s[6:7]
	s_cbranch_execnz .LBB118_393
; %bb.394:
	s_or_b64 exec, exec, s[6:7]
.LBB118_395:
	s_or_b64 exec, exec, s[12:13]
	v_mov_b32_e32 v122, 0
	ds_read_b32 v122, v122 offset:56
	s_waitcnt lgkmcnt(0)
	v_mul_f32_e32 v121, v121, v122
	buffer_store_dword v121, off, s[0:3], 0 offset:56
.LBB118_396:
	s_or_b64 exec, exec, s[8:9]
	buffer_load_dword v121, off, s[0:3], 0 offset:52
	v_cmp_lt_u32_e64 s[6:7], 13, v0
	s_waitcnt vmcnt(0)
	ds_write_b32 v112, v121
	s_waitcnt lgkmcnt(0)
	; wave barrier
	s_waitcnt lgkmcnt(0)
	s_and_saveexec_b64 s[8:9], s[6:7]
	s_cbranch_execz .LBB118_406
; %bb.397:
	s_andn2_b64 vcc, exec, s[10:11]
	s_cbranch_vccnz .LBB118_399
; %bb.398:
	buffer_load_dword v121, v113, s[0:3], 0 offen
	ds_read_b32 v122, v112
	s_waitcnt vmcnt(0) lgkmcnt(0)
	v_mul_f32_e32 v121, v121, v122
	s_cbranch_execz .LBB118_400
	s_branch .LBB118_401
.LBB118_399:
                                        ; implicit-def: $vgpr121
.LBB118_400:
	ds_read_b32 v121, v112
.LBB118_401:
	s_and_saveexec_b64 s[12:13], s[4:5]
	s_cbranch_execz .LBB118_405
; %bb.402:
	v_add_u32_e32 v122, -14, v0
	s_movk_i32 s14, 0x118
	s_mov_b64 s[4:5], 0
.LBB118_403:                            ; =>This Inner Loop Header: Depth=1
	buffer_load_dword v123, v120, s[0:3], 0 offen
	v_mov_b32_e32 v124, s14
	ds_read_b32 v124, v124
	v_add_u32_e32 v122, -1, v122
	s_add_i32 s14, s14, 4
	v_cmp_eq_u32_e32 vcc, 0, v122
	v_add_u32_e32 v120, 4, v120
	s_or_b64 s[4:5], vcc, s[4:5]
	s_waitcnt vmcnt(0) lgkmcnt(0)
	v_fmac_f32_e32 v121, v123, v124
	s_andn2_b64 exec, exec, s[4:5]
	s_cbranch_execnz .LBB118_403
; %bb.404:
	s_or_b64 exec, exec, s[4:5]
.LBB118_405:
	s_or_b64 exec, exec, s[12:13]
	v_mov_b32_e32 v120, 0
	ds_read_b32 v120, v120 offset:52
	s_waitcnt lgkmcnt(0)
	v_mul_f32_e32 v120, v121, v120
	buffer_store_dword v120, off, s[0:3], 0 offset:52
.LBB118_406:
	s_or_b64 exec, exec, s[8:9]
	buffer_load_dword v120, off, s[0:3], 0 offset:48
	v_cmp_lt_u32_e64 s[4:5], 12, v0
	s_waitcnt vmcnt(0)
	ds_write_b32 v112, v120
	s_waitcnt lgkmcnt(0)
	; wave barrier
	s_waitcnt lgkmcnt(0)
	s_and_saveexec_b64 s[8:9], s[4:5]
	s_cbranch_execz .LBB118_416
; %bb.407:
	s_andn2_b64 vcc, exec, s[10:11]
	s_cbranch_vccnz .LBB118_409
; %bb.408:
	buffer_load_dword v120, v113, s[0:3], 0 offen
	ds_read_b32 v121, v112
	s_waitcnt vmcnt(0) lgkmcnt(0)
	v_mul_f32_e32 v120, v120, v121
	s_cbranch_execz .LBB118_410
	s_branch .LBB118_411
.LBB118_409:
                                        ; implicit-def: $vgpr120
.LBB118_410:
	ds_read_b32 v120, v112
.LBB118_411:
	s_and_saveexec_b64 s[12:13], s[6:7]
	s_cbranch_execz .LBB118_415
; %bb.412:
	v_mov_b32_e32 v121, 0
	v_add_u32_e32 v121, 52, v121
	v_add_u32_e32 v122, -13, v0
	s_movk_i32 s14, 0x114
	s_mov_b64 s[6:7], 0
.LBB118_413:                            ; =>This Inner Loop Header: Depth=1
	buffer_load_dword v123, v121, s[0:3], 0 offen
	v_mov_b32_e32 v124, s14
	ds_read_b32 v124, v124
	v_add_u32_e32 v122, -1, v122
	s_add_i32 s14, s14, 4
	v_cmp_eq_u32_e32 vcc, 0, v122
	v_add_u32_e32 v121, 4, v121
	s_or_b64 s[6:7], vcc, s[6:7]
	s_waitcnt vmcnt(0) lgkmcnt(0)
	v_fmac_f32_e32 v120, v123, v124
	s_andn2_b64 exec, exec, s[6:7]
	s_cbranch_execnz .LBB118_413
; %bb.414:
	s_or_b64 exec, exec, s[6:7]
.LBB118_415:
	s_or_b64 exec, exec, s[12:13]
	v_mov_b32_e32 v121, 0
	ds_read_b32 v121, v121 offset:48
	s_waitcnt lgkmcnt(0)
	v_mul_f32_e32 v120, v120, v121
	buffer_store_dword v120, off, s[0:3], 0 offset:48
.LBB118_416:
	s_or_b64 exec, exec, s[8:9]
	buffer_load_dword v120, off, s[0:3], 0 offset:44
	v_cmp_lt_u32_e64 s[6:7], 11, v0
	s_waitcnt vmcnt(0)
	ds_write_b32 v112, v120
	s_waitcnt lgkmcnt(0)
	; wave barrier
	s_waitcnt lgkmcnt(0)
	s_and_saveexec_b64 s[8:9], s[6:7]
	s_cbranch_execz .LBB118_426
; %bb.417:
	s_andn2_b64 vcc, exec, s[10:11]
	s_cbranch_vccnz .LBB118_419
; %bb.418:
	buffer_load_dword v120, v113, s[0:3], 0 offen
	ds_read_b32 v121, v112
	s_waitcnt vmcnt(0) lgkmcnt(0)
	v_mul_f32_e32 v120, v120, v121
	s_cbranch_execz .LBB118_420
	s_branch .LBB118_421
.LBB118_419:
                                        ; implicit-def: $vgpr120
.LBB118_420:
	ds_read_b32 v120, v112
.LBB118_421:
	s_and_saveexec_b64 s[12:13], s[4:5]
	s_cbranch_execz .LBB118_425
; %bb.422:
	v_add_u32_e32 v121, -12, v0
	s_movk_i32 s14, 0x110
	s_mov_b64 s[4:5], 0
.LBB118_423:                            ; =>This Inner Loop Header: Depth=1
	buffer_load_dword v122, v119, s[0:3], 0 offen
	v_mov_b32_e32 v123, s14
	ds_read_b32 v123, v123
	v_add_u32_e32 v121, -1, v121
	s_add_i32 s14, s14, 4
	v_cmp_eq_u32_e32 vcc, 0, v121
	v_add_u32_e32 v119, 4, v119
	s_or_b64 s[4:5], vcc, s[4:5]
	s_waitcnt vmcnt(0) lgkmcnt(0)
	v_fmac_f32_e32 v120, v122, v123
	s_andn2_b64 exec, exec, s[4:5]
	s_cbranch_execnz .LBB118_423
; %bb.424:
	s_or_b64 exec, exec, s[4:5]
.LBB118_425:
	s_or_b64 exec, exec, s[12:13]
	v_mov_b32_e32 v119, 0
	ds_read_b32 v119, v119 offset:44
	s_waitcnt lgkmcnt(0)
	v_mul_f32_e32 v119, v120, v119
	buffer_store_dword v119, off, s[0:3], 0 offset:44
.LBB118_426:
	s_or_b64 exec, exec, s[8:9]
	buffer_load_dword v119, off, s[0:3], 0 offset:40
	v_cmp_lt_u32_e64 s[4:5], 10, v0
	s_waitcnt vmcnt(0)
	ds_write_b32 v112, v119
	s_waitcnt lgkmcnt(0)
	; wave barrier
	s_waitcnt lgkmcnt(0)
	s_and_saveexec_b64 s[8:9], s[4:5]
	s_cbranch_execz .LBB118_436
; %bb.427:
	s_andn2_b64 vcc, exec, s[10:11]
	s_cbranch_vccnz .LBB118_429
; %bb.428:
	buffer_load_dword v119, v113, s[0:3], 0 offen
	ds_read_b32 v120, v112
	s_waitcnt vmcnt(0) lgkmcnt(0)
	v_mul_f32_e32 v119, v119, v120
	s_cbranch_execz .LBB118_430
	s_branch .LBB118_431
.LBB118_429:
                                        ; implicit-def: $vgpr119
.LBB118_430:
	ds_read_b32 v119, v112
.LBB118_431:
	s_and_saveexec_b64 s[12:13], s[6:7]
	s_cbranch_execz .LBB118_435
; %bb.432:
	v_mov_b32_e32 v120, 0
	v_add_u32_e32 v120, 44, v120
	v_add_u32_e32 v121, -11, v0
	s_movk_i32 s14, 0x10c
	s_mov_b64 s[6:7], 0
.LBB118_433:                            ; =>This Inner Loop Header: Depth=1
	buffer_load_dword v122, v120, s[0:3], 0 offen
	v_mov_b32_e32 v123, s14
	ds_read_b32 v123, v123
	v_add_u32_e32 v121, -1, v121
	s_add_i32 s14, s14, 4
	v_cmp_eq_u32_e32 vcc, 0, v121
	v_add_u32_e32 v120, 4, v120
	s_or_b64 s[6:7], vcc, s[6:7]
	s_waitcnt vmcnt(0) lgkmcnt(0)
	v_fmac_f32_e32 v119, v122, v123
	s_andn2_b64 exec, exec, s[6:7]
	s_cbranch_execnz .LBB118_433
; %bb.434:
	s_or_b64 exec, exec, s[6:7]
.LBB118_435:
	s_or_b64 exec, exec, s[12:13]
	v_mov_b32_e32 v120, 0
	ds_read_b32 v120, v120 offset:40
	s_waitcnt lgkmcnt(0)
	v_mul_f32_e32 v119, v119, v120
	buffer_store_dword v119, off, s[0:3], 0 offset:40
.LBB118_436:
	s_or_b64 exec, exec, s[8:9]
	buffer_load_dword v119, off, s[0:3], 0 offset:36
	v_cmp_lt_u32_e64 s[6:7], 9, v0
	s_waitcnt vmcnt(0)
	ds_write_b32 v112, v119
	s_waitcnt lgkmcnt(0)
	; wave barrier
	s_waitcnt lgkmcnt(0)
	s_and_saveexec_b64 s[8:9], s[6:7]
	s_cbranch_execz .LBB118_446
; %bb.437:
	s_andn2_b64 vcc, exec, s[10:11]
	s_cbranch_vccnz .LBB118_439
; %bb.438:
	buffer_load_dword v119, v113, s[0:3], 0 offen
	ds_read_b32 v120, v112
	s_waitcnt vmcnt(0) lgkmcnt(0)
	v_mul_f32_e32 v119, v119, v120
	s_cbranch_execz .LBB118_440
	s_branch .LBB118_441
.LBB118_439:
                                        ; implicit-def: $vgpr119
.LBB118_440:
	ds_read_b32 v119, v112
.LBB118_441:
	s_and_saveexec_b64 s[12:13], s[4:5]
	s_cbranch_execz .LBB118_445
; %bb.442:
	v_add_u32_e32 v120, -10, v0
	s_movk_i32 s14, 0x108
	s_mov_b64 s[4:5], 0
.LBB118_443:                            ; =>This Inner Loop Header: Depth=1
	buffer_load_dword v121, v118, s[0:3], 0 offen
	v_mov_b32_e32 v122, s14
	ds_read_b32 v122, v122
	v_add_u32_e32 v120, -1, v120
	s_add_i32 s14, s14, 4
	v_cmp_eq_u32_e32 vcc, 0, v120
	v_add_u32_e32 v118, 4, v118
	s_or_b64 s[4:5], vcc, s[4:5]
	s_waitcnt vmcnt(0) lgkmcnt(0)
	v_fmac_f32_e32 v119, v121, v122
	s_andn2_b64 exec, exec, s[4:5]
	s_cbranch_execnz .LBB118_443
; %bb.444:
	s_or_b64 exec, exec, s[4:5]
.LBB118_445:
	s_or_b64 exec, exec, s[12:13]
	v_mov_b32_e32 v118, 0
	ds_read_b32 v118, v118 offset:36
	s_waitcnt lgkmcnt(0)
	v_mul_f32_e32 v118, v119, v118
	buffer_store_dword v118, off, s[0:3], 0 offset:36
.LBB118_446:
	s_or_b64 exec, exec, s[8:9]
	buffer_load_dword v118, off, s[0:3], 0 offset:32
	v_cmp_lt_u32_e64 s[4:5], 8, v0
	s_waitcnt vmcnt(0)
	ds_write_b32 v112, v118
	s_waitcnt lgkmcnt(0)
	; wave barrier
	s_waitcnt lgkmcnt(0)
	s_and_saveexec_b64 s[8:9], s[4:5]
	s_cbranch_execz .LBB118_456
; %bb.447:
	s_andn2_b64 vcc, exec, s[10:11]
	s_cbranch_vccnz .LBB118_449
; %bb.448:
	buffer_load_dword v118, v113, s[0:3], 0 offen
	ds_read_b32 v119, v112
	s_waitcnt vmcnt(0) lgkmcnt(0)
	v_mul_f32_e32 v118, v118, v119
	s_cbranch_execz .LBB118_450
	s_branch .LBB118_451
.LBB118_449:
                                        ; implicit-def: $vgpr118
.LBB118_450:
	ds_read_b32 v118, v112
.LBB118_451:
	s_and_saveexec_b64 s[12:13], s[6:7]
	s_cbranch_execz .LBB118_455
; %bb.452:
	v_mov_b32_e32 v119, 0
	v_add_u32_e32 v119, 36, v119
	v_add_u32_e32 v120, -9, v0
	s_movk_i32 s14, 0x104
	s_mov_b64 s[6:7], 0
.LBB118_453:                            ; =>This Inner Loop Header: Depth=1
	buffer_load_dword v121, v119, s[0:3], 0 offen
	v_mov_b32_e32 v122, s14
	ds_read_b32 v122, v122
	v_add_u32_e32 v120, -1, v120
	s_add_i32 s14, s14, 4
	v_cmp_eq_u32_e32 vcc, 0, v120
	v_add_u32_e32 v119, 4, v119
	s_or_b64 s[6:7], vcc, s[6:7]
	s_waitcnt vmcnt(0) lgkmcnt(0)
	v_fmac_f32_e32 v118, v121, v122
	s_andn2_b64 exec, exec, s[6:7]
	s_cbranch_execnz .LBB118_453
; %bb.454:
	s_or_b64 exec, exec, s[6:7]
.LBB118_455:
	s_or_b64 exec, exec, s[12:13]
	v_mov_b32_e32 v119, 0
	ds_read_b32 v119, v119 offset:32
	s_waitcnt lgkmcnt(0)
	v_mul_f32_e32 v118, v118, v119
	buffer_store_dword v118, off, s[0:3], 0 offset:32
.LBB118_456:
	s_or_b64 exec, exec, s[8:9]
	buffer_load_dword v118, off, s[0:3], 0 offset:28
	v_cmp_lt_u32_e64 s[6:7], 7, v0
	s_waitcnt vmcnt(0)
	ds_write_b32 v112, v118
	s_waitcnt lgkmcnt(0)
	; wave barrier
	s_waitcnt lgkmcnt(0)
	s_and_saveexec_b64 s[8:9], s[6:7]
	s_cbranch_execz .LBB118_466
; %bb.457:
	s_andn2_b64 vcc, exec, s[10:11]
	s_cbranch_vccnz .LBB118_459
; %bb.458:
	buffer_load_dword v118, v113, s[0:3], 0 offen
	ds_read_b32 v119, v112
	s_waitcnt vmcnt(0) lgkmcnt(0)
	v_mul_f32_e32 v118, v118, v119
	s_cbranch_execz .LBB118_460
	s_branch .LBB118_461
.LBB118_459:
                                        ; implicit-def: $vgpr118
.LBB118_460:
	ds_read_b32 v118, v112
.LBB118_461:
	s_and_saveexec_b64 s[12:13], s[4:5]
	s_cbranch_execz .LBB118_465
; %bb.462:
	v_add_u32_e32 v119, -8, v0
	s_movk_i32 s14, 0x100
	s_mov_b64 s[4:5], 0
.LBB118_463:                            ; =>This Inner Loop Header: Depth=1
	buffer_load_dword v120, v117, s[0:3], 0 offen
	v_mov_b32_e32 v121, s14
	ds_read_b32 v121, v121
	v_add_u32_e32 v119, -1, v119
	s_add_i32 s14, s14, 4
	v_cmp_eq_u32_e32 vcc, 0, v119
	v_add_u32_e32 v117, 4, v117
	s_or_b64 s[4:5], vcc, s[4:5]
	s_waitcnt vmcnt(0) lgkmcnt(0)
	v_fmac_f32_e32 v118, v120, v121
	s_andn2_b64 exec, exec, s[4:5]
	s_cbranch_execnz .LBB118_463
; %bb.464:
	s_or_b64 exec, exec, s[4:5]
.LBB118_465:
	s_or_b64 exec, exec, s[12:13]
	v_mov_b32_e32 v117, 0
	ds_read_b32 v117, v117 offset:28
	s_waitcnt lgkmcnt(0)
	v_mul_f32_e32 v117, v118, v117
	buffer_store_dword v117, off, s[0:3], 0 offset:28
.LBB118_466:
	s_or_b64 exec, exec, s[8:9]
	buffer_load_dword v117, off, s[0:3], 0 offset:24
	v_cmp_lt_u32_e64 s[4:5], 6, v0
	s_waitcnt vmcnt(0)
	ds_write_b32 v112, v117
	s_waitcnt lgkmcnt(0)
	; wave barrier
	s_waitcnt lgkmcnt(0)
	s_and_saveexec_b64 s[8:9], s[4:5]
	s_cbranch_execz .LBB118_476
; %bb.467:
	s_andn2_b64 vcc, exec, s[10:11]
	s_cbranch_vccnz .LBB118_469
; %bb.468:
	buffer_load_dword v117, v113, s[0:3], 0 offen
	ds_read_b32 v118, v112
	s_waitcnt vmcnt(0) lgkmcnt(0)
	v_mul_f32_e32 v117, v117, v118
	s_cbranch_execz .LBB118_470
	s_branch .LBB118_471
.LBB118_469:
                                        ; implicit-def: $vgpr117
.LBB118_470:
	ds_read_b32 v117, v112
.LBB118_471:
	s_and_saveexec_b64 s[12:13], s[6:7]
	s_cbranch_execz .LBB118_475
; %bb.472:
	v_mov_b32_e32 v118, 0
	v_add_u32_e32 v118, 28, v118
	v_add_u32_e32 v119, -7, v0
	s_movk_i32 s14, 0xfc
	s_mov_b64 s[6:7], 0
.LBB118_473:                            ; =>This Inner Loop Header: Depth=1
	buffer_load_dword v120, v118, s[0:3], 0 offen
	v_mov_b32_e32 v121, s14
	ds_read_b32 v121, v121
	v_add_u32_e32 v119, -1, v119
	s_add_i32 s14, s14, 4
	v_cmp_eq_u32_e32 vcc, 0, v119
	v_add_u32_e32 v118, 4, v118
	s_or_b64 s[6:7], vcc, s[6:7]
	s_waitcnt vmcnt(0) lgkmcnt(0)
	v_fmac_f32_e32 v117, v120, v121
	s_andn2_b64 exec, exec, s[6:7]
	s_cbranch_execnz .LBB118_473
; %bb.474:
	s_or_b64 exec, exec, s[6:7]
.LBB118_475:
	s_or_b64 exec, exec, s[12:13]
	v_mov_b32_e32 v118, 0
	ds_read_b32 v118, v118 offset:24
	s_waitcnt lgkmcnt(0)
	v_mul_f32_e32 v117, v117, v118
	buffer_store_dword v117, off, s[0:3], 0 offset:24
.LBB118_476:
	s_or_b64 exec, exec, s[8:9]
	buffer_load_dword v117, off, s[0:3], 0 offset:20
	v_cmp_lt_u32_e64 s[6:7], 5, v0
	s_waitcnt vmcnt(0)
	ds_write_b32 v112, v117
	s_waitcnt lgkmcnt(0)
	; wave barrier
	s_waitcnt lgkmcnt(0)
	s_and_saveexec_b64 s[8:9], s[6:7]
	s_cbranch_execz .LBB118_486
; %bb.477:
	s_andn2_b64 vcc, exec, s[10:11]
	s_cbranch_vccnz .LBB118_479
; %bb.478:
	buffer_load_dword v117, v113, s[0:3], 0 offen
	ds_read_b32 v118, v112
	s_waitcnt vmcnt(0) lgkmcnt(0)
	v_mul_f32_e32 v117, v117, v118
	s_cbranch_execz .LBB118_480
	s_branch .LBB118_481
.LBB118_479:
                                        ; implicit-def: $vgpr117
.LBB118_480:
	ds_read_b32 v117, v112
.LBB118_481:
	s_and_saveexec_b64 s[12:13], s[4:5]
	s_cbranch_execz .LBB118_485
; %bb.482:
	v_add_u32_e32 v118, -6, v0
	s_movk_i32 s14, 0xf8
	s_mov_b64 s[4:5], 0
.LBB118_483:                            ; =>This Inner Loop Header: Depth=1
	buffer_load_dword v119, v116, s[0:3], 0 offen
	v_mov_b32_e32 v120, s14
	ds_read_b32 v120, v120
	v_add_u32_e32 v118, -1, v118
	s_add_i32 s14, s14, 4
	v_cmp_eq_u32_e32 vcc, 0, v118
	v_add_u32_e32 v116, 4, v116
	s_or_b64 s[4:5], vcc, s[4:5]
	s_waitcnt vmcnt(0) lgkmcnt(0)
	v_fmac_f32_e32 v117, v119, v120
	s_andn2_b64 exec, exec, s[4:5]
	s_cbranch_execnz .LBB118_483
; %bb.484:
	s_or_b64 exec, exec, s[4:5]
.LBB118_485:
	s_or_b64 exec, exec, s[12:13]
	v_mov_b32_e32 v116, 0
	ds_read_b32 v116, v116 offset:20
	s_waitcnt lgkmcnt(0)
	v_mul_f32_e32 v116, v117, v116
	buffer_store_dword v116, off, s[0:3], 0 offset:20
.LBB118_486:
	s_or_b64 exec, exec, s[8:9]
	buffer_load_dword v116, off, s[0:3], 0 offset:16
	v_cmp_lt_u32_e64 s[4:5], 4, v0
	s_waitcnt vmcnt(0)
	ds_write_b32 v112, v116
	s_waitcnt lgkmcnt(0)
	; wave barrier
	s_waitcnt lgkmcnt(0)
	s_and_saveexec_b64 s[8:9], s[4:5]
	s_cbranch_execz .LBB118_496
; %bb.487:
	s_andn2_b64 vcc, exec, s[10:11]
	s_cbranch_vccnz .LBB118_489
; %bb.488:
	buffer_load_dword v116, v113, s[0:3], 0 offen
	ds_read_b32 v117, v112
	s_waitcnt vmcnt(0) lgkmcnt(0)
	v_mul_f32_e32 v116, v116, v117
	s_cbranch_execz .LBB118_490
	s_branch .LBB118_491
.LBB118_489:
                                        ; implicit-def: $vgpr116
.LBB118_490:
	ds_read_b32 v116, v112
.LBB118_491:
	s_and_saveexec_b64 s[12:13], s[6:7]
	s_cbranch_execz .LBB118_495
; %bb.492:
	v_mov_b32_e32 v117, 0
	v_add_u32_e32 v117, 20, v117
	v_add_u32_e32 v118, -5, v0
	s_movk_i32 s14, 0xf4
	s_mov_b64 s[6:7], 0
.LBB118_493:                            ; =>This Inner Loop Header: Depth=1
	buffer_load_dword v119, v117, s[0:3], 0 offen
	v_mov_b32_e32 v120, s14
	ds_read_b32 v120, v120
	v_add_u32_e32 v118, -1, v118
	s_add_i32 s14, s14, 4
	v_cmp_eq_u32_e32 vcc, 0, v118
	v_add_u32_e32 v117, 4, v117
	s_or_b64 s[6:7], vcc, s[6:7]
	s_waitcnt vmcnt(0) lgkmcnt(0)
	v_fmac_f32_e32 v116, v119, v120
	s_andn2_b64 exec, exec, s[6:7]
	s_cbranch_execnz .LBB118_493
; %bb.494:
	s_or_b64 exec, exec, s[6:7]
.LBB118_495:
	s_or_b64 exec, exec, s[12:13]
	v_mov_b32_e32 v117, 0
	ds_read_b32 v117, v117 offset:16
	s_waitcnt lgkmcnt(0)
	v_mul_f32_e32 v116, v116, v117
	buffer_store_dword v116, off, s[0:3], 0 offset:16
.LBB118_496:
	s_or_b64 exec, exec, s[8:9]
	buffer_load_dword v116, off, s[0:3], 0 offset:12
	v_cmp_lt_u32_e64 s[6:7], 3, v0
	s_waitcnt vmcnt(0)
	ds_write_b32 v112, v116
	s_waitcnt lgkmcnt(0)
	; wave barrier
	s_waitcnt lgkmcnt(0)
	s_and_saveexec_b64 s[8:9], s[6:7]
	s_cbranch_execz .LBB118_506
; %bb.497:
	s_andn2_b64 vcc, exec, s[10:11]
	s_cbranch_vccnz .LBB118_499
; %bb.498:
	buffer_load_dword v116, v113, s[0:3], 0 offen
	ds_read_b32 v117, v112
	s_waitcnt vmcnt(0) lgkmcnt(0)
	v_mul_f32_e32 v116, v116, v117
	s_cbranch_execz .LBB118_500
	s_branch .LBB118_501
.LBB118_499:
                                        ; implicit-def: $vgpr116
.LBB118_500:
	ds_read_b32 v116, v112
.LBB118_501:
	s_and_saveexec_b64 s[12:13], s[4:5]
	s_cbranch_execz .LBB118_505
; %bb.502:
	v_add_u32_e32 v117, -4, v0
	s_movk_i32 s14, 0xf0
	s_mov_b64 s[4:5], 0
.LBB118_503:                            ; =>This Inner Loop Header: Depth=1
	buffer_load_dword v118, v115, s[0:3], 0 offen
	v_mov_b32_e32 v119, s14
	ds_read_b32 v119, v119
	v_add_u32_e32 v117, -1, v117
	s_add_i32 s14, s14, 4
	v_cmp_eq_u32_e32 vcc, 0, v117
	v_add_u32_e32 v115, 4, v115
	s_or_b64 s[4:5], vcc, s[4:5]
	s_waitcnt vmcnt(0) lgkmcnt(0)
	v_fmac_f32_e32 v116, v118, v119
	s_andn2_b64 exec, exec, s[4:5]
	s_cbranch_execnz .LBB118_503
; %bb.504:
	s_or_b64 exec, exec, s[4:5]
.LBB118_505:
	s_or_b64 exec, exec, s[12:13]
	v_mov_b32_e32 v115, 0
	ds_read_b32 v115, v115 offset:12
	s_waitcnt lgkmcnt(0)
	v_mul_f32_e32 v115, v116, v115
	buffer_store_dword v115, off, s[0:3], 0 offset:12
.LBB118_506:
	s_or_b64 exec, exec, s[8:9]
	buffer_load_dword v115, off, s[0:3], 0 offset:8
	v_cmp_lt_u32_e64 s[4:5], 2, v0
	s_waitcnt vmcnt(0)
	ds_write_b32 v112, v115
	s_waitcnt lgkmcnt(0)
	; wave barrier
	s_waitcnt lgkmcnt(0)
	s_and_saveexec_b64 s[8:9], s[4:5]
	s_cbranch_execz .LBB118_516
; %bb.507:
	s_andn2_b64 vcc, exec, s[10:11]
	s_cbranch_vccnz .LBB118_509
; %bb.508:
	buffer_load_dword v115, v113, s[0:3], 0 offen
	ds_read_b32 v116, v112
	s_waitcnt vmcnt(0) lgkmcnt(0)
	v_mul_f32_e32 v115, v115, v116
	s_cbranch_execz .LBB118_510
	s_branch .LBB118_511
.LBB118_509:
                                        ; implicit-def: $vgpr115
.LBB118_510:
	ds_read_b32 v115, v112
.LBB118_511:
	s_and_saveexec_b64 s[12:13], s[6:7]
	s_cbranch_execz .LBB118_515
; %bb.512:
	v_mov_b32_e32 v116, 0
	v_or_b32_e32 v116, 12, v116
	v_add_u32_e32 v117, -3, v0
	s_movk_i32 s14, 0xec
	s_mov_b64 s[6:7], 0
.LBB118_513:                            ; =>This Inner Loop Header: Depth=1
	buffer_load_dword v118, v116, s[0:3], 0 offen
	v_mov_b32_e32 v119, s14
	ds_read_b32 v119, v119
	v_add_u32_e32 v117, -1, v117
	s_add_i32 s14, s14, 4
	v_cmp_eq_u32_e32 vcc, 0, v117
	v_add_u32_e32 v116, 4, v116
	s_or_b64 s[6:7], vcc, s[6:7]
	s_waitcnt vmcnt(0) lgkmcnt(0)
	v_fmac_f32_e32 v115, v118, v119
	s_andn2_b64 exec, exec, s[6:7]
	s_cbranch_execnz .LBB118_513
; %bb.514:
	s_or_b64 exec, exec, s[6:7]
.LBB118_515:
	s_or_b64 exec, exec, s[12:13]
	v_mov_b32_e32 v116, 0
	ds_read_b32 v116, v116 offset:8
	s_waitcnt lgkmcnt(0)
	v_mul_f32_e32 v115, v115, v116
	buffer_store_dword v115, off, s[0:3], 0 offset:8
.LBB118_516:
	s_or_b64 exec, exec, s[8:9]
	buffer_load_dword v115, off, s[0:3], 0 offset:4
	v_cmp_lt_u32_e64 s[6:7], 1, v0
	s_waitcnt vmcnt(0)
	ds_write_b32 v112, v115
	s_waitcnt lgkmcnt(0)
	; wave barrier
	s_waitcnt lgkmcnt(0)
	s_and_saveexec_b64 s[8:9], s[6:7]
	s_cbranch_execz .LBB118_526
; %bb.517:
	s_andn2_b64 vcc, exec, s[10:11]
	s_cbranch_vccnz .LBB118_519
; %bb.518:
	buffer_load_dword v115, v113, s[0:3], 0 offen
	ds_read_b32 v116, v112
	s_waitcnt vmcnt(0) lgkmcnt(0)
	v_mul_f32_e32 v115, v115, v116
	s_cbranch_execz .LBB118_520
	s_branch .LBB118_521
.LBB118_519:
                                        ; implicit-def: $vgpr115
.LBB118_520:
	ds_read_b32 v115, v112
.LBB118_521:
	s_and_saveexec_b64 s[12:13], s[4:5]
	s_cbranch_execz .LBB118_525
; %bb.522:
	v_add_u32_e32 v116, -2, v0
	s_movk_i32 s14, 0xe8
	s_mov_b64 s[4:5], 0
.LBB118_523:                            ; =>This Inner Loop Header: Depth=1
	buffer_load_dword v117, v114, s[0:3], 0 offen
	v_mov_b32_e32 v118, s14
	ds_read_b32 v118, v118
	v_add_u32_e32 v116, -1, v116
	s_add_i32 s14, s14, 4
	v_cmp_eq_u32_e32 vcc, 0, v116
	v_add_u32_e32 v114, 4, v114
	s_or_b64 s[4:5], vcc, s[4:5]
	s_waitcnt vmcnt(0) lgkmcnt(0)
	v_fmac_f32_e32 v115, v117, v118
	s_andn2_b64 exec, exec, s[4:5]
	s_cbranch_execnz .LBB118_523
; %bb.524:
	s_or_b64 exec, exec, s[4:5]
.LBB118_525:
	s_or_b64 exec, exec, s[12:13]
	v_mov_b32_e32 v114, 0
	ds_read_b32 v114, v114 offset:4
	s_waitcnt lgkmcnt(0)
	v_mul_f32_e32 v114, v115, v114
	buffer_store_dword v114, off, s[0:3], 0 offset:4
.LBB118_526:
	s_or_b64 exec, exec, s[8:9]
	buffer_load_dword v114, off, s[0:3], 0
	v_cmp_ne_u32_e32 vcc, 0, v0
	s_waitcnt vmcnt(0)
	ds_write_b32 v112, v114
	s_waitcnt lgkmcnt(0)
	; wave barrier
	s_waitcnt lgkmcnt(0)
	s_and_saveexec_b64 s[4:5], vcc
	s_cbranch_execz .LBB118_536
; %bb.527:
	s_andn2_b64 vcc, exec, s[10:11]
	s_cbranch_vccnz .LBB118_529
; %bb.528:
	buffer_load_dword v114, v113, s[0:3], 0 offen
	ds_read_b32 v115, v112
	s_waitcnt vmcnt(0) lgkmcnt(0)
	v_mul_f32_e32 v114, v114, v115
	s_cbranch_execz .LBB118_530
	s_branch .LBB118_531
.LBB118_529:
                                        ; implicit-def: $vgpr114
.LBB118_530:
	ds_read_b32 v114, v112
.LBB118_531:
	s_and_saveexec_b64 s[8:9], s[6:7]
	s_cbranch_execz .LBB118_535
; %bb.532:
	v_mov_b32_e32 v115, 0
	v_or_b32_e32 v115, 4, v115
	v_add_u32_e32 v116, -1, v0
	s_movk_i32 s12, 0xe4
	s_mov_b64 s[6:7], 0
.LBB118_533:                            ; =>This Inner Loop Header: Depth=1
	buffer_load_dword v117, v115, s[0:3], 0 offen
	v_mov_b32_e32 v118, s12
	ds_read_b32 v118, v118
	v_add_u32_e32 v116, -1, v116
	s_add_i32 s12, s12, 4
	v_cmp_eq_u32_e32 vcc, 0, v116
	v_add_u32_e32 v115, 4, v115
	s_or_b64 s[6:7], vcc, s[6:7]
	s_waitcnt vmcnt(0) lgkmcnt(0)
	v_fmac_f32_e32 v114, v117, v118
	s_andn2_b64 exec, exec, s[6:7]
	s_cbranch_execnz .LBB118_533
; %bb.534:
	s_or_b64 exec, exec, s[6:7]
.LBB118_535:
	s_or_b64 exec, exec, s[8:9]
	v_mov_b32_e32 v115, 0
	ds_read_b32 v115, v115
	s_waitcnt lgkmcnt(0)
	v_mul_f32_e32 v114, v114, v115
	buffer_store_dword v114, off, s[0:3], 0
.LBB118_536:
	s_or_b64 exec, exec, s[4:5]
	s_mov_b64 s[4:5], 0
.LBB118_537:
	s_and_b64 vcc, exec, s[4:5]
	s_cbranch_vccz .LBB118_1071
; %bb.538:
	buffer_load_dword v114, off, s[0:3], 0 offset:4
	v_cmp_eq_u32_e64 s[6:7], 0, v0
	s_waitcnt vmcnt(0)
	ds_write_b32 v112, v114
	s_waitcnt lgkmcnt(0)
	; wave barrier
	s_waitcnt lgkmcnt(0)
	s_and_saveexec_b64 s[4:5], s[6:7]
	s_cbranch_execz .LBB118_544
; %bb.539:
	s_and_b64 vcc, exec, s[10:11]
	s_cbranch_vccz .LBB118_541
; %bb.540:
	buffer_load_dword v114, v113, s[0:3], 0 offen
	ds_read_b32 v115, v112
	s_waitcnt vmcnt(0) lgkmcnt(0)
	v_mul_f32_e32 v114, v114, v115
	s_cbranch_execz .LBB118_542
	s_branch .LBB118_543
.LBB118_541:
                                        ; implicit-def: $vgpr114
.LBB118_542:
	ds_read_b32 v114, v112
.LBB118_543:
	v_mov_b32_e32 v115, 0
	ds_read_b32 v115, v115 offset:4
	s_waitcnt lgkmcnt(0)
	v_mul_f32_e32 v114, v114, v115
	buffer_store_dword v114, off, s[0:3], 0 offset:4
.LBB118_544:
	s_or_b64 exec, exec, s[4:5]
	buffer_load_dword v114, off, s[0:3], 0 offset:8
	v_cndmask_b32_e64 v115, 0, 1, s[10:11]
	v_cmp_gt_u32_e32 vcc, 2, v0
	v_cmp_ne_u32_e64 s[4:5], 1, v115
	s_waitcnt vmcnt(0)
	ds_write_b32 v112, v114
	s_waitcnt lgkmcnt(0)
	; wave barrier
	s_waitcnt lgkmcnt(0)
	s_and_saveexec_b64 s[8:9], vcc
	s_cbranch_execz .LBB118_552
; %bb.545:
	s_and_b64 vcc, exec, s[4:5]
	s_cbranch_vccnz .LBB118_547
; %bb.546:
	buffer_load_dword v114, v113, s[0:3], 0 offen
	ds_read_b32 v115, v112
	s_waitcnt vmcnt(0) lgkmcnt(0)
	v_mul_f32_e32 v114, v114, v115
	s_cbranch_execz .LBB118_548
	s_branch .LBB118_549
.LBB118_547:
                                        ; implicit-def: $vgpr114
.LBB118_548:
	ds_read_b32 v114, v112
.LBB118_549:
	s_and_saveexec_b64 s[10:11], s[6:7]
	s_cbranch_execz .LBB118_551
; %bb.550:
	buffer_load_dword v115, v113, s[0:3], 0 offen offset:4
	ds_read_b32 v116, v112 offset:4
	s_waitcnt vmcnt(0) lgkmcnt(0)
	v_fmac_f32_e32 v114, v115, v116
.LBB118_551:
	s_or_b64 exec, exec, s[10:11]
	v_mov_b32_e32 v115, 0
	ds_read_b32 v115, v115 offset:8
	s_waitcnt lgkmcnt(0)
	v_mul_f32_e32 v114, v114, v115
	buffer_store_dword v114, off, s[0:3], 0 offset:8
.LBB118_552:
	s_or_b64 exec, exec, s[8:9]
	buffer_load_dword v114, off, s[0:3], 0 offset:12
	v_cmp_gt_u32_e32 vcc, 3, v0
	s_waitcnt vmcnt(0)
	ds_write_b32 v112, v114
	s_waitcnt lgkmcnt(0)
	; wave barrier
	s_waitcnt lgkmcnt(0)
	s_and_saveexec_b64 s[8:9], vcc
	s_cbranch_execz .LBB118_560
; %bb.553:
	s_and_b64 vcc, exec, s[4:5]
	s_cbranch_vccnz .LBB118_555
; %bb.554:
	buffer_load_dword v114, v113, s[0:3], 0 offen
	ds_read_b32 v115, v112
	s_waitcnt vmcnt(0) lgkmcnt(0)
	v_mul_f32_e32 v114, v114, v115
	s_cbranch_execz .LBB118_556
	s_branch .LBB118_557
.LBB118_555:
                                        ; implicit-def: $vgpr114
.LBB118_556:
	ds_read_b32 v114, v112
.LBB118_557:
	v_cmp_ne_u32_e32 vcc, 2, v0
	s_and_saveexec_b64 s[10:11], vcc
	s_cbranch_execz .LBB118_559
; %bb.558:
	buffer_load_dword v115, v113, s[0:3], 0 offen offset:4
	buffer_load_dword v116, off, s[0:3], 0 offset:8
	v_mov_b32_e32 v117, 0
	ds_read_b32 v118, v112 offset:4
	ds_read_b32 v117, v117 offset:232
	s_waitcnt vmcnt(1) lgkmcnt(1)
	v_fmac_f32_e32 v114, v115, v118
	s_waitcnt vmcnt(0) lgkmcnt(0)
	v_fma_f32 v115, v116, v117, v114
	v_cndmask_b32_e64 v114, v114, v115, s[6:7]
.LBB118_559:
	s_or_b64 exec, exec, s[10:11]
	v_mov_b32_e32 v115, 0
	ds_read_b32 v115, v115 offset:12
	s_waitcnt lgkmcnt(0)
	v_mul_f32_e32 v114, v114, v115
	buffer_store_dword v114, off, s[0:3], 0 offset:12
.LBB118_560:
	s_or_b64 exec, exec, s[8:9]
	buffer_load_dword v114, off, s[0:3], 0 offset:16
	v_cmp_gt_u32_e32 vcc, 4, v0
	s_waitcnt vmcnt(0)
	ds_write_b32 v112, v114
	s_waitcnt lgkmcnt(0)
	; wave barrier
	s_waitcnt lgkmcnt(0)
	s_and_saveexec_b64 s[6:7], vcc
	s_cbranch_execz .LBB118_570
; %bb.561:
	s_and_b64 vcc, exec, s[4:5]
	s_cbranch_vccnz .LBB118_563
; %bb.562:
	buffer_load_dword v114, v113, s[0:3], 0 offen
	ds_read_b32 v115, v112
	s_waitcnt vmcnt(0) lgkmcnt(0)
	v_mul_f32_e32 v114, v114, v115
	s_cbranch_execz .LBB118_564
	s_branch .LBB118_565
.LBB118_563:
                                        ; implicit-def: $vgpr114
.LBB118_564:
	ds_read_b32 v114, v112
.LBB118_565:
	v_cmp_ne_u32_e32 vcc, 3, v0
	s_and_saveexec_b64 s[8:9], vcc
	s_cbranch_execz .LBB118_569
; %bb.566:
	v_mov_b32_e32 v116, 0
	v_add_u32_e32 v115, 0xe4, v1
	v_add3_u32 v116, v1, v116, 4
	s_mov_b64 s[10:11], 0
	v_mov_b32_e32 v117, v0
.LBB118_567:                            ; =>This Inner Loop Header: Depth=1
	buffer_load_dword v118, v116, s[0:3], 0 offen
	ds_read_b32 v119, v115
	v_add_u32_e32 v117, 1, v117
	v_cmp_lt_u32_e32 vcc, 2, v117
	v_add_u32_e32 v115, 4, v115
	v_add_u32_e32 v116, 4, v116
	s_or_b64 s[10:11], vcc, s[10:11]
	s_waitcnt vmcnt(0) lgkmcnt(0)
	v_fmac_f32_e32 v114, v118, v119
	s_andn2_b64 exec, exec, s[10:11]
	s_cbranch_execnz .LBB118_567
; %bb.568:
	s_or_b64 exec, exec, s[10:11]
.LBB118_569:
	s_or_b64 exec, exec, s[8:9]
	v_mov_b32_e32 v115, 0
	ds_read_b32 v115, v115 offset:16
	s_waitcnt lgkmcnt(0)
	v_mul_f32_e32 v114, v114, v115
	buffer_store_dword v114, off, s[0:3], 0 offset:16
.LBB118_570:
	s_or_b64 exec, exec, s[6:7]
	buffer_load_dword v114, off, s[0:3], 0 offset:20
	v_cmp_gt_u32_e32 vcc, 5, v0
	s_waitcnt vmcnt(0)
	ds_write_b32 v112, v114
	s_waitcnt lgkmcnt(0)
	; wave barrier
	s_waitcnt lgkmcnt(0)
	s_and_saveexec_b64 s[6:7], vcc
	s_cbranch_execz .LBB118_580
; %bb.571:
	s_and_b64 vcc, exec, s[4:5]
	s_cbranch_vccnz .LBB118_573
; %bb.572:
	buffer_load_dword v114, v113, s[0:3], 0 offen
	ds_read_b32 v115, v112
	s_waitcnt vmcnt(0) lgkmcnt(0)
	v_mul_f32_e32 v114, v114, v115
	s_cbranch_execz .LBB118_574
	s_branch .LBB118_575
.LBB118_573:
                                        ; implicit-def: $vgpr114
.LBB118_574:
	ds_read_b32 v114, v112
.LBB118_575:
	v_cmp_ne_u32_e32 vcc, 4, v0
	s_and_saveexec_b64 s[8:9], vcc
	s_cbranch_execz .LBB118_579
; %bb.576:
	v_mov_b32_e32 v116, 0
	v_add_u32_e32 v115, 0xe4, v1
	v_add3_u32 v116, v1, v116, 4
	s_mov_b64 s[10:11], 0
	v_mov_b32_e32 v117, v0
.LBB118_577:                            ; =>This Inner Loop Header: Depth=1
	buffer_load_dword v118, v116, s[0:3], 0 offen
	ds_read_b32 v119, v115
	v_add_u32_e32 v117, 1, v117
	v_cmp_lt_u32_e32 vcc, 3, v117
	v_add_u32_e32 v115, 4, v115
	v_add_u32_e32 v116, 4, v116
	s_or_b64 s[10:11], vcc, s[10:11]
	s_waitcnt vmcnt(0) lgkmcnt(0)
	v_fmac_f32_e32 v114, v118, v119
	s_andn2_b64 exec, exec, s[10:11]
	s_cbranch_execnz .LBB118_577
; %bb.578:
	s_or_b64 exec, exec, s[10:11]
.LBB118_579:
	s_or_b64 exec, exec, s[8:9]
	v_mov_b32_e32 v115, 0
	ds_read_b32 v115, v115 offset:20
	s_waitcnt lgkmcnt(0)
	v_mul_f32_e32 v114, v114, v115
	buffer_store_dword v114, off, s[0:3], 0 offset:20
.LBB118_580:
	s_or_b64 exec, exec, s[6:7]
	buffer_load_dword v114, off, s[0:3], 0 offset:24
	v_cmp_gt_u32_e32 vcc, 6, v0
	s_waitcnt vmcnt(0)
	ds_write_b32 v112, v114
	s_waitcnt lgkmcnt(0)
	; wave barrier
	s_waitcnt lgkmcnt(0)
	s_and_saveexec_b64 s[6:7], vcc
	s_cbranch_execz .LBB118_590
; %bb.581:
	s_and_b64 vcc, exec, s[4:5]
	s_cbranch_vccnz .LBB118_583
; %bb.582:
	buffer_load_dword v114, v113, s[0:3], 0 offen
	ds_read_b32 v115, v112
	s_waitcnt vmcnt(0) lgkmcnt(0)
	v_mul_f32_e32 v114, v114, v115
	s_cbranch_execz .LBB118_584
	s_branch .LBB118_585
.LBB118_583:
                                        ; implicit-def: $vgpr114
.LBB118_584:
	ds_read_b32 v114, v112
.LBB118_585:
	v_cmp_ne_u32_e32 vcc, 5, v0
	s_and_saveexec_b64 s[8:9], vcc
	s_cbranch_execz .LBB118_589
; %bb.586:
	v_mov_b32_e32 v116, 0
	v_add_u32_e32 v115, 0xe4, v1
	v_add3_u32 v116, v1, v116, 4
	s_mov_b64 s[10:11], 0
	v_mov_b32_e32 v117, v0
.LBB118_587:                            ; =>This Inner Loop Header: Depth=1
	buffer_load_dword v118, v116, s[0:3], 0 offen
	ds_read_b32 v119, v115
	v_add_u32_e32 v117, 1, v117
	v_cmp_lt_u32_e32 vcc, 4, v117
	v_add_u32_e32 v115, 4, v115
	v_add_u32_e32 v116, 4, v116
	s_or_b64 s[10:11], vcc, s[10:11]
	s_waitcnt vmcnt(0) lgkmcnt(0)
	v_fmac_f32_e32 v114, v118, v119
	s_andn2_b64 exec, exec, s[10:11]
	s_cbranch_execnz .LBB118_587
; %bb.588:
	s_or_b64 exec, exec, s[10:11]
.LBB118_589:
	s_or_b64 exec, exec, s[8:9]
	v_mov_b32_e32 v115, 0
	ds_read_b32 v115, v115 offset:24
	s_waitcnt lgkmcnt(0)
	v_mul_f32_e32 v114, v114, v115
	buffer_store_dword v114, off, s[0:3], 0 offset:24
.LBB118_590:
	s_or_b64 exec, exec, s[6:7]
	buffer_load_dword v114, off, s[0:3], 0 offset:28
	v_cmp_gt_u32_e32 vcc, 7, v0
	s_waitcnt vmcnt(0)
	ds_write_b32 v112, v114
	s_waitcnt lgkmcnt(0)
	; wave barrier
	s_waitcnt lgkmcnt(0)
	s_and_saveexec_b64 s[6:7], vcc
	s_cbranch_execz .LBB118_600
; %bb.591:
	s_and_b64 vcc, exec, s[4:5]
	s_cbranch_vccnz .LBB118_593
; %bb.592:
	buffer_load_dword v114, v113, s[0:3], 0 offen
	ds_read_b32 v115, v112
	s_waitcnt vmcnt(0) lgkmcnt(0)
	v_mul_f32_e32 v114, v114, v115
	s_cbranch_execz .LBB118_594
	s_branch .LBB118_595
.LBB118_593:
                                        ; implicit-def: $vgpr114
.LBB118_594:
	ds_read_b32 v114, v112
.LBB118_595:
	v_cmp_ne_u32_e32 vcc, 6, v0
	s_and_saveexec_b64 s[8:9], vcc
	s_cbranch_execz .LBB118_599
; %bb.596:
	v_mov_b32_e32 v116, 0
	v_add_u32_e32 v115, 0xe4, v1
	v_add3_u32 v116, v1, v116, 4
	s_mov_b64 s[10:11], 0
	v_mov_b32_e32 v117, v0
.LBB118_597:                            ; =>This Inner Loop Header: Depth=1
	buffer_load_dword v118, v116, s[0:3], 0 offen
	ds_read_b32 v119, v115
	v_add_u32_e32 v117, 1, v117
	v_cmp_lt_u32_e32 vcc, 5, v117
	v_add_u32_e32 v115, 4, v115
	v_add_u32_e32 v116, 4, v116
	s_or_b64 s[10:11], vcc, s[10:11]
	s_waitcnt vmcnt(0) lgkmcnt(0)
	v_fmac_f32_e32 v114, v118, v119
	s_andn2_b64 exec, exec, s[10:11]
	s_cbranch_execnz .LBB118_597
; %bb.598:
	s_or_b64 exec, exec, s[10:11]
.LBB118_599:
	s_or_b64 exec, exec, s[8:9]
	v_mov_b32_e32 v115, 0
	ds_read_b32 v115, v115 offset:28
	s_waitcnt lgkmcnt(0)
	v_mul_f32_e32 v114, v114, v115
	buffer_store_dword v114, off, s[0:3], 0 offset:28
.LBB118_600:
	s_or_b64 exec, exec, s[6:7]
	buffer_load_dword v114, off, s[0:3], 0 offset:32
	v_cmp_gt_u32_e32 vcc, 8, v0
	s_waitcnt vmcnt(0)
	ds_write_b32 v112, v114
	s_waitcnt lgkmcnt(0)
	; wave barrier
	s_waitcnt lgkmcnt(0)
	s_and_saveexec_b64 s[6:7], vcc
	s_cbranch_execz .LBB118_610
; %bb.601:
	s_and_b64 vcc, exec, s[4:5]
	s_cbranch_vccnz .LBB118_603
; %bb.602:
	buffer_load_dword v114, v113, s[0:3], 0 offen
	ds_read_b32 v115, v112
	s_waitcnt vmcnt(0) lgkmcnt(0)
	v_mul_f32_e32 v114, v114, v115
	s_cbranch_execz .LBB118_604
	s_branch .LBB118_605
.LBB118_603:
                                        ; implicit-def: $vgpr114
.LBB118_604:
	ds_read_b32 v114, v112
.LBB118_605:
	v_cmp_ne_u32_e32 vcc, 7, v0
	s_and_saveexec_b64 s[8:9], vcc
	s_cbranch_execz .LBB118_609
; %bb.606:
	v_mov_b32_e32 v116, 0
	v_add_u32_e32 v115, 0xe4, v1
	v_add3_u32 v116, v1, v116, 4
	s_mov_b64 s[10:11], 0
	v_mov_b32_e32 v117, v0
.LBB118_607:                            ; =>This Inner Loop Header: Depth=1
	buffer_load_dword v118, v116, s[0:3], 0 offen
	ds_read_b32 v119, v115
	v_add_u32_e32 v117, 1, v117
	v_cmp_lt_u32_e32 vcc, 6, v117
	v_add_u32_e32 v115, 4, v115
	v_add_u32_e32 v116, 4, v116
	s_or_b64 s[10:11], vcc, s[10:11]
	s_waitcnt vmcnt(0) lgkmcnt(0)
	v_fmac_f32_e32 v114, v118, v119
	s_andn2_b64 exec, exec, s[10:11]
	s_cbranch_execnz .LBB118_607
; %bb.608:
	s_or_b64 exec, exec, s[10:11]
.LBB118_609:
	s_or_b64 exec, exec, s[8:9]
	v_mov_b32_e32 v115, 0
	ds_read_b32 v115, v115 offset:32
	s_waitcnt lgkmcnt(0)
	v_mul_f32_e32 v114, v114, v115
	buffer_store_dword v114, off, s[0:3], 0 offset:32
.LBB118_610:
	s_or_b64 exec, exec, s[6:7]
	buffer_load_dword v114, off, s[0:3], 0 offset:36
	v_cmp_gt_u32_e32 vcc, 9, v0
	s_waitcnt vmcnt(0)
	ds_write_b32 v112, v114
	s_waitcnt lgkmcnt(0)
	; wave barrier
	s_waitcnt lgkmcnt(0)
	s_and_saveexec_b64 s[6:7], vcc
	s_cbranch_execz .LBB118_620
; %bb.611:
	s_and_b64 vcc, exec, s[4:5]
	s_cbranch_vccnz .LBB118_613
; %bb.612:
	buffer_load_dword v114, v113, s[0:3], 0 offen
	ds_read_b32 v115, v112
	s_waitcnt vmcnt(0) lgkmcnt(0)
	v_mul_f32_e32 v114, v114, v115
	s_cbranch_execz .LBB118_614
	s_branch .LBB118_615
.LBB118_613:
                                        ; implicit-def: $vgpr114
.LBB118_614:
	ds_read_b32 v114, v112
.LBB118_615:
	v_cmp_ne_u32_e32 vcc, 8, v0
	s_and_saveexec_b64 s[8:9], vcc
	s_cbranch_execz .LBB118_619
; %bb.616:
	v_mov_b32_e32 v116, 0
	v_add_u32_e32 v115, 0xe4, v1
	v_add3_u32 v116, v1, v116, 4
	s_mov_b64 s[10:11], 0
	v_mov_b32_e32 v117, v0
.LBB118_617:                            ; =>This Inner Loop Header: Depth=1
	buffer_load_dword v118, v116, s[0:3], 0 offen
	ds_read_b32 v119, v115
	v_add_u32_e32 v117, 1, v117
	v_cmp_lt_u32_e32 vcc, 7, v117
	v_add_u32_e32 v115, 4, v115
	v_add_u32_e32 v116, 4, v116
	s_or_b64 s[10:11], vcc, s[10:11]
	s_waitcnt vmcnt(0) lgkmcnt(0)
	v_fmac_f32_e32 v114, v118, v119
	s_andn2_b64 exec, exec, s[10:11]
	s_cbranch_execnz .LBB118_617
; %bb.618:
	s_or_b64 exec, exec, s[10:11]
.LBB118_619:
	s_or_b64 exec, exec, s[8:9]
	v_mov_b32_e32 v115, 0
	ds_read_b32 v115, v115 offset:36
	s_waitcnt lgkmcnt(0)
	v_mul_f32_e32 v114, v114, v115
	buffer_store_dword v114, off, s[0:3], 0 offset:36
.LBB118_620:
	s_or_b64 exec, exec, s[6:7]
	buffer_load_dword v114, off, s[0:3], 0 offset:40
	v_cmp_gt_u32_e32 vcc, 10, v0
	s_waitcnt vmcnt(0)
	ds_write_b32 v112, v114
	s_waitcnt lgkmcnt(0)
	; wave barrier
	s_waitcnt lgkmcnt(0)
	s_and_saveexec_b64 s[6:7], vcc
	s_cbranch_execz .LBB118_630
; %bb.621:
	s_and_b64 vcc, exec, s[4:5]
	s_cbranch_vccnz .LBB118_623
; %bb.622:
	buffer_load_dword v114, v113, s[0:3], 0 offen
	ds_read_b32 v115, v112
	s_waitcnt vmcnt(0) lgkmcnt(0)
	v_mul_f32_e32 v114, v114, v115
	s_cbranch_execz .LBB118_624
	s_branch .LBB118_625
.LBB118_623:
                                        ; implicit-def: $vgpr114
.LBB118_624:
	ds_read_b32 v114, v112
.LBB118_625:
	v_cmp_ne_u32_e32 vcc, 9, v0
	s_and_saveexec_b64 s[8:9], vcc
	s_cbranch_execz .LBB118_629
; %bb.626:
	v_mov_b32_e32 v116, 0
	v_add_u32_e32 v115, 0xe4, v1
	v_add3_u32 v116, v1, v116, 4
	s_mov_b64 s[10:11], 0
	v_mov_b32_e32 v117, v0
.LBB118_627:                            ; =>This Inner Loop Header: Depth=1
	buffer_load_dword v118, v116, s[0:3], 0 offen
	ds_read_b32 v119, v115
	v_add_u32_e32 v117, 1, v117
	v_cmp_lt_u32_e32 vcc, 8, v117
	v_add_u32_e32 v115, 4, v115
	v_add_u32_e32 v116, 4, v116
	s_or_b64 s[10:11], vcc, s[10:11]
	s_waitcnt vmcnt(0) lgkmcnt(0)
	v_fmac_f32_e32 v114, v118, v119
	s_andn2_b64 exec, exec, s[10:11]
	s_cbranch_execnz .LBB118_627
; %bb.628:
	s_or_b64 exec, exec, s[10:11]
.LBB118_629:
	s_or_b64 exec, exec, s[8:9]
	v_mov_b32_e32 v115, 0
	ds_read_b32 v115, v115 offset:40
	s_waitcnt lgkmcnt(0)
	v_mul_f32_e32 v114, v114, v115
	buffer_store_dword v114, off, s[0:3], 0 offset:40
.LBB118_630:
	s_or_b64 exec, exec, s[6:7]
	buffer_load_dword v114, off, s[0:3], 0 offset:44
	v_cmp_gt_u32_e32 vcc, 11, v0
	s_waitcnt vmcnt(0)
	ds_write_b32 v112, v114
	s_waitcnt lgkmcnt(0)
	; wave barrier
	s_waitcnt lgkmcnt(0)
	s_and_saveexec_b64 s[6:7], vcc
	s_cbranch_execz .LBB118_640
; %bb.631:
	s_and_b64 vcc, exec, s[4:5]
	s_cbranch_vccnz .LBB118_633
; %bb.632:
	buffer_load_dword v114, v113, s[0:3], 0 offen
	ds_read_b32 v115, v112
	s_waitcnt vmcnt(0) lgkmcnt(0)
	v_mul_f32_e32 v114, v114, v115
	s_cbranch_execz .LBB118_634
	s_branch .LBB118_635
.LBB118_633:
                                        ; implicit-def: $vgpr114
.LBB118_634:
	ds_read_b32 v114, v112
.LBB118_635:
	v_cmp_ne_u32_e32 vcc, 10, v0
	s_and_saveexec_b64 s[8:9], vcc
	s_cbranch_execz .LBB118_639
; %bb.636:
	v_mov_b32_e32 v116, 0
	v_add_u32_e32 v115, 0xe4, v1
	v_add3_u32 v116, v1, v116, 4
	s_mov_b64 s[10:11], 0
	v_mov_b32_e32 v117, v0
.LBB118_637:                            ; =>This Inner Loop Header: Depth=1
	buffer_load_dword v118, v116, s[0:3], 0 offen
	ds_read_b32 v119, v115
	v_add_u32_e32 v117, 1, v117
	v_cmp_lt_u32_e32 vcc, 9, v117
	v_add_u32_e32 v115, 4, v115
	v_add_u32_e32 v116, 4, v116
	s_or_b64 s[10:11], vcc, s[10:11]
	s_waitcnt vmcnt(0) lgkmcnt(0)
	v_fmac_f32_e32 v114, v118, v119
	s_andn2_b64 exec, exec, s[10:11]
	s_cbranch_execnz .LBB118_637
; %bb.638:
	s_or_b64 exec, exec, s[10:11]
.LBB118_639:
	s_or_b64 exec, exec, s[8:9]
	v_mov_b32_e32 v115, 0
	ds_read_b32 v115, v115 offset:44
	s_waitcnt lgkmcnt(0)
	v_mul_f32_e32 v114, v114, v115
	buffer_store_dword v114, off, s[0:3], 0 offset:44
.LBB118_640:
	s_or_b64 exec, exec, s[6:7]
	buffer_load_dword v114, off, s[0:3], 0 offset:48
	v_cmp_gt_u32_e32 vcc, 12, v0
	s_waitcnt vmcnt(0)
	ds_write_b32 v112, v114
	s_waitcnt lgkmcnt(0)
	; wave barrier
	s_waitcnt lgkmcnt(0)
	s_and_saveexec_b64 s[6:7], vcc
	s_cbranch_execz .LBB118_650
; %bb.641:
	s_and_b64 vcc, exec, s[4:5]
	s_cbranch_vccnz .LBB118_643
; %bb.642:
	buffer_load_dword v114, v113, s[0:3], 0 offen
	ds_read_b32 v115, v112
	s_waitcnt vmcnt(0) lgkmcnt(0)
	v_mul_f32_e32 v114, v114, v115
	s_cbranch_execz .LBB118_644
	s_branch .LBB118_645
.LBB118_643:
                                        ; implicit-def: $vgpr114
.LBB118_644:
	ds_read_b32 v114, v112
.LBB118_645:
	v_cmp_ne_u32_e32 vcc, 11, v0
	s_and_saveexec_b64 s[8:9], vcc
	s_cbranch_execz .LBB118_649
; %bb.646:
	v_mov_b32_e32 v116, 0
	v_add_u32_e32 v115, 0xe4, v1
	v_add3_u32 v116, v1, v116, 4
	s_mov_b64 s[10:11], 0
	v_mov_b32_e32 v117, v0
.LBB118_647:                            ; =>This Inner Loop Header: Depth=1
	buffer_load_dword v118, v116, s[0:3], 0 offen
	ds_read_b32 v119, v115
	v_add_u32_e32 v117, 1, v117
	v_cmp_lt_u32_e32 vcc, 10, v117
	v_add_u32_e32 v115, 4, v115
	v_add_u32_e32 v116, 4, v116
	s_or_b64 s[10:11], vcc, s[10:11]
	s_waitcnt vmcnt(0) lgkmcnt(0)
	v_fmac_f32_e32 v114, v118, v119
	s_andn2_b64 exec, exec, s[10:11]
	s_cbranch_execnz .LBB118_647
; %bb.648:
	s_or_b64 exec, exec, s[10:11]
.LBB118_649:
	s_or_b64 exec, exec, s[8:9]
	v_mov_b32_e32 v115, 0
	ds_read_b32 v115, v115 offset:48
	s_waitcnt lgkmcnt(0)
	v_mul_f32_e32 v114, v114, v115
	buffer_store_dword v114, off, s[0:3], 0 offset:48
.LBB118_650:
	s_or_b64 exec, exec, s[6:7]
	buffer_load_dword v114, off, s[0:3], 0 offset:52
	v_cmp_gt_u32_e32 vcc, 13, v0
	s_waitcnt vmcnt(0)
	ds_write_b32 v112, v114
	s_waitcnt lgkmcnt(0)
	; wave barrier
	s_waitcnt lgkmcnt(0)
	s_and_saveexec_b64 s[6:7], vcc
	s_cbranch_execz .LBB118_660
; %bb.651:
	s_and_b64 vcc, exec, s[4:5]
	s_cbranch_vccnz .LBB118_653
; %bb.652:
	buffer_load_dword v114, v113, s[0:3], 0 offen
	ds_read_b32 v115, v112
	s_waitcnt vmcnt(0) lgkmcnt(0)
	v_mul_f32_e32 v114, v114, v115
	s_cbranch_execz .LBB118_654
	s_branch .LBB118_655
.LBB118_653:
                                        ; implicit-def: $vgpr114
.LBB118_654:
	ds_read_b32 v114, v112
.LBB118_655:
	v_cmp_ne_u32_e32 vcc, 12, v0
	s_and_saveexec_b64 s[8:9], vcc
	s_cbranch_execz .LBB118_659
; %bb.656:
	v_mov_b32_e32 v116, 0
	v_add_u32_e32 v115, 0xe4, v1
	v_add3_u32 v116, v1, v116, 4
	s_mov_b64 s[10:11], 0
	v_mov_b32_e32 v117, v0
.LBB118_657:                            ; =>This Inner Loop Header: Depth=1
	buffer_load_dword v118, v116, s[0:3], 0 offen
	ds_read_b32 v119, v115
	v_add_u32_e32 v117, 1, v117
	v_cmp_lt_u32_e32 vcc, 11, v117
	v_add_u32_e32 v115, 4, v115
	v_add_u32_e32 v116, 4, v116
	s_or_b64 s[10:11], vcc, s[10:11]
	s_waitcnt vmcnt(0) lgkmcnt(0)
	v_fmac_f32_e32 v114, v118, v119
	s_andn2_b64 exec, exec, s[10:11]
	s_cbranch_execnz .LBB118_657
; %bb.658:
	s_or_b64 exec, exec, s[10:11]
.LBB118_659:
	s_or_b64 exec, exec, s[8:9]
	v_mov_b32_e32 v115, 0
	ds_read_b32 v115, v115 offset:52
	s_waitcnt lgkmcnt(0)
	v_mul_f32_e32 v114, v114, v115
	buffer_store_dword v114, off, s[0:3], 0 offset:52
.LBB118_660:
	s_or_b64 exec, exec, s[6:7]
	buffer_load_dword v114, off, s[0:3], 0 offset:56
	v_cmp_gt_u32_e32 vcc, 14, v0
	s_waitcnt vmcnt(0)
	ds_write_b32 v112, v114
	s_waitcnt lgkmcnt(0)
	; wave barrier
	s_waitcnt lgkmcnt(0)
	s_and_saveexec_b64 s[6:7], vcc
	s_cbranch_execz .LBB118_670
; %bb.661:
	s_and_b64 vcc, exec, s[4:5]
	s_cbranch_vccnz .LBB118_663
; %bb.662:
	buffer_load_dword v114, v113, s[0:3], 0 offen
	ds_read_b32 v115, v112
	s_waitcnt vmcnt(0) lgkmcnt(0)
	v_mul_f32_e32 v114, v114, v115
	s_cbranch_execz .LBB118_664
	s_branch .LBB118_665
.LBB118_663:
                                        ; implicit-def: $vgpr114
.LBB118_664:
	ds_read_b32 v114, v112
.LBB118_665:
	v_cmp_ne_u32_e32 vcc, 13, v0
	s_and_saveexec_b64 s[8:9], vcc
	s_cbranch_execz .LBB118_669
; %bb.666:
	v_mov_b32_e32 v116, 0
	v_add_u32_e32 v115, 0xe4, v1
	v_add3_u32 v116, v1, v116, 4
	s_mov_b64 s[10:11], 0
	v_mov_b32_e32 v117, v0
.LBB118_667:                            ; =>This Inner Loop Header: Depth=1
	buffer_load_dword v118, v116, s[0:3], 0 offen
	ds_read_b32 v119, v115
	v_add_u32_e32 v117, 1, v117
	v_cmp_lt_u32_e32 vcc, 12, v117
	v_add_u32_e32 v115, 4, v115
	v_add_u32_e32 v116, 4, v116
	s_or_b64 s[10:11], vcc, s[10:11]
	s_waitcnt vmcnt(0) lgkmcnt(0)
	v_fmac_f32_e32 v114, v118, v119
	s_andn2_b64 exec, exec, s[10:11]
	s_cbranch_execnz .LBB118_667
; %bb.668:
	s_or_b64 exec, exec, s[10:11]
.LBB118_669:
	s_or_b64 exec, exec, s[8:9]
	v_mov_b32_e32 v115, 0
	ds_read_b32 v115, v115 offset:56
	s_waitcnt lgkmcnt(0)
	v_mul_f32_e32 v114, v114, v115
	buffer_store_dword v114, off, s[0:3], 0 offset:56
.LBB118_670:
	s_or_b64 exec, exec, s[6:7]
	buffer_load_dword v114, off, s[0:3], 0 offset:60
	v_cmp_gt_u32_e32 vcc, 15, v0
	s_waitcnt vmcnt(0)
	ds_write_b32 v112, v114
	s_waitcnt lgkmcnt(0)
	; wave barrier
	s_waitcnt lgkmcnt(0)
	s_and_saveexec_b64 s[6:7], vcc
	s_cbranch_execz .LBB118_680
; %bb.671:
	s_and_b64 vcc, exec, s[4:5]
	s_cbranch_vccnz .LBB118_673
; %bb.672:
	buffer_load_dword v114, v113, s[0:3], 0 offen
	ds_read_b32 v115, v112
	s_waitcnt vmcnt(0) lgkmcnt(0)
	v_mul_f32_e32 v114, v114, v115
	s_cbranch_execz .LBB118_674
	s_branch .LBB118_675
.LBB118_673:
                                        ; implicit-def: $vgpr114
.LBB118_674:
	ds_read_b32 v114, v112
.LBB118_675:
	v_cmp_ne_u32_e32 vcc, 14, v0
	s_and_saveexec_b64 s[8:9], vcc
	s_cbranch_execz .LBB118_679
; %bb.676:
	v_mov_b32_e32 v116, 0
	v_add_u32_e32 v115, 0xe4, v1
	v_add3_u32 v116, v1, v116, 4
	s_mov_b64 s[10:11], 0
	v_mov_b32_e32 v117, v0
.LBB118_677:                            ; =>This Inner Loop Header: Depth=1
	buffer_load_dword v118, v116, s[0:3], 0 offen
	ds_read_b32 v119, v115
	v_add_u32_e32 v117, 1, v117
	v_cmp_lt_u32_e32 vcc, 13, v117
	v_add_u32_e32 v115, 4, v115
	v_add_u32_e32 v116, 4, v116
	s_or_b64 s[10:11], vcc, s[10:11]
	s_waitcnt vmcnt(0) lgkmcnt(0)
	v_fmac_f32_e32 v114, v118, v119
	s_andn2_b64 exec, exec, s[10:11]
	s_cbranch_execnz .LBB118_677
; %bb.678:
	s_or_b64 exec, exec, s[10:11]
.LBB118_679:
	s_or_b64 exec, exec, s[8:9]
	v_mov_b32_e32 v115, 0
	ds_read_b32 v115, v115 offset:60
	s_waitcnt lgkmcnt(0)
	v_mul_f32_e32 v114, v114, v115
	buffer_store_dword v114, off, s[0:3], 0 offset:60
.LBB118_680:
	s_or_b64 exec, exec, s[6:7]
	buffer_load_dword v114, off, s[0:3], 0 offset:64
	v_cmp_gt_u32_e32 vcc, 16, v0
	s_waitcnt vmcnt(0)
	ds_write_b32 v112, v114
	s_waitcnt lgkmcnt(0)
	; wave barrier
	s_waitcnt lgkmcnt(0)
	s_and_saveexec_b64 s[6:7], vcc
	s_cbranch_execz .LBB118_690
; %bb.681:
	s_and_b64 vcc, exec, s[4:5]
	s_cbranch_vccnz .LBB118_683
; %bb.682:
	buffer_load_dword v114, v113, s[0:3], 0 offen
	ds_read_b32 v115, v112
	s_waitcnt vmcnt(0) lgkmcnt(0)
	v_mul_f32_e32 v114, v114, v115
	s_cbranch_execz .LBB118_684
	s_branch .LBB118_685
.LBB118_683:
                                        ; implicit-def: $vgpr114
.LBB118_684:
	ds_read_b32 v114, v112
.LBB118_685:
	v_cmp_ne_u32_e32 vcc, 15, v0
	s_and_saveexec_b64 s[8:9], vcc
	s_cbranch_execz .LBB118_689
; %bb.686:
	v_mov_b32_e32 v116, 0
	v_add_u32_e32 v115, 0xe4, v1
	v_add3_u32 v116, v1, v116, 4
	s_mov_b64 s[10:11], 0
	v_mov_b32_e32 v117, v0
.LBB118_687:                            ; =>This Inner Loop Header: Depth=1
	buffer_load_dword v118, v116, s[0:3], 0 offen
	ds_read_b32 v119, v115
	v_add_u32_e32 v117, 1, v117
	v_cmp_lt_u32_e32 vcc, 14, v117
	v_add_u32_e32 v115, 4, v115
	v_add_u32_e32 v116, 4, v116
	s_or_b64 s[10:11], vcc, s[10:11]
	s_waitcnt vmcnt(0) lgkmcnt(0)
	v_fmac_f32_e32 v114, v118, v119
	s_andn2_b64 exec, exec, s[10:11]
	s_cbranch_execnz .LBB118_687
; %bb.688:
	s_or_b64 exec, exec, s[10:11]
.LBB118_689:
	s_or_b64 exec, exec, s[8:9]
	v_mov_b32_e32 v115, 0
	ds_read_b32 v115, v115 offset:64
	s_waitcnt lgkmcnt(0)
	v_mul_f32_e32 v114, v114, v115
	buffer_store_dword v114, off, s[0:3], 0 offset:64
.LBB118_690:
	s_or_b64 exec, exec, s[6:7]
	buffer_load_dword v114, off, s[0:3], 0 offset:68
	v_cmp_gt_u32_e32 vcc, 17, v0
	s_waitcnt vmcnt(0)
	ds_write_b32 v112, v114
	s_waitcnt lgkmcnt(0)
	; wave barrier
	s_waitcnt lgkmcnt(0)
	s_and_saveexec_b64 s[6:7], vcc
	s_cbranch_execz .LBB118_700
; %bb.691:
	s_and_b64 vcc, exec, s[4:5]
	s_cbranch_vccnz .LBB118_693
; %bb.692:
	buffer_load_dword v114, v113, s[0:3], 0 offen
	ds_read_b32 v115, v112
	s_waitcnt vmcnt(0) lgkmcnt(0)
	v_mul_f32_e32 v114, v114, v115
	s_cbranch_execz .LBB118_694
	s_branch .LBB118_695
.LBB118_693:
                                        ; implicit-def: $vgpr114
.LBB118_694:
	ds_read_b32 v114, v112
.LBB118_695:
	v_cmp_ne_u32_e32 vcc, 16, v0
	s_and_saveexec_b64 s[8:9], vcc
	s_cbranch_execz .LBB118_699
; %bb.696:
	v_mov_b32_e32 v116, 0
	v_add_u32_e32 v115, 0xe4, v1
	v_add3_u32 v116, v1, v116, 4
	s_mov_b64 s[10:11], 0
	v_mov_b32_e32 v117, v0
.LBB118_697:                            ; =>This Inner Loop Header: Depth=1
	buffer_load_dword v118, v116, s[0:3], 0 offen
	ds_read_b32 v119, v115
	v_add_u32_e32 v117, 1, v117
	v_cmp_lt_u32_e32 vcc, 15, v117
	v_add_u32_e32 v115, 4, v115
	v_add_u32_e32 v116, 4, v116
	s_or_b64 s[10:11], vcc, s[10:11]
	s_waitcnt vmcnt(0) lgkmcnt(0)
	v_fmac_f32_e32 v114, v118, v119
	s_andn2_b64 exec, exec, s[10:11]
	s_cbranch_execnz .LBB118_697
; %bb.698:
	s_or_b64 exec, exec, s[10:11]
.LBB118_699:
	s_or_b64 exec, exec, s[8:9]
	v_mov_b32_e32 v115, 0
	ds_read_b32 v115, v115 offset:68
	s_waitcnt lgkmcnt(0)
	v_mul_f32_e32 v114, v114, v115
	buffer_store_dword v114, off, s[0:3], 0 offset:68
.LBB118_700:
	s_or_b64 exec, exec, s[6:7]
	buffer_load_dword v114, off, s[0:3], 0 offset:72
	v_cmp_gt_u32_e32 vcc, 18, v0
	s_waitcnt vmcnt(0)
	ds_write_b32 v112, v114
	s_waitcnt lgkmcnt(0)
	; wave barrier
	s_waitcnt lgkmcnt(0)
	s_and_saveexec_b64 s[6:7], vcc
	s_cbranch_execz .LBB118_710
; %bb.701:
	s_and_b64 vcc, exec, s[4:5]
	s_cbranch_vccnz .LBB118_703
; %bb.702:
	buffer_load_dword v114, v113, s[0:3], 0 offen
	ds_read_b32 v115, v112
	s_waitcnt vmcnt(0) lgkmcnt(0)
	v_mul_f32_e32 v114, v114, v115
	s_cbranch_execz .LBB118_704
	s_branch .LBB118_705
.LBB118_703:
                                        ; implicit-def: $vgpr114
.LBB118_704:
	ds_read_b32 v114, v112
.LBB118_705:
	v_cmp_ne_u32_e32 vcc, 17, v0
	s_and_saveexec_b64 s[8:9], vcc
	s_cbranch_execz .LBB118_709
; %bb.706:
	v_mov_b32_e32 v116, 0
	v_add_u32_e32 v115, 0xe4, v1
	v_add3_u32 v116, v1, v116, 4
	s_mov_b64 s[10:11], 0
	v_mov_b32_e32 v117, v0
.LBB118_707:                            ; =>This Inner Loop Header: Depth=1
	buffer_load_dword v118, v116, s[0:3], 0 offen
	ds_read_b32 v119, v115
	v_add_u32_e32 v117, 1, v117
	v_cmp_lt_u32_e32 vcc, 16, v117
	v_add_u32_e32 v115, 4, v115
	v_add_u32_e32 v116, 4, v116
	s_or_b64 s[10:11], vcc, s[10:11]
	s_waitcnt vmcnt(0) lgkmcnt(0)
	v_fmac_f32_e32 v114, v118, v119
	s_andn2_b64 exec, exec, s[10:11]
	s_cbranch_execnz .LBB118_707
; %bb.708:
	s_or_b64 exec, exec, s[10:11]
.LBB118_709:
	s_or_b64 exec, exec, s[8:9]
	v_mov_b32_e32 v115, 0
	ds_read_b32 v115, v115 offset:72
	s_waitcnt lgkmcnt(0)
	v_mul_f32_e32 v114, v114, v115
	buffer_store_dword v114, off, s[0:3], 0 offset:72
.LBB118_710:
	s_or_b64 exec, exec, s[6:7]
	buffer_load_dword v114, off, s[0:3], 0 offset:76
	v_cmp_gt_u32_e32 vcc, 19, v0
	s_waitcnt vmcnt(0)
	ds_write_b32 v112, v114
	s_waitcnt lgkmcnt(0)
	; wave barrier
	s_waitcnt lgkmcnt(0)
	s_and_saveexec_b64 s[6:7], vcc
	s_cbranch_execz .LBB118_720
; %bb.711:
	s_and_b64 vcc, exec, s[4:5]
	s_cbranch_vccnz .LBB118_713
; %bb.712:
	buffer_load_dword v114, v113, s[0:3], 0 offen
	ds_read_b32 v115, v112
	s_waitcnt vmcnt(0) lgkmcnt(0)
	v_mul_f32_e32 v114, v114, v115
	s_cbranch_execz .LBB118_714
	s_branch .LBB118_715
.LBB118_713:
                                        ; implicit-def: $vgpr114
.LBB118_714:
	ds_read_b32 v114, v112
.LBB118_715:
	v_cmp_ne_u32_e32 vcc, 18, v0
	s_and_saveexec_b64 s[8:9], vcc
	s_cbranch_execz .LBB118_719
; %bb.716:
	v_mov_b32_e32 v116, 0
	v_add_u32_e32 v115, 0xe4, v1
	v_add3_u32 v116, v1, v116, 4
	s_mov_b64 s[10:11], 0
	v_mov_b32_e32 v117, v0
.LBB118_717:                            ; =>This Inner Loop Header: Depth=1
	buffer_load_dword v118, v116, s[0:3], 0 offen
	ds_read_b32 v119, v115
	v_add_u32_e32 v117, 1, v117
	v_cmp_lt_u32_e32 vcc, 17, v117
	v_add_u32_e32 v115, 4, v115
	v_add_u32_e32 v116, 4, v116
	s_or_b64 s[10:11], vcc, s[10:11]
	s_waitcnt vmcnt(0) lgkmcnt(0)
	v_fmac_f32_e32 v114, v118, v119
	s_andn2_b64 exec, exec, s[10:11]
	s_cbranch_execnz .LBB118_717
; %bb.718:
	s_or_b64 exec, exec, s[10:11]
.LBB118_719:
	s_or_b64 exec, exec, s[8:9]
	v_mov_b32_e32 v115, 0
	ds_read_b32 v115, v115 offset:76
	s_waitcnt lgkmcnt(0)
	v_mul_f32_e32 v114, v114, v115
	buffer_store_dword v114, off, s[0:3], 0 offset:76
.LBB118_720:
	s_or_b64 exec, exec, s[6:7]
	buffer_load_dword v114, off, s[0:3], 0 offset:80
	v_cmp_gt_u32_e32 vcc, 20, v0
	s_waitcnt vmcnt(0)
	ds_write_b32 v112, v114
	s_waitcnt lgkmcnt(0)
	; wave barrier
	s_waitcnt lgkmcnt(0)
	s_and_saveexec_b64 s[6:7], vcc
	s_cbranch_execz .LBB118_730
; %bb.721:
	s_and_b64 vcc, exec, s[4:5]
	s_cbranch_vccnz .LBB118_723
; %bb.722:
	buffer_load_dword v114, v113, s[0:3], 0 offen
	ds_read_b32 v115, v112
	s_waitcnt vmcnt(0) lgkmcnt(0)
	v_mul_f32_e32 v114, v114, v115
	s_cbranch_execz .LBB118_724
	s_branch .LBB118_725
.LBB118_723:
                                        ; implicit-def: $vgpr114
.LBB118_724:
	ds_read_b32 v114, v112
.LBB118_725:
	v_cmp_ne_u32_e32 vcc, 19, v0
	s_and_saveexec_b64 s[8:9], vcc
	s_cbranch_execz .LBB118_729
; %bb.726:
	v_mov_b32_e32 v116, 0
	v_add_u32_e32 v115, 0xe4, v1
	v_add3_u32 v116, v1, v116, 4
	s_mov_b64 s[10:11], 0
	v_mov_b32_e32 v117, v0
.LBB118_727:                            ; =>This Inner Loop Header: Depth=1
	buffer_load_dword v118, v116, s[0:3], 0 offen
	ds_read_b32 v119, v115
	v_add_u32_e32 v117, 1, v117
	v_cmp_lt_u32_e32 vcc, 18, v117
	v_add_u32_e32 v115, 4, v115
	v_add_u32_e32 v116, 4, v116
	s_or_b64 s[10:11], vcc, s[10:11]
	s_waitcnt vmcnt(0) lgkmcnt(0)
	v_fmac_f32_e32 v114, v118, v119
	s_andn2_b64 exec, exec, s[10:11]
	s_cbranch_execnz .LBB118_727
; %bb.728:
	s_or_b64 exec, exec, s[10:11]
.LBB118_729:
	s_or_b64 exec, exec, s[8:9]
	v_mov_b32_e32 v115, 0
	ds_read_b32 v115, v115 offset:80
	s_waitcnt lgkmcnt(0)
	v_mul_f32_e32 v114, v114, v115
	buffer_store_dword v114, off, s[0:3], 0 offset:80
.LBB118_730:
	s_or_b64 exec, exec, s[6:7]
	buffer_load_dword v114, off, s[0:3], 0 offset:84
	v_cmp_gt_u32_e32 vcc, 21, v0
	s_waitcnt vmcnt(0)
	ds_write_b32 v112, v114
	s_waitcnt lgkmcnt(0)
	; wave barrier
	s_waitcnt lgkmcnt(0)
	s_and_saveexec_b64 s[6:7], vcc
	s_cbranch_execz .LBB118_740
; %bb.731:
	s_and_b64 vcc, exec, s[4:5]
	s_cbranch_vccnz .LBB118_733
; %bb.732:
	buffer_load_dword v114, v113, s[0:3], 0 offen
	ds_read_b32 v115, v112
	s_waitcnt vmcnt(0) lgkmcnt(0)
	v_mul_f32_e32 v114, v114, v115
	s_cbranch_execz .LBB118_734
	s_branch .LBB118_735
.LBB118_733:
                                        ; implicit-def: $vgpr114
.LBB118_734:
	ds_read_b32 v114, v112
.LBB118_735:
	v_cmp_ne_u32_e32 vcc, 20, v0
	s_and_saveexec_b64 s[8:9], vcc
	s_cbranch_execz .LBB118_739
; %bb.736:
	v_mov_b32_e32 v116, 0
	v_add_u32_e32 v115, 0xe4, v1
	v_add3_u32 v116, v1, v116, 4
	s_mov_b64 s[10:11], 0
	v_mov_b32_e32 v117, v0
.LBB118_737:                            ; =>This Inner Loop Header: Depth=1
	buffer_load_dword v118, v116, s[0:3], 0 offen
	ds_read_b32 v119, v115
	v_add_u32_e32 v117, 1, v117
	v_cmp_lt_u32_e32 vcc, 19, v117
	v_add_u32_e32 v115, 4, v115
	v_add_u32_e32 v116, 4, v116
	s_or_b64 s[10:11], vcc, s[10:11]
	s_waitcnt vmcnt(0) lgkmcnt(0)
	v_fmac_f32_e32 v114, v118, v119
	s_andn2_b64 exec, exec, s[10:11]
	s_cbranch_execnz .LBB118_737
; %bb.738:
	s_or_b64 exec, exec, s[10:11]
.LBB118_739:
	s_or_b64 exec, exec, s[8:9]
	v_mov_b32_e32 v115, 0
	ds_read_b32 v115, v115 offset:84
	s_waitcnt lgkmcnt(0)
	v_mul_f32_e32 v114, v114, v115
	buffer_store_dword v114, off, s[0:3], 0 offset:84
.LBB118_740:
	s_or_b64 exec, exec, s[6:7]
	buffer_load_dword v114, off, s[0:3], 0 offset:88
	v_cmp_gt_u32_e32 vcc, 22, v0
	s_waitcnt vmcnt(0)
	ds_write_b32 v112, v114
	s_waitcnt lgkmcnt(0)
	; wave barrier
	s_waitcnt lgkmcnt(0)
	s_and_saveexec_b64 s[6:7], vcc
	s_cbranch_execz .LBB118_750
; %bb.741:
	s_and_b64 vcc, exec, s[4:5]
	s_cbranch_vccnz .LBB118_743
; %bb.742:
	buffer_load_dword v114, v113, s[0:3], 0 offen
	ds_read_b32 v115, v112
	s_waitcnt vmcnt(0) lgkmcnt(0)
	v_mul_f32_e32 v114, v114, v115
	s_cbranch_execz .LBB118_744
	s_branch .LBB118_745
.LBB118_743:
                                        ; implicit-def: $vgpr114
.LBB118_744:
	ds_read_b32 v114, v112
.LBB118_745:
	v_cmp_ne_u32_e32 vcc, 21, v0
	s_and_saveexec_b64 s[8:9], vcc
	s_cbranch_execz .LBB118_749
; %bb.746:
	v_mov_b32_e32 v116, 0
	v_add_u32_e32 v115, 0xe4, v1
	v_add3_u32 v116, v1, v116, 4
	s_mov_b64 s[10:11], 0
	v_mov_b32_e32 v117, v0
.LBB118_747:                            ; =>This Inner Loop Header: Depth=1
	buffer_load_dword v118, v116, s[0:3], 0 offen
	ds_read_b32 v119, v115
	v_add_u32_e32 v117, 1, v117
	v_cmp_lt_u32_e32 vcc, 20, v117
	v_add_u32_e32 v115, 4, v115
	v_add_u32_e32 v116, 4, v116
	s_or_b64 s[10:11], vcc, s[10:11]
	s_waitcnt vmcnt(0) lgkmcnt(0)
	v_fmac_f32_e32 v114, v118, v119
	s_andn2_b64 exec, exec, s[10:11]
	s_cbranch_execnz .LBB118_747
; %bb.748:
	s_or_b64 exec, exec, s[10:11]
.LBB118_749:
	s_or_b64 exec, exec, s[8:9]
	v_mov_b32_e32 v115, 0
	ds_read_b32 v115, v115 offset:88
	s_waitcnt lgkmcnt(0)
	v_mul_f32_e32 v114, v114, v115
	buffer_store_dword v114, off, s[0:3], 0 offset:88
.LBB118_750:
	s_or_b64 exec, exec, s[6:7]
	buffer_load_dword v114, off, s[0:3], 0 offset:92
	v_cmp_gt_u32_e32 vcc, 23, v0
	s_waitcnt vmcnt(0)
	ds_write_b32 v112, v114
	s_waitcnt lgkmcnt(0)
	; wave barrier
	s_waitcnt lgkmcnt(0)
	s_and_saveexec_b64 s[6:7], vcc
	s_cbranch_execz .LBB118_760
; %bb.751:
	s_and_b64 vcc, exec, s[4:5]
	s_cbranch_vccnz .LBB118_753
; %bb.752:
	buffer_load_dword v114, v113, s[0:3], 0 offen
	ds_read_b32 v115, v112
	s_waitcnt vmcnt(0) lgkmcnt(0)
	v_mul_f32_e32 v114, v114, v115
	s_cbranch_execz .LBB118_754
	s_branch .LBB118_755
.LBB118_753:
                                        ; implicit-def: $vgpr114
.LBB118_754:
	ds_read_b32 v114, v112
.LBB118_755:
	v_cmp_ne_u32_e32 vcc, 22, v0
	s_and_saveexec_b64 s[8:9], vcc
	s_cbranch_execz .LBB118_759
; %bb.756:
	v_mov_b32_e32 v116, 0
	v_add_u32_e32 v115, 0xe4, v1
	v_add3_u32 v116, v1, v116, 4
	s_mov_b64 s[10:11], 0
	v_mov_b32_e32 v117, v0
.LBB118_757:                            ; =>This Inner Loop Header: Depth=1
	buffer_load_dword v118, v116, s[0:3], 0 offen
	ds_read_b32 v119, v115
	v_add_u32_e32 v117, 1, v117
	v_cmp_lt_u32_e32 vcc, 21, v117
	v_add_u32_e32 v115, 4, v115
	v_add_u32_e32 v116, 4, v116
	s_or_b64 s[10:11], vcc, s[10:11]
	s_waitcnt vmcnt(0) lgkmcnt(0)
	v_fmac_f32_e32 v114, v118, v119
	s_andn2_b64 exec, exec, s[10:11]
	s_cbranch_execnz .LBB118_757
; %bb.758:
	s_or_b64 exec, exec, s[10:11]
.LBB118_759:
	s_or_b64 exec, exec, s[8:9]
	v_mov_b32_e32 v115, 0
	ds_read_b32 v115, v115 offset:92
	s_waitcnt lgkmcnt(0)
	v_mul_f32_e32 v114, v114, v115
	buffer_store_dword v114, off, s[0:3], 0 offset:92
.LBB118_760:
	s_or_b64 exec, exec, s[6:7]
	buffer_load_dword v114, off, s[0:3], 0 offset:96
	v_cmp_gt_u32_e32 vcc, 24, v0
	s_waitcnt vmcnt(0)
	ds_write_b32 v112, v114
	s_waitcnt lgkmcnt(0)
	; wave barrier
	s_waitcnt lgkmcnt(0)
	s_and_saveexec_b64 s[6:7], vcc
	s_cbranch_execz .LBB118_770
; %bb.761:
	s_and_b64 vcc, exec, s[4:5]
	s_cbranch_vccnz .LBB118_763
; %bb.762:
	buffer_load_dword v114, v113, s[0:3], 0 offen
	ds_read_b32 v115, v112
	s_waitcnt vmcnt(0) lgkmcnt(0)
	v_mul_f32_e32 v114, v114, v115
	s_cbranch_execz .LBB118_764
	s_branch .LBB118_765
.LBB118_763:
                                        ; implicit-def: $vgpr114
.LBB118_764:
	ds_read_b32 v114, v112
.LBB118_765:
	v_cmp_ne_u32_e32 vcc, 23, v0
	s_and_saveexec_b64 s[8:9], vcc
	s_cbranch_execz .LBB118_769
; %bb.766:
	v_mov_b32_e32 v116, 0
	v_add_u32_e32 v115, 0xe4, v1
	v_add3_u32 v116, v1, v116, 4
	s_mov_b64 s[10:11], 0
	v_mov_b32_e32 v117, v0
.LBB118_767:                            ; =>This Inner Loop Header: Depth=1
	buffer_load_dword v118, v116, s[0:3], 0 offen
	ds_read_b32 v119, v115
	v_add_u32_e32 v117, 1, v117
	v_cmp_lt_u32_e32 vcc, 22, v117
	v_add_u32_e32 v115, 4, v115
	v_add_u32_e32 v116, 4, v116
	s_or_b64 s[10:11], vcc, s[10:11]
	s_waitcnt vmcnt(0) lgkmcnt(0)
	v_fmac_f32_e32 v114, v118, v119
	s_andn2_b64 exec, exec, s[10:11]
	s_cbranch_execnz .LBB118_767
; %bb.768:
	s_or_b64 exec, exec, s[10:11]
.LBB118_769:
	s_or_b64 exec, exec, s[8:9]
	v_mov_b32_e32 v115, 0
	ds_read_b32 v115, v115 offset:96
	s_waitcnt lgkmcnt(0)
	v_mul_f32_e32 v114, v114, v115
	buffer_store_dword v114, off, s[0:3], 0 offset:96
.LBB118_770:
	s_or_b64 exec, exec, s[6:7]
	buffer_load_dword v114, off, s[0:3], 0 offset:100
	v_cmp_gt_u32_e32 vcc, 25, v0
	s_waitcnt vmcnt(0)
	ds_write_b32 v112, v114
	s_waitcnt lgkmcnt(0)
	; wave barrier
	s_waitcnt lgkmcnt(0)
	s_and_saveexec_b64 s[6:7], vcc
	s_cbranch_execz .LBB118_780
; %bb.771:
	s_and_b64 vcc, exec, s[4:5]
	s_cbranch_vccnz .LBB118_773
; %bb.772:
	buffer_load_dword v114, v113, s[0:3], 0 offen
	ds_read_b32 v115, v112
	s_waitcnt vmcnt(0) lgkmcnt(0)
	v_mul_f32_e32 v114, v114, v115
	s_cbranch_execz .LBB118_774
	s_branch .LBB118_775
.LBB118_773:
                                        ; implicit-def: $vgpr114
.LBB118_774:
	ds_read_b32 v114, v112
.LBB118_775:
	v_cmp_ne_u32_e32 vcc, 24, v0
	s_and_saveexec_b64 s[8:9], vcc
	s_cbranch_execz .LBB118_779
; %bb.776:
	v_mov_b32_e32 v116, 0
	v_add_u32_e32 v115, 0xe4, v1
	v_add3_u32 v116, v1, v116, 4
	s_mov_b64 s[10:11], 0
	v_mov_b32_e32 v117, v0
.LBB118_777:                            ; =>This Inner Loop Header: Depth=1
	buffer_load_dword v118, v116, s[0:3], 0 offen
	ds_read_b32 v119, v115
	v_add_u32_e32 v117, 1, v117
	v_cmp_lt_u32_e32 vcc, 23, v117
	v_add_u32_e32 v115, 4, v115
	v_add_u32_e32 v116, 4, v116
	s_or_b64 s[10:11], vcc, s[10:11]
	s_waitcnt vmcnt(0) lgkmcnt(0)
	v_fmac_f32_e32 v114, v118, v119
	s_andn2_b64 exec, exec, s[10:11]
	s_cbranch_execnz .LBB118_777
; %bb.778:
	s_or_b64 exec, exec, s[10:11]
.LBB118_779:
	s_or_b64 exec, exec, s[8:9]
	v_mov_b32_e32 v115, 0
	ds_read_b32 v115, v115 offset:100
	s_waitcnt lgkmcnt(0)
	v_mul_f32_e32 v114, v114, v115
	buffer_store_dword v114, off, s[0:3], 0 offset:100
.LBB118_780:
	s_or_b64 exec, exec, s[6:7]
	buffer_load_dword v114, off, s[0:3], 0 offset:104
	v_cmp_gt_u32_e32 vcc, 26, v0
	s_waitcnt vmcnt(0)
	ds_write_b32 v112, v114
	s_waitcnt lgkmcnt(0)
	; wave barrier
	s_waitcnt lgkmcnt(0)
	s_and_saveexec_b64 s[6:7], vcc
	s_cbranch_execz .LBB118_790
; %bb.781:
	s_and_b64 vcc, exec, s[4:5]
	s_cbranch_vccnz .LBB118_783
; %bb.782:
	buffer_load_dword v114, v113, s[0:3], 0 offen
	ds_read_b32 v115, v112
	s_waitcnt vmcnt(0) lgkmcnt(0)
	v_mul_f32_e32 v114, v114, v115
	s_cbranch_execz .LBB118_784
	s_branch .LBB118_785
.LBB118_783:
                                        ; implicit-def: $vgpr114
.LBB118_784:
	ds_read_b32 v114, v112
.LBB118_785:
	v_cmp_ne_u32_e32 vcc, 25, v0
	s_and_saveexec_b64 s[8:9], vcc
	s_cbranch_execz .LBB118_789
; %bb.786:
	v_mov_b32_e32 v116, 0
	v_add_u32_e32 v115, 0xe4, v1
	v_add3_u32 v116, v1, v116, 4
	s_mov_b64 s[10:11], 0
	v_mov_b32_e32 v117, v0
.LBB118_787:                            ; =>This Inner Loop Header: Depth=1
	buffer_load_dword v118, v116, s[0:3], 0 offen
	ds_read_b32 v119, v115
	v_add_u32_e32 v117, 1, v117
	v_cmp_lt_u32_e32 vcc, 24, v117
	v_add_u32_e32 v115, 4, v115
	v_add_u32_e32 v116, 4, v116
	s_or_b64 s[10:11], vcc, s[10:11]
	s_waitcnt vmcnt(0) lgkmcnt(0)
	v_fmac_f32_e32 v114, v118, v119
	s_andn2_b64 exec, exec, s[10:11]
	s_cbranch_execnz .LBB118_787
; %bb.788:
	s_or_b64 exec, exec, s[10:11]
.LBB118_789:
	s_or_b64 exec, exec, s[8:9]
	v_mov_b32_e32 v115, 0
	ds_read_b32 v115, v115 offset:104
	s_waitcnt lgkmcnt(0)
	v_mul_f32_e32 v114, v114, v115
	buffer_store_dword v114, off, s[0:3], 0 offset:104
.LBB118_790:
	s_or_b64 exec, exec, s[6:7]
	buffer_load_dword v114, off, s[0:3], 0 offset:108
	v_cmp_gt_u32_e32 vcc, 27, v0
	s_waitcnt vmcnt(0)
	ds_write_b32 v112, v114
	s_waitcnt lgkmcnt(0)
	; wave barrier
	s_waitcnt lgkmcnt(0)
	s_and_saveexec_b64 s[6:7], vcc
	s_cbranch_execz .LBB118_800
; %bb.791:
	s_and_b64 vcc, exec, s[4:5]
	s_cbranch_vccnz .LBB118_793
; %bb.792:
	buffer_load_dword v114, v113, s[0:3], 0 offen
	ds_read_b32 v115, v112
	s_waitcnt vmcnt(0) lgkmcnt(0)
	v_mul_f32_e32 v114, v114, v115
	s_cbranch_execz .LBB118_794
	s_branch .LBB118_795
.LBB118_793:
                                        ; implicit-def: $vgpr114
.LBB118_794:
	ds_read_b32 v114, v112
.LBB118_795:
	v_cmp_ne_u32_e32 vcc, 26, v0
	s_and_saveexec_b64 s[8:9], vcc
	s_cbranch_execz .LBB118_799
; %bb.796:
	v_mov_b32_e32 v116, 0
	v_add_u32_e32 v115, 0xe4, v1
	v_add3_u32 v116, v1, v116, 4
	s_mov_b64 s[10:11], 0
	v_mov_b32_e32 v117, v0
.LBB118_797:                            ; =>This Inner Loop Header: Depth=1
	buffer_load_dword v118, v116, s[0:3], 0 offen
	ds_read_b32 v119, v115
	v_add_u32_e32 v117, 1, v117
	v_cmp_lt_u32_e32 vcc, 25, v117
	v_add_u32_e32 v115, 4, v115
	v_add_u32_e32 v116, 4, v116
	s_or_b64 s[10:11], vcc, s[10:11]
	s_waitcnt vmcnt(0) lgkmcnt(0)
	v_fmac_f32_e32 v114, v118, v119
	s_andn2_b64 exec, exec, s[10:11]
	s_cbranch_execnz .LBB118_797
; %bb.798:
	s_or_b64 exec, exec, s[10:11]
.LBB118_799:
	s_or_b64 exec, exec, s[8:9]
	v_mov_b32_e32 v115, 0
	ds_read_b32 v115, v115 offset:108
	s_waitcnt lgkmcnt(0)
	v_mul_f32_e32 v114, v114, v115
	buffer_store_dword v114, off, s[0:3], 0 offset:108
.LBB118_800:
	s_or_b64 exec, exec, s[6:7]
	buffer_load_dword v114, off, s[0:3], 0 offset:112
	v_cmp_gt_u32_e32 vcc, 28, v0
	s_waitcnt vmcnt(0)
	ds_write_b32 v112, v114
	s_waitcnt lgkmcnt(0)
	; wave barrier
	s_waitcnt lgkmcnt(0)
	s_and_saveexec_b64 s[6:7], vcc
	s_cbranch_execz .LBB118_810
; %bb.801:
	s_and_b64 vcc, exec, s[4:5]
	s_cbranch_vccnz .LBB118_803
; %bb.802:
	buffer_load_dword v114, v113, s[0:3], 0 offen
	ds_read_b32 v115, v112
	s_waitcnt vmcnt(0) lgkmcnt(0)
	v_mul_f32_e32 v114, v114, v115
	s_cbranch_execz .LBB118_804
	s_branch .LBB118_805
.LBB118_803:
                                        ; implicit-def: $vgpr114
.LBB118_804:
	ds_read_b32 v114, v112
.LBB118_805:
	v_cmp_ne_u32_e32 vcc, 27, v0
	s_and_saveexec_b64 s[8:9], vcc
	s_cbranch_execz .LBB118_809
; %bb.806:
	v_mov_b32_e32 v116, 0
	v_add_u32_e32 v115, 0xe4, v1
	v_add3_u32 v116, v1, v116, 4
	s_mov_b64 s[10:11], 0
	v_mov_b32_e32 v117, v0
.LBB118_807:                            ; =>This Inner Loop Header: Depth=1
	buffer_load_dword v118, v116, s[0:3], 0 offen
	ds_read_b32 v119, v115
	v_add_u32_e32 v117, 1, v117
	v_cmp_lt_u32_e32 vcc, 26, v117
	v_add_u32_e32 v115, 4, v115
	v_add_u32_e32 v116, 4, v116
	s_or_b64 s[10:11], vcc, s[10:11]
	s_waitcnt vmcnt(0) lgkmcnt(0)
	v_fmac_f32_e32 v114, v118, v119
	s_andn2_b64 exec, exec, s[10:11]
	s_cbranch_execnz .LBB118_807
; %bb.808:
	s_or_b64 exec, exec, s[10:11]
.LBB118_809:
	s_or_b64 exec, exec, s[8:9]
	v_mov_b32_e32 v115, 0
	ds_read_b32 v115, v115 offset:112
	s_waitcnt lgkmcnt(0)
	v_mul_f32_e32 v114, v114, v115
	buffer_store_dword v114, off, s[0:3], 0 offset:112
.LBB118_810:
	s_or_b64 exec, exec, s[6:7]
	buffer_load_dword v114, off, s[0:3], 0 offset:116
	v_cmp_gt_u32_e32 vcc, 29, v0
	s_waitcnt vmcnt(0)
	ds_write_b32 v112, v114
	s_waitcnt lgkmcnt(0)
	; wave barrier
	s_waitcnt lgkmcnt(0)
	s_and_saveexec_b64 s[6:7], vcc
	s_cbranch_execz .LBB118_820
; %bb.811:
	s_and_b64 vcc, exec, s[4:5]
	s_cbranch_vccnz .LBB118_813
; %bb.812:
	buffer_load_dword v114, v113, s[0:3], 0 offen
	ds_read_b32 v115, v112
	s_waitcnt vmcnt(0) lgkmcnt(0)
	v_mul_f32_e32 v114, v114, v115
	s_cbranch_execz .LBB118_814
	s_branch .LBB118_815
.LBB118_813:
                                        ; implicit-def: $vgpr114
.LBB118_814:
	ds_read_b32 v114, v112
.LBB118_815:
	v_cmp_ne_u32_e32 vcc, 28, v0
	s_and_saveexec_b64 s[8:9], vcc
	s_cbranch_execz .LBB118_819
; %bb.816:
	v_mov_b32_e32 v116, 0
	v_add_u32_e32 v115, 0xe4, v1
	v_add3_u32 v116, v1, v116, 4
	s_mov_b64 s[10:11], 0
	v_mov_b32_e32 v117, v0
.LBB118_817:                            ; =>This Inner Loop Header: Depth=1
	buffer_load_dword v118, v116, s[0:3], 0 offen
	ds_read_b32 v119, v115
	v_add_u32_e32 v117, 1, v117
	v_cmp_lt_u32_e32 vcc, 27, v117
	v_add_u32_e32 v115, 4, v115
	v_add_u32_e32 v116, 4, v116
	s_or_b64 s[10:11], vcc, s[10:11]
	s_waitcnt vmcnt(0) lgkmcnt(0)
	v_fmac_f32_e32 v114, v118, v119
	s_andn2_b64 exec, exec, s[10:11]
	s_cbranch_execnz .LBB118_817
; %bb.818:
	s_or_b64 exec, exec, s[10:11]
.LBB118_819:
	s_or_b64 exec, exec, s[8:9]
	v_mov_b32_e32 v115, 0
	ds_read_b32 v115, v115 offset:116
	s_waitcnt lgkmcnt(0)
	v_mul_f32_e32 v114, v114, v115
	buffer_store_dword v114, off, s[0:3], 0 offset:116
.LBB118_820:
	s_or_b64 exec, exec, s[6:7]
	buffer_load_dword v114, off, s[0:3], 0 offset:120
	v_cmp_gt_u32_e32 vcc, 30, v0
	s_waitcnt vmcnt(0)
	ds_write_b32 v112, v114
	s_waitcnt lgkmcnt(0)
	; wave barrier
	s_waitcnt lgkmcnt(0)
	s_and_saveexec_b64 s[6:7], vcc
	s_cbranch_execz .LBB118_830
; %bb.821:
	s_and_b64 vcc, exec, s[4:5]
	s_cbranch_vccnz .LBB118_823
; %bb.822:
	buffer_load_dword v114, v113, s[0:3], 0 offen
	ds_read_b32 v115, v112
	s_waitcnt vmcnt(0) lgkmcnt(0)
	v_mul_f32_e32 v114, v114, v115
	s_cbranch_execz .LBB118_824
	s_branch .LBB118_825
.LBB118_823:
                                        ; implicit-def: $vgpr114
.LBB118_824:
	ds_read_b32 v114, v112
.LBB118_825:
	v_cmp_ne_u32_e32 vcc, 29, v0
	s_and_saveexec_b64 s[8:9], vcc
	s_cbranch_execz .LBB118_829
; %bb.826:
	v_mov_b32_e32 v116, 0
	v_add_u32_e32 v115, 0xe4, v1
	v_add3_u32 v116, v1, v116, 4
	s_mov_b64 s[10:11], 0
	v_mov_b32_e32 v117, v0
.LBB118_827:                            ; =>This Inner Loop Header: Depth=1
	buffer_load_dword v118, v116, s[0:3], 0 offen
	ds_read_b32 v119, v115
	v_add_u32_e32 v117, 1, v117
	v_cmp_lt_u32_e32 vcc, 28, v117
	v_add_u32_e32 v115, 4, v115
	v_add_u32_e32 v116, 4, v116
	s_or_b64 s[10:11], vcc, s[10:11]
	s_waitcnt vmcnt(0) lgkmcnt(0)
	v_fmac_f32_e32 v114, v118, v119
	s_andn2_b64 exec, exec, s[10:11]
	s_cbranch_execnz .LBB118_827
; %bb.828:
	s_or_b64 exec, exec, s[10:11]
.LBB118_829:
	s_or_b64 exec, exec, s[8:9]
	v_mov_b32_e32 v115, 0
	ds_read_b32 v115, v115 offset:120
	s_waitcnt lgkmcnt(0)
	v_mul_f32_e32 v114, v114, v115
	buffer_store_dword v114, off, s[0:3], 0 offset:120
.LBB118_830:
	s_or_b64 exec, exec, s[6:7]
	buffer_load_dword v114, off, s[0:3], 0 offset:124
	v_cmp_gt_u32_e32 vcc, 31, v0
	s_waitcnt vmcnt(0)
	ds_write_b32 v112, v114
	s_waitcnt lgkmcnt(0)
	; wave barrier
	s_waitcnt lgkmcnt(0)
	s_and_saveexec_b64 s[6:7], vcc
	s_cbranch_execz .LBB118_840
; %bb.831:
	s_and_b64 vcc, exec, s[4:5]
	s_cbranch_vccnz .LBB118_833
; %bb.832:
	buffer_load_dword v114, v113, s[0:3], 0 offen
	ds_read_b32 v115, v112
	s_waitcnt vmcnt(0) lgkmcnt(0)
	v_mul_f32_e32 v114, v114, v115
	s_cbranch_execz .LBB118_834
	s_branch .LBB118_835
.LBB118_833:
                                        ; implicit-def: $vgpr114
.LBB118_834:
	ds_read_b32 v114, v112
.LBB118_835:
	v_cmp_ne_u32_e32 vcc, 30, v0
	s_and_saveexec_b64 s[8:9], vcc
	s_cbranch_execz .LBB118_839
; %bb.836:
	v_mov_b32_e32 v116, 0
	v_add_u32_e32 v115, 0xe4, v1
	v_add3_u32 v116, v1, v116, 4
	s_mov_b64 s[10:11], 0
	v_mov_b32_e32 v117, v0
.LBB118_837:                            ; =>This Inner Loop Header: Depth=1
	buffer_load_dword v118, v116, s[0:3], 0 offen
	ds_read_b32 v119, v115
	v_add_u32_e32 v117, 1, v117
	v_cmp_lt_u32_e32 vcc, 29, v117
	v_add_u32_e32 v115, 4, v115
	v_add_u32_e32 v116, 4, v116
	s_or_b64 s[10:11], vcc, s[10:11]
	s_waitcnt vmcnt(0) lgkmcnt(0)
	v_fmac_f32_e32 v114, v118, v119
	s_andn2_b64 exec, exec, s[10:11]
	s_cbranch_execnz .LBB118_837
; %bb.838:
	s_or_b64 exec, exec, s[10:11]
.LBB118_839:
	s_or_b64 exec, exec, s[8:9]
	v_mov_b32_e32 v115, 0
	ds_read_b32 v115, v115 offset:124
	s_waitcnt lgkmcnt(0)
	v_mul_f32_e32 v114, v114, v115
	buffer_store_dword v114, off, s[0:3], 0 offset:124
.LBB118_840:
	s_or_b64 exec, exec, s[6:7]
	buffer_load_dword v114, off, s[0:3], 0 offset:128
	v_cmp_gt_u32_e32 vcc, 32, v0
	s_waitcnt vmcnt(0)
	ds_write_b32 v112, v114
	s_waitcnt lgkmcnt(0)
	; wave barrier
	s_waitcnt lgkmcnt(0)
	s_and_saveexec_b64 s[6:7], vcc
	s_cbranch_execz .LBB118_850
; %bb.841:
	s_and_b64 vcc, exec, s[4:5]
	s_cbranch_vccnz .LBB118_843
; %bb.842:
	buffer_load_dword v114, v113, s[0:3], 0 offen
	ds_read_b32 v115, v112
	s_waitcnt vmcnt(0) lgkmcnt(0)
	v_mul_f32_e32 v114, v114, v115
	s_cbranch_execz .LBB118_844
	s_branch .LBB118_845
.LBB118_843:
                                        ; implicit-def: $vgpr114
.LBB118_844:
	ds_read_b32 v114, v112
.LBB118_845:
	v_cmp_ne_u32_e32 vcc, 31, v0
	s_and_saveexec_b64 s[8:9], vcc
	s_cbranch_execz .LBB118_849
; %bb.846:
	v_mov_b32_e32 v116, 0
	v_add_u32_e32 v115, 0xe4, v1
	v_add3_u32 v116, v1, v116, 4
	s_mov_b64 s[10:11], 0
	v_mov_b32_e32 v117, v0
.LBB118_847:                            ; =>This Inner Loop Header: Depth=1
	buffer_load_dword v118, v116, s[0:3], 0 offen
	ds_read_b32 v119, v115
	v_add_u32_e32 v117, 1, v117
	v_cmp_lt_u32_e32 vcc, 30, v117
	v_add_u32_e32 v115, 4, v115
	v_add_u32_e32 v116, 4, v116
	s_or_b64 s[10:11], vcc, s[10:11]
	s_waitcnt vmcnt(0) lgkmcnt(0)
	v_fmac_f32_e32 v114, v118, v119
	s_andn2_b64 exec, exec, s[10:11]
	s_cbranch_execnz .LBB118_847
; %bb.848:
	s_or_b64 exec, exec, s[10:11]
.LBB118_849:
	s_or_b64 exec, exec, s[8:9]
	v_mov_b32_e32 v115, 0
	ds_read_b32 v115, v115 offset:128
	s_waitcnt lgkmcnt(0)
	v_mul_f32_e32 v114, v114, v115
	buffer_store_dword v114, off, s[0:3], 0 offset:128
.LBB118_850:
	s_or_b64 exec, exec, s[6:7]
	buffer_load_dword v114, off, s[0:3], 0 offset:132
	v_cmp_gt_u32_e32 vcc, 33, v0
	s_waitcnt vmcnt(0)
	ds_write_b32 v112, v114
	s_waitcnt lgkmcnt(0)
	; wave barrier
	s_waitcnt lgkmcnt(0)
	s_and_saveexec_b64 s[6:7], vcc
	s_cbranch_execz .LBB118_860
; %bb.851:
	s_and_b64 vcc, exec, s[4:5]
	s_cbranch_vccnz .LBB118_853
; %bb.852:
	buffer_load_dword v114, v113, s[0:3], 0 offen
	ds_read_b32 v115, v112
	s_waitcnt vmcnt(0) lgkmcnt(0)
	v_mul_f32_e32 v114, v114, v115
	s_cbranch_execz .LBB118_854
	s_branch .LBB118_855
.LBB118_853:
                                        ; implicit-def: $vgpr114
.LBB118_854:
	ds_read_b32 v114, v112
.LBB118_855:
	v_cmp_ne_u32_e32 vcc, 32, v0
	s_and_saveexec_b64 s[8:9], vcc
	s_cbranch_execz .LBB118_859
; %bb.856:
	v_mov_b32_e32 v116, 0
	v_add_u32_e32 v115, 0xe4, v1
	v_add3_u32 v116, v1, v116, 4
	s_mov_b64 s[10:11], 0
	v_mov_b32_e32 v117, v0
.LBB118_857:                            ; =>This Inner Loop Header: Depth=1
	buffer_load_dword v118, v116, s[0:3], 0 offen
	ds_read_b32 v119, v115
	v_add_u32_e32 v117, 1, v117
	v_cmp_lt_u32_e32 vcc, 31, v117
	v_add_u32_e32 v115, 4, v115
	v_add_u32_e32 v116, 4, v116
	s_or_b64 s[10:11], vcc, s[10:11]
	s_waitcnt vmcnt(0) lgkmcnt(0)
	v_fmac_f32_e32 v114, v118, v119
	s_andn2_b64 exec, exec, s[10:11]
	s_cbranch_execnz .LBB118_857
; %bb.858:
	s_or_b64 exec, exec, s[10:11]
.LBB118_859:
	s_or_b64 exec, exec, s[8:9]
	v_mov_b32_e32 v115, 0
	ds_read_b32 v115, v115 offset:132
	s_waitcnt lgkmcnt(0)
	v_mul_f32_e32 v114, v114, v115
	buffer_store_dword v114, off, s[0:3], 0 offset:132
.LBB118_860:
	s_or_b64 exec, exec, s[6:7]
	buffer_load_dword v114, off, s[0:3], 0 offset:136
	v_cmp_gt_u32_e32 vcc, 34, v0
	s_waitcnt vmcnt(0)
	ds_write_b32 v112, v114
	s_waitcnt lgkmcnt(0)
	; wave barrier
	s_waitcnt lgkmcnt(0)
	s_and_saveexec_b64 s[6:7], vcc
	s_cbranch_execz .LBB118_870
; %bb.861:
	s_and_b64 vcc, exec, s[4:5]
	s_cbranch_vccnz .LBB118_863
; %bb.862:
	buffer_load_dword v114, v113, s[0:3], 0 offen
	ds_read_b32 v115, v112
	s_waitcnt vmcnt(0) lgkmcnt(0)
	v_mul_f32_e32 v114, v114, v115
	s_cbranch_execz .LBB118_864
	s_branch .LBB118_865
.LBB118_863:
                                        ; implicit-def: $vgpr114
.LBB118_864:
	ds_read_b32 v114, v112
.LBB118_865:
	v_cmp_ne_u32_e32 vcc, 33, v0
	s_and_saveexec_b64 s[8:9], vcc
	s_cbranch_execz .LBB118_869
; %bb.866:
	v_mov_b32_e32 v116, 0
	v_add_u32_e32 v115, 0xe4, v1
	v_add3_u32 v116, v1, v116, 4
	s_mov_b64 s[10:11], 0
	v_mov_b32_e32 v117, v0
.LBB118_867:                            ; =>This Inner Loop Header: Depth=1
	buffer_load_dword v118, v116, s[0:3], 0 offen
	ds_read_b32 v119, v115
	v_add_u32_e32 v117, 1, v117
	v_cmp_lt_u32_e32 vcc, 32, v117
	v_add_u32_e32 v115, 4, v115
	v_add_u32_e32 v116, 4, v116
	s_or_b64 s[10:11], vcc, s[10:11]
	s_waitcnt vmcnt(0) lgkmcnt(0)
	v_fmac_f32_e32 v114, v118, v119
	s_andn2_b64 exec, exec, s[10:11]
	s_cbranch_execnz .LBB118_867
; %bb.868:
	s_or_b64 exec, exec, s[10:11]
.LBB118_869:
	s_or_b64 exec, exec, s[8:9]
	v_mov_b32_e32 v115, 0
	ds_read_b32 v115, v115 offset:136
	s_waitcnt lgkmcnt(0)
	v_mul_f32_e32 v114, v114, v115
	buffer_store_dword v114, off, s[0:3], 0 offset:136
.LBB118_870:
	s_or_b64 exec, exec, s[6:7]
	buffer_load_dword v114, off, s[0:3], 0 offset:140
	v_cmp_gt_u32_e32 vcc, 35, v0
	s_waitcnt vmcnt(0)
	ds_write_b32 v112, v114
	s_waitcnt lgkmcnt(0)
	; wave barrier
	s_waitcnt lgkmcnt(0)
	s_and_saveexec_b64 s[6:7], vcc
	s_cbranch_execz .LBB118_880
; %bb.871:
	s_and_b64 vcc, exec, s[4:5]
	s_cbranch_vccnz .LBB118_873
; %bb.872:
	buffer_load_dword v114, v113, s[0:3], 0 offen
	ds_read_b32 v115, v112
	s_waitcnt vmcnt(0) lgkmcnt(0)
	v_mul_f32_e32 v114, v114, v115
	s_cbranch_execz .LBB118_874
	s_branch .LBB118_875
.LBB118_873:
                                        ; implicit-def: $vgpr114
.LBB118_874:
	ds_read_b32 v114, v112
.LBB118_875:
	v_cmp_ne_u32_e32 vcc, 34, v0
	s_and_saveexec_b64 s[8:9], vcc
	s_cbranch_execz .LBB118_879
; %bb.876:
	v_mov_b32_e32 v116, 0
	v_add_u32_e32 v115, 0xe4, v1
	v_add3_u32 v116, v1, v116, 4
	s_mov_b64 s[10:11], 0
	v_mov_b32_e32 v117, v0
.LBB118_877:                            ; =>This Inner Loop Header: Depth=1
	buffer_load_dword v118, v116, s[0:3], 0 offen
	ds_read_b32 v119, v115
	v_add_u32_e32 v117, 1, v117
	v_cmp_lt_u32_e32 vcc, 33, v117
	v_add_u32_e32 v115, 4, v115
	v_add_u32_e32 v116, 4, v116
	s_or_b64 s[10:11], vcc, s[10:11]
	s_waitcnt vmcnt(0) lgkmcnt(0)
	v_fmac_f32_e32 v114, v118, v119
	s_andn2_b64 exec, exec, s[10:11]
	s_cbranch_execnz .LBB118_877
; %bb.878:
	s_or_b64 exec, exec, s[10:11]
.LBB118_879:
	s_or_b64 exec, exec, s[8:9]
	v_mov_b32_e32 v115, 0
	ds_read_b32 v115, v115 offset:140
	s_waitcnt lgkmcnt(0)
	v_mul_f32_e32 v114, v114, v115
	buffer_store_dword v114, off, s[0:3], 0 offset:140
.LBB118_880:
	s_or_b64 exec, exec, s[6:7]
	buffer_load_dword v114, off, s[0:3], 0 offset:144
	v_cmp_gt_u32_e32 vcc, 36, v0
	s_waitcnt vmcnt(0)
	ds_write_b32 v112, v114
	s_waitcnt lgkmcnt(0)
	; wave barrier
	s_waitcnt lgkmcnt(0)
	s_and_saveexec_b64 s[6:7], vcc
	s_cbranch_execz .LBB118_890
; %bb.881:
	s_and_b64 vcc, exec, s[4:5]
	s_cbranch_vccnz .LBB118_883
; %bb.882:
	buffer_load_dword v114, v113, s[0:3], 0 offen
	ds_read_b32 v115, v112
	s_waitcnt vmcnt(0) lgkmcnt(0)
	v_mul_f32_e32 v114, v114, v115
	s_cbranch_execz .LBB118_884
	s_branch .LBB118_885
.LBB118_883:
                                        ; implicit-def: $vgpr114
.LBB118_884:
	ds_read_b32 v114, v112
.LBB118_885:
	v_cmp_ne_u32_e32 vcc, 35, v0
	s_and_saveexec_b64 s[8:9], vcc
	s_cbranch_execz .LBB118_889
; %bb.886:
	v_mov_b32_e32 v116, 0
	v_add_u32_e32 v115, 0xe4, v1
	v_add3_u32 v116, v1, v116, 4
	s_mov_b64 s[10:11], 0
	v_mov_b32_e32 v117, v0
.LBB118_887:                            ; =>This Inner Loop Header: Depth=1
	buffer_load_dword v118, v116, s[0:3], 0 offen
	ds_read_b32 v119, v115
	v_add_u32_e32 v117, 1, v117
	v_cmp_lt_u32_e32 vcc, 34, v117
	v_add_u32_e32 v115, 4, v115
	v_add_u32_e32 v116, 4, v116
	s_or_b64 s[10:11], vcc, s[10:11]
	s_waitcnt vmcnt(0) lgkmcnt(0)
	v_fmac_f32_e32 v114, v118, v119
	s_andn2_b64 exec, exec, s[10:11]
	s_cbranch_execnz .LBB118_887
; %bb.888:
	s_or_b64 exec, exec, s[10:11]
.LBB118_889:
	s_or_b64 exec, exec, s[8:9]
	v_mov_b32_e32 v115, 0
	ds_read_b32 v115, v115 offset:144
	s_waitcnt lgkmcnt(0)
	v_mul_f32_e32 v114, v114, v115
	buffer_store_dword v114, off, s[0:3], 0 offset:144
.LBB118_890:
	s_or_b64 exec, exec, s[6:7]
	buffer_load_dword v114, off, s[0:3], 0 offset:148
	v_cmp_gt_u32_e32 vcc, 37, v0
	s_waitcnt vmcnt(0)
	ds_write_b32 v112, v114
	s_waitcnt lgkmcnt(0)
	; wave barrier
	s_waitcnt lgkmcnt(0)
	s_and_saveexec_b64 s[6:7], vcc
	s_cbranch_execz .LBB118_900
; %bb.891:
	s_and_b64 vcc, exec, s[4:5]
	s_cbranch_vccnz .LBB118_893
; %bb.892:
	buffer_load_dword v114, v113, s[0:3], 0 offen
	ds_read_b32 v115, v112
	s_waitcnt vmcnt(0) lgkmcnt(0)
	v_mul_f32_e32 v114, v114, v115
	s_cbranch_execz .LBB118_894
	s_branch .LBB118_895
.LBB118_893:
                                        ; implicit-def: $vgpr114
.LBB118_894:
	ds_read_b32 v114, v112
.LBB118_895:
	v_cmp_ne_u32_e32 vcc, 36, v0
	s_and_saveexec_b64 s[8:9], vcc
	s_cbranch_execz .LBB118_899
; %bb.896:
	v_mov_b32_e32 v116, 0
	v_add_u32_e32 v115, 0xe4, v1
	v_add3_u32 v116, v1, v116, 4
	s_mov_b64 s[10:11], 0
	v_mov_b32_e32 v117, v0
.LBB118_897:                            ; =>This Inner Loop Header: Depth=1
	buffer_load_dword v118, v116, s[0:3], 0 offen
	ds_read_b32 v119, v115
	v_add_u32_e32 v117, 1, v117
	v_cmp_lt_u32_e32 vcc, 35, v117
	v_add_u32_e32 v115, 4, v115
	v_add_u32_e32 v116, 4, v116
	s_or_b64 s[10:11], vcc, s[10:11]
	s_waitcnt vmcnt(0) lgkmcnt(0)
	v_fmac_f32_e32 v114, v118, v119
	s_andn2_b64 exec, exec, s[10:11]
	s_cbranch_execnz .LBB118_897
; %bb.898:
	s_or_b64 exec, exec, s[10:11]
.LBB118_899:
	s_or_b64 exec, exec, s[8:9]
	v_mov_b32_e32 v115, 0
	ds_read_b32 v115, v115 offset:148
	s_waitcnt lgkmcnt(0)
	v_mul_f32_e32 v114, v114, v115
	buffer_store_dword v114, off, s[0:3], 0 offset:148
.LBB118_900:
	s_or_b64 exec, exec, s[6:7]
	buffer_load_dword v114, off, s[0:3], 0 offset:152
	v_cmp_gt_u32_e32 vcc, 38, v0
	s_waitcnt vmcnt(0)
	ds_write_b32 v112, v114
	s_waitcnt lgkmcnt(0)
	; wave barrier
	s_waitcnt lgkmcnt(0)
	s_and_saveexec_b64 s[6:7], vcc
	s_cbranch_execz .LBB118_910
; %bb.901:
	s_and_b64 vcc, exec, s[4:5]
	s_cbranch_vccnz .LBB118_903
; %bb.902:
	buffer_load_dword v114, v113, s[0:3], 0 offen
	ds_read_b32 v115, v112
	s_waitcnt vmcnt(0) lgkmcnt(0)
	v_mul_f32_e32 v114, v114, v115
	s_cbranch_execz .LBB118_904
	s_branch .LBB118_905
.LBB118_903:
                                        ; implicit-def: $vgpr114
.LBB118_904:
	ds_read_b32 v114, v112
.LBB118_905:
	v_cmp_ne_u32_e32 vcc, 37, v0
	s_and_saveexec_b64 s[8:9], vcc
	s_cbranch_execz .LBB118_909
; %bb.906:
	v_mov_b32_e32 v116, 0
	v_add_u32_e32 v115, 0xe4, v1
	v_add3_u32 v116, v1, v116, 4
	s_mov_b64 s[10:11], 0
	v_mov_b32_e32 v117, v0
.LBB118_907:                            ; =>This Inner Loop Header: Depth=1
	buffer_load_dword v118, v116, s[0:3], 0 offen
	ds_read_b32 v119, v115
	v_add_u32_e32 v117, 1, v117
	v_cmp_lt_u32_e32 vcc, 36, v117
	v_add_u32_e32 v115, 4, v115
	v_add_u32_e32 v116, 4, v116
	s_or_b64 s[10:11], vcc, s[10:11]
	s_waitcnt vmcnt(0) lgkmcnt(0)
	v_fmac_f32_e32 v114, v118, v119
	s_andn2_b64 exec, exec, s[10:11]
	s_cbranch_execnz .LBB118_907
; %bb.908:
	s_or_b64 exec, exec, s[10:11]
.LBB118_909:
	s_or_b64 exec, exec, s[8:9]
	v_mov_b32_e32 v115, 0
	ds_read_b32 v115, v115 offset:152
	s_waitcnt lgkmcnt(0)
	v_mul_f32_e32 v114, v114, v115
	buffer_store_dword v114, off, s[0:3], 0 offset:152
.LBB118_910:
	s_or_b64 exec, exec, s[6:7]
	buffer_load_dword v114, off, s[0:3], 0 offset:156
	v_cmp_gt_u32_e32 vcc, 39, v0
	s_waitcnt vmcnt(0)
	ds_write_b32 v112, v114
	s_waitcnt lgkmcnt(0)
	; wave barrier
	s_waitcnt lgkmcnt(0)
	s_and_saveexec_b64 s[6:7], vcc
	s_cbranch_execz .LBB118_920
; %bb.911:
	s_and_b64 vcc, exec, s[4:5]
	s_cbranch_vccnz .LBB118_913
; %bb.912:
	buffer_load_dword v114, v113, s[0:3], 0 offen
	ds_read_b32 v115, v112
	s_waitcnt vmcnt(0) lgkmcnt(0)
	v_mul_f32_e32 v114, v114, v115
	s_cbranch_execz .LBB118_914
	s_branch .LBB118_915
.LBB118_913:
                                        ; implicit-def: $vgpr114
.LBB118_914:
	ds_read_b32 v114, v112
.LBB118_915:
	v_cmp_ne_u32_e32 vcc, 38, v0
	s_and_saveexec_b64 s[8:9], vcc
	s_cbranch_execz .LBB118_919
; %bb.916:
	v_mov_b32_e32 v116, 0
	v_add_u32_e32 v115, 0xe4, v1
	v_add3_u32 v116, v1, v116, 4
	s_mov_b64 s[10:11], 0
	v_mov_b32_e32 v117, v0
.LBB118_917:                            ; =>This Inner Loop Header: Depth=1
	buffer_load_dword v118, v116, s[0:3], 0 offen
	ds_read_b32 v119, v115
	v_add_u32_e32 v117, 1, v117
	v_cmp_lt_u32_e32 vcc, 37, v117
	v_add_u32_e32 v115, 4, v115
	v_add_u32_e32 v116, 4, v116
	s_or_b64 s[10:11], vcc, s[10:11]
	s_waitcnt vmcnt(0) lgkmcnt(0)
	v_fmac_f32_e32 v114, v118, v119
	s_andn2_b64 exec, exec, s[10:11]
	s_cbranch_execnz .LBB118_917
; %bb.918:
	s_or_b64 exec, exec, s[10:11]
.LBB118_919:
	s_or_b64 exec, exec, s[8:9]
	v_mov_b32_e32 v115, 0
	ds_read_b32 v115, v115 offset:156
	s_waitcnt lgkmcnt(0)
	v_mul_f32_e32 v114, v114, v115
	buffer_store_dword v114, off, s[0:3], 0 offset:156
.LBB118_920:
	s_or_b64 exec, exec, s[6:7]
	buffer_load_dword v114, off, s[0:3], 0 offset:160
	v_cmp_gt_u32_e32 vcc, 40, v0
	s_waitcnt vmcnt(0)
	ds_write_b32 v112, v114
	s_waitcnt lgkmcnt(0)
	; wave barrier
	s_waitcnt lgkmcnt(0)
	s_and_saveexec_b64 s[6:7], vcc
	s_cbranch_execz .LBB118_930
; %bb.921:
	s_and_b64 vcc, exec, s[4:5]
	s_cbranch_vccnz .LBB118_923
; %bb.922:
	buffer_load_dword v114, v113, s[0:3], 0 offen
	ds_read_b32 v115, v112
	s_waitcnt vmcnt(0) lgkmcnt(0)
	v_mul_f32_e32 v114, v114, v115
	s_cbranch_execz .LBB118_924
	s_branch .LBB118_925
.LBB118_923:
                                        ; implicit-def: $vgpr114
.LBB118_924:
	ds_read_b32 v114, v112
.LBB118_925:
	v_cmp_ne_u32_e32 vcc, 39, v0
	s_and_saveexec_b64 s[8:9], vcc
	s_cbranch_execz .LBB118_929
; %bb.926:
	v_mov_b32_e32 v116, 0
	v_add_u32_e32 v115, 0xe4, v1
	v_add3_u32 v116, v1, v116, 4
	s_mov_b64 s[10:11], 0
	v_mov_b32_e32 v117, v0
.LBB118_927:                            ; =>This Inner Loop Header: Depth=1
	buffer_load_dword v118, v116, s[0:3], 0 offen
	ds_read_b32 v119, v115
	v_add_u32_e32 v117, 1, v117
	v_cmp_lt_u32_e32 vcc, 38, v117
	v_add_u32_e32 v115, 4, v115
	v_add_u32_e32 v116, 4, v116
	s_or_b64 s[10:11], vcc, s[10:11]
	s_waitcnt vmcnt(0) lgkmcnt(0)
	v_fmac_f32_e32 v114, v118, v119
	s_andn2_b64 exec, exec, s[10:11]
	s_cbranch_execnz .LBB118_927
; %bb.928:
	s_or_b64 exec, exec, s[10:11]
.LBB118_929:
	s_or_b64 exec, exec, s[8:9]
	v_mov_b32_e32 v115, 0
	ds_read_b32 v115, v115 offset:160
	s_waitcnt lgkmcnt(0)
	v_mul_f32_e32 v114, v114, v115
	buffer_store_dword v114, off, s[0:3], 0 offset:160
.LBB118_930:
	s_or_b64 exec, exec, s[6:7]
	buffer_load_dword v114, off, s[0:3], 0 offset:164
	v_cmp_gt_u32_e32 vcc, 41, v0
	s_waitcnt vmcnt(0)
	ds_write_b32 v112, v114
	s_waitcnt lgkmcnt(0)
	; wave barrier
	s_waitcnt lgkmcnt(0)
	s_and_saveexec_b64 s[6:7], vcc
	s_cbranch_execz .LBB118_940
; %bb.931:
	s_and_b64 vcc, exec, s[4:5]
	s_cbranch_vccnz .LBB118_933
; %bb.932:
	buffer_load_dword v114, v113, s[0:3], 0 offen
	ds_read_b32 v115, v112
	s_waitcnt vmcnt(0) lgkmcnt(0)
	v_mul_f32_e32 v114, v114, v115
	s_cbranch_execz .LBB118_934
	s_branch .LBB118_935
.LBB118_933:
                                        ; implicit-def: $vgpr114
.LBB118_934:
	ds_read_b32 v114, v112
.LBB118_935:
	v_cmp_ne_u32_e32 vcc, 40, v0
	s_and_saveexec_b64 s[8:9], vcc
	s_cbranch_execz .LBB118_939
; %bb.936:
	v_mov_b32_e32 v116, 0
	v_add_u32_e32 v115, 0xe4, v1
	v_add3_u32 v116, v1, v116, 4
	s_mov_b64 s[10:11], 0
	v_mov_b32_e32 v117, v0
.LBB118_937:                            ; =>This Inner Loop Header: Depth=1
	buffer_load_dword v118, v116, s[0:3], 0 offen
	ds_read_b32 v119, v115
	v_add_u32_e32 v117, 1, v117
	v_cmp_lt_u32_e32 vcc, 39, v117
	v_add_u32_e32 v115, 4, v115
	v_add_u32_e32 v116, 4, v116
	s_or_b64 s[10:11], vcc, s[10:11]
	s_waitcnt vmcnt(0) lgkmcnt(0)
	v_fmac_f32_e32 v114, v118, v119
	s_andn2_b64 exec, exec, s[10:11]
	s_cbranch_execnz .LBB118_937
; %bb.938:
	s_or_b64 exec, exec, s[10:11]
.LBB118_939:
	s_or_b64 exec, exec, s[8:9]
	v_mov_b32_e32 v115, 0
	ds_read_b32 v115, v115 offset:164
	s_waitcnt lgkmcnt(0)
	v_mul_f32_e32 v114, v114, v115
	buffer_store_dword v114, off, s[0:3], 0 offset:164
.LBB118_940:
	s_or_b64 exec, exec, s[6:7]
	buffer_load_dword v114, off, s[0:3], 0 offset:168
	v_cmp_gt_u32_e32 vcc, 42, v0
	s_waitcnt vmcnt(0)
	ds_write_b32 v112, v114
	s_waitcnt lgkmcnt(0)
	; wave barrier
	s_waitcnt lgkmcnt(0)
	s_and_saveexec_b64 s[6:7], vcc
	s_cbranch_execz .LBB118_950
; %bb.941:
	s_and_b64 vcc, exec, s[4:5]
	s_cbranch_vccnz .LBB118_943
; %bb.942:
	buffer_load_dword v114, v113, s[0:3], 0 offen
	ds_read_b32 v115, v112
	s_waitcnt vmcnt(0) lgkmcnt(0)
	v_mul_f32_e32 v114, v114, v115
	s_cbranch_execz .LBB118_944
	s_branch .LBB118_945
.LBB118_943:
                                        ; implicit-def: $vgpr114
.LBB118_944:
	ds_read_b32 v114, v112
.LBB118_945:
	v_cmp_ne_u32_e32 vcc, 41, v0
	s_and_saveexec_b64 s[8:9], vcc
	s_cbranch_execz .LBB118_949
; %bb.946:
	v_mov_b32_e32 v116, 0
	v_add_u32_e32 v115, 0xe4, v1
	v_add3_u32 v116, v1, v116, 4
	s_mov_b64 s[10:11], 0
	v_mov_b32_e32 v117, v0
.LBB118_947:                            ; =>This Inner Loop Header: Depth=1
	buffer_load_dword v118, v116, s[0:3], 0 offen
	ds_read_b32 v119, v115
	v_add_u32_e32 v117, 1, v117
	v_cmp_lt_u32_e32 vcc, 40, v117
	v_add_u32_e32 v115, 4, v115
	v_add_u32_e32 v116, 4, v116
	s_or_b64 s[10:11], vcc, s[10:11]
	s_waitcnt vmcnt(0) lgkmcnt(0)
	v_fmac_f32_e32 v114, v118, v119
	s_andn2_b64 exec, exec, s[10:11]
	s_cbranch_execnz .LBB118_947
; %bb.948:
	s_or_b64 exec, exec, s[10:11]
.LBB118_949:
	s_or_b64 exec, exec, s[8:9]
	v_mov_b32_e32 v115, 0
	ds_read_b32 v115, v115 offset:168
	s_waitcnt lgkmcnt(0)
	v_mul_f32_e32 v114, v114, v115
	buffer_store_dword v114, off, s[0:3], 0 offset:168
.LBB118_950:
	s_or_b64 exec, exec, s[6:7]
	buffer_load_dword v114, off, s[0:3], 0 offset:172
	v_cmp_gt_u32_e32 vcc, 43, v0
	s_waitcnt vmcnt(0)
	ds_write_b32 v112, v114
	s_waitcnt lgkmcnt(0)
	; wave barrier
	s_waitcnt lgkmcnt(0)
	s_and_saveexec_b64 s[6:7], vcc
	s_cbranch_execz .LBB118_960
; %bb.951:
	s_and_b64 vcc, exec, s[4:5]
	s_cbranch_vccnz .LBB118_953
; %bb.952:
	buffer_load_dword v114, v113, s[0:3], 0 offen
	ds_read_b32 v115, v112
	s_waitcnt vmcnt(0) lgkmcnt(0)
	v_mul_f32_e32 v114, v114, v115
	s_cbranch_execz .LBB118_954
	s_branch .LBB118_955
.LBB118_953:
                                        ; implicit-def: $vgpr114
.LBB118_954:
	ds_read_b32 v114, v112
.LBB118_955:
	v_cmp_ne_u32_e32 vcc, 42, v0
	s_and_saveexec_b64 s[8:9], vcc
	s_cbranch_execz .LBB118_959
; %bb.956:
	v_mov_b32_e32 v116, 0
	v_add_u32_e32 v115, 0xe4, v1
	v_add3_u32 v116, v1, v116, 4
	s_mov_b64 s[10:11], 0
	v_mov_b32_e32 v117, v0
.LBB118_957:                            ; =>This Inner Loop Header: Depth=1
	buffer_load_dword v118, v116, s[0:3], 0 offen
	ds_read_b32 v119, v115
	v_add_u32_e32 v117, 1, v117
	v_cmp_lt_u32_e32 vcc, 41, v117
	v_add_u32_e32 v115, 4, v115
	v_add_u32_e32 v116, 4, v116
	s_or_b64 s[10:11], vcc, s[10:11]
	s_waitcnt vmcnt(0) lgkmcnt(0)
	v_fmac_f32_e32 v114, v118, v119
	s_andn2_b64 exec, exec, s[10:11]
	s_cbranch_execnz .LBB118_957
; %bb.958:
	s_or_b64 exec, exec, s[10:11]
.LBB118_959:
	s_or_b64 exec, exec, s[8:9]
	v_mov_b32_e32 v115, 0
	ds_read_b32 v115, v115 offset:172
	s_waitcnt lgkmcnt(0)
	v_mul_f32_e32 v114, v114, v115
	buffer_store_dword v114, off, s[0:3], 0 offset:172
.LBB118_960:
	s_or_b64 exec, exec, s[6:7]
	buffer_load_dword v114, off, s[0:3], 0 offset:176
	v_cmp_gt_u32_e32 vcc, 44, v0
	s_waitcnt vmcnt(0)
	ds_write_b32 v112, v114
	s_waitcnt lgkmcnt(0)
	; wave barrier
	s_waitcnt lgkmcnt(0)
	s_and_saveexec_b64 s[6:7], vcc
	s_cbranch_execz .LBB118_970
; %bb.961:
	s_and_b64 vcc, exec, s[4:5]
	s_cbranch_vccnz .LBB118_963
; %bb.962:
	buffer_load_dword v114, v113, s[0:3], 0 offen
	ds_read_b32 v115, v112
	s_waitcnt vmcnt(0) lgkmcnt(0)
	v_mul_f32_e32 v114, v114, v115
	s_cbranch_execz .LBB118_964
	s_branch .LBB118_965
.LBB118_963:
                                        ; implicit-def: $vgpr114
.LBB118_964:
	ds_read_b32 v114, v112
.LBB118_965:
	v_cmp_ne_u32_e32 vcc, 43, v0
	s_and_saveexec_b64 s[8:9], vcc
	s_cbranch_execz .LBB118_969
; %bb.966:
	v_mov_b32_e32 v116, 0
	v_add_u32_e32 v115, 0xe4, v1
	v_add3_u32 v116, v1, v116, 4
	s_mov_b64 s[10:11], 0
	v_mov_b32_e32 v117, v0
.LBB118_967:                            ; =>This Inner Loop Header: Depth=1
	buffer_load_dword v118, v116, s[0:3], 0 offen
	ds_read_b32 v119, v115
	v_add_u32_e32 v117, 1, v117
	v_cmp_lt_u32_e32 vcc, 42, v117
	v_add_u32_e32 v115, 4, v115
	v_add_u32_e32 v116, 4, v116
	s_or_b64 s[10:11], vcc, s[10:11]
	s_waitcnt vmcnt(0) lgkmcnt(0)
	v_fmac_f32_e32 v114, v118, v119
	s_andn2_b64 exec, exec, s[10:11]
	s_cbranch_execnz .LBB118_967
; %bb.968:
	s_or_b64 exec, exec, s[10:11]
.LBB118_969:
	s_or_b64 exec, exec, s[8:9]
	v_mov_b32_e32 v115, 0
	ds_read_b32 v115, v115 offset:176
	s_waitcnt lgkmcnt(0)
	v_mul_f32_e32 v114, v114, v115
	buffer_store_dword v114, off, s[0:3], 0 offset:176
.LBB118_970:
	s_or_b64 exec, exec, s[6:7]
	buffer_load_dword v114, off, s[0:3], 0 offset:180
	v_cmp_gt_u32_e32 vcc, 45, v0
	s_waitcnt vmcnt(0)
	ds_write_b32 v112, v114
	s_waitcnt lgkmcnt(0)
	; wave barrier
	s_waitcnt lgkmcnt(0)
	s_and_saveexec_b64 s[6:7], vcc
	s_cbranch_execz .LBB118_980
; %bb.971:
	s_and_b64 vcc, exec, s[4:5]
	s_cbranch_vccnz .LBB118_973
; %bb.972:
	buffer_load_dword v114, v113, s[0:3], 0 offen
	ds_read_b32 v115, v112
	s_waitcnt vmcnt(0) lgkmcnt(0)
	v_mul_f32_e32 v114, v114, v115
	s_cbranch_execz .LBB118_974
	s_branch .LBB118_975
.LBB118_973:
                                        ; implicit-def: $vgpr114
.LBB118_974:
	ds_read_b32 v114, v112
.LBB118_975:
	v_cmp_ne_u32_e32 vcc, 44, v0
	s_and_saveexec_b64 s[8:9], vcc
	s_cbranch_execz .LBB118_979
; %bb.976:
	v_mov_b32_e32 v116, 0
	v_add_u32_e32 v115, 0xe4, v1
	v_add3_u32 v116, v1, v116, 4
	s_mov_b64 s[10:11], 0
	v_mov_b32_e32 v117, v0
.LBB118_977:                            ; =>This Inner Loop Header: Depth=1
	buffer_load_dword v118, v116, s[0:3], 0 offen
	ds_read_b32 v119, v115
	v_add_u32_e32 v117, 1, v117
	v_cmp_lt_u32_e32 vcc, 43, v117
	v_add_u32_e32 v115, 4, v115
	v_add_u32_e32 v116, 4, v116
	s_or_b64 s[10:11], vcc, s[10:11]
	s_waitcnt vmcnt(0) lgkmcnt(0)
	v_fmac_f32_e32 v114, v118, v119
	s_andn2_b64 exec, exec, s[10:11]
	s_cbranch_execnz .LBB118_977
; %bb.978:
	s_or_b64 exec, exec, s[10:11]
.LBB118_979:
	s_or_b64 exec, exec, s[8:9]
	v_mov_b32_e32 v115, 0
	ds_read_b32 v115, v115 offset:180
	s_waitcnt lgkmcnt(0)
	v_mul_f32_e32 v114, v114, v115
	buffer_store_dword v114, off, s[0:3], 0 offset:180
.LBB118_980:
	s_or_b64 exec, exec, s[6:7]
	buffer_load_dword v114, off, s[0:3], 0 offset:184
	v_cmp_gt_u32_e32 vcc, 46, v0
	s_waitcnt vmcnt(0)
	ds_write_b32 v112, v114
	s_waitcnt lgkmcnt(0)
	; wave barrier
	s_waitcnt lgkmcnt(0)
	s_and_saveexec_b64 s[6:7], vcc
	s_cbranch_execz .LBB118_990
; %bb.981:
	s_and_b64 vcc, exec, s[4:5]
	s_cbranch_vccnz .LBB118_983
; %bb.982:
	buffer_load_dword v114, v113, s[0:3], 0 offen
	ds_read_b32 v115, v112
	s_waitcnt vmcnt(0) lgkmcnt(0)
	v_mul_f32_e32 v114, v114, v115
	s_cbranch_execz .LBB118_984
	s_branch .LBB118_985
.LBB118_983:
                                        ; implicit-def: $vgpr114
.LBB118_984:
	ds_read_b32 v114, v112
.LBB118_985:
	v_cmp_ne_u32_e32 vcc, 45, v0
	s_and_saveexec_b64 s[8:9], vcc
	s_cbranch_execz .LBB118_989
; %bb.986:
	v_mov_b32_e32 v116, 0
	v_add_u32_e32 v115, 0xe4, v1
	v_add3_u32 v116, v1, v116, 4
	s_mov_b64 s[10:11], 0
	v_mov_b32_e32 v117, v0
.LBB118_987:                            ; =>This Inner Loop Header: Depth=1
	buffer_load_dword v118, v116, s[0:3], 0 offen
	ds_read_b32 v119, v115
	v_add_u32_e32 v117, 1, v117
	v_cmp_lt_u32_e32 vcc, 44, v117
	v_add_u32_e32 v115, 4, v115
	v_add_u32_e32 v116, 4, v116
	s_or_b64 s[10:11], vcc, s[10:11]
	s_waitcnt vmcnt(0) lgkmcnt(0)
	v_fmac_f32_e32 v114, v118, v119
	s_andn2_b64 exec, exec, s[10:11]
	s_cbranch_execnz .LBB118_987
; %bb.988:
	s_or_b64 exec, exec, s[10:11]
.LBB118_989:
	s_or_b64 exec, exec, s[8:9]
	v_mov_b32_e32 v115, 0
	ds_read_b32 v115, v115 offset:184
	s_waitcnt lgkmcnt(0)
	v_mul_f32_e32 v114, v114, v115
	buffer_store_dword v114, off, s[0:3], 0 offset:184
.LBB118_990:
	s_or_b64 exec, exec, s[6:7]
	buffer_load_dword v114, off, s[0:3], 0 offset:188
	v_cmp_gt_u32_e32 vcc, 47, v0
	s_waitcnt vmcnt(0)
	ds_write_b32 v112, v114
	s_waitcnt lgkmcnt(0)
	; wave barrier
	s_waitcnt lgkmcnt(0)
	s_and_saveexec_b64 s[6:7], vcc
	s_cbranch_execz .LBB118_1000
; %bb.991:
	s_and_b64 vcc, exec, s[4:5]
	s_cbranch_vccnz .LBB118_993
; %bb.992:
	buffer_load_dword v114, v113, s[0:3], 0 offen
	ds_read_b32 v115, v112
	s_waitcnt vmcnt(0) lgkmcnt(0)
	v_mul_f32_e32 v114, v114, v115
	s_cbranch_execz .LBB118_994
	s_branch .LBB118_995
.LBB118_993:
                                        ; implicit-def: $vgpr114
.LBB118_994:
	ds_read_b32 v114, v112
.LBB118_995:
	v_cmp_ne_u32_e32 vcc, 46, v0
	s_and_saveexec_b64 s[8:9], vcc
	s_cbranch_execz .LBB118_999
; %bb.996:
	v_mov_b32_e32 v116, 0
	v_add_u32_e32 v115, 0xe4, v1
	v_add3_u32 v116, v1, v116, 4
	s_mov_b64 s[10:11], 0
	v_mov_b32_e32 v117, v0
.LBB118_997:                            ; =>This Inner Loop Header: Depth=1
	buffer_load_dword v118, v116, s[0:3], 0 offen
	ds_read_b32 v119, v115
	v_add_u32_e32 v117, 1, v117
	v_cmp_lt_u32_e32 vcc, 45, v117
	v_add_u32_e32 v115, 4, v115
	v_add_u32_e32 v116, 4, v116
	s_or_b64 s[10:11], vcc, s[10:11]
	s_waitcnt vmcnt(0) lgkmcnt(0)
	v_fmac_f32_e32 v114, v118, v119
	s_andn2_b64 exec, exec, s[10:11]
	s_cbranch_execnz .LBB118_997
; %bb.998:
	s_or_b64 exec, exec, s[10:11]
.LBB118_999:
	s_or_b64 exec, exec, s[8:9]
	v_mov_b32_e32 v115, 0
	ds_read_b32 v115, v115 offset:188
	s_waitcnt lgkmcnt(0)
	v_mul_f32_e32 v114, v114, v115
	buffer_store_dword v114, off, s[0:3], 0 offset:188
.LBB118_1000:
	s_or_b64 exec, exec, s[6:7]
	buffer_load_dword v114, off, s[0:3], 0 offset:192
	v_cmp_gt_u32_e32 vcc, 48, v0
	s_waitcnt vmcnt(0)
	ds_write_b32 v112, v114
	s_waitcnt lgkmcnt(0)
	; wave barrier
	s_waitcnt lgkmcnt(0)
	s_and_saveexec_b64 s[6:7], vcc
	s_cbranch_execz .LBB118_1010
; %bb.1001:
	s_and_b64 vcc, exec, s[4:5]
	s_cbranch_vccnz .LBB118_1003
; %bb.1002:
	buffer_load_dword v114, v113, s[0:3], 0 offen
	ds_read_b32 v115, v112
	s_waitcnt vmcnt(0) lgkmcnt(0)
	v_mul_f32_e32 v114, v114, v115
	s_cbranch_execz .LBB118_1004
	s_branch .LBB118_1005
.LBB118_1003:
                                        ; implicit-def: $vgpr114
.LBB118_1004:
	ds_read_b32 v114, v112
.LBB118_1005:
	v_cmp_ne_u32_e32 vcc, 47, v0
	s_and_saveexec_b64 s[8:9], vcc
	s_cbranch_execz .LBB118_1009
; %bb.1006:
	v_mov_b32_e32 v116, 0
	v_add_u32_e32 v115, 0xe4, v1
	v_add3_u32 v116, v1, v116, 4
	s_mov_b64 s[10:11], 0
	v_mov_b32_e32 v117, v0
.LBB118_1007:                           ; =>This Inner Loop Header: Depth=1
	buffer_load_dword v118, v116, s[0:3], 0 offen
	ds_read_b32 v119, v115
	v_add_u32_e32 v117, 1, v117
	v_cmp_lt_u32_e32 vcc, 46, v117
	v_add_u32_e32 v115, 4, v115
	v_add_u32_e32 v116, 4, v116
	s_or_b64 s[10:11], vcc, s[10:11]
	s_waitcnt vmcnt(0) lgkmcnt(0)
	v_fmac_f32_e32 v114, v118, v119
	s_andn2_b64 exec, exec, s[10:11]
	s_cbranch_execnz .LBB118_1007
; %bb.1008:
	s_or_b64 exec, exec, s[10:11]
.LBB118_1009:
	s_or_b64 exec, exec, s[8:9]
	v_mov_b32_e32 v115, 0
	ds_read_b32 v115, v115 offset:192
	s_waitcnt lgkmcnt(0)
	v_mul_f32_e32 v114, v114, v115
	buffer_store_dword v114, off, s[0:3], 0 offset:192
.LBB118_1010:
	s_or_b64 exec, exec, s[6:7]
	buffer_load_dword v114, off, s[0:3], 0 offset:196
	v_cmp_gt_u32_e32 vcc, 49, v0
	s_waitcnt vmcnt(0)
	ds_write_b32 v112, v114
	s_waitcnt lgkmcnt(0)
	; wave barrier
	s_waitcnt lgkmcnt(0)
	s_and_saveexec_b64 s[6:7], vcc
	s_cbranch_execz .LBB118_1020
; %bb.1011:
	s_and_b64 vcc, exec, s[4:5]
	s_cbranch_vccnz .LBB118_1013
; %bb.1012:
	buffer_load_dword v114, v113, s[0:3], 0 offen
	ds_read_b32 v115, v112
	s_waitcnt vmcnt(0) lgkmcnt(0)
	v_mul_f32_e32 v114, v114, v115
	s_cbranch_execz .LBB118_1014
	s_branch .LBB118_1015
.LBB118_1013:
                                        ; implicit-def: $vgpr114
.LBB118_1014:
	ds_read_b32 v114, v112
.LBB118_1015:
	v_cmp_ne_u32_e32 vcc, 48, v0
	s_and_saveexec_b64 s[8:9], vcc
	s_cbranch_execz .LBB118_1019
; %bb.1016:
	v_mov_b32_e32 v116, 0
	v_add_u32_e32 v115, 0xe4, v1
	v_add3_u32 v116, v1, v116, 4
	s_mov_b64 s[10:11], 0
	v_mov_b32_e32 v117, v0
.LBB118_1017:                           ; =>This Inner Loop Header: Depth=1
	buffer_load_dword v118, v116, s[0:3], 0 offen
	ds_read_b32 v119, v115
	v_add_u32_e32 v117, 1, v117
	v_cmp_lt_u32_e32 vcc, 47, v117
	v_add_u32_e32 v115, 4, v115
	v_add_u32_e32 v116, 4, v116
	s_or_b64 s[10:11], vcc, s[10:11]
	s_waitcnt vmcnt(0) lgkmcnt(0)
	v_fmac_f32_e32 v114, v118, v119
	s_andn2_b64 exec, exec, s[10:11]
	s_cbranch_execnz .LBB118_1017
; %bb.1018:
	s_or_b64 exec, exec, s[10:11]
.LBB118_1019:
	s_or_b64 exec, exec, s[8:9]
	v_mov_b32_e32 v115, 0
	ds_read_b32 v115, v115 offset:196
	s_waitcnt lgkmcnt(0)
	v_mul_f32_e32 v114, v114, v115
	buffer_store_dword v114, off, s[0:3], 0 offset:196
.LBB118_1020:
	;; [unrolled: 56-line block ×5, first 2 shown]
	s_or_b64 exec, exec, s[6:7]
	buffer_load_dword v114, off, s[0:3], 0 offset:212
	v_cmp_gt_u32_e64 s[6:7], 53, v0
	s_waitcnt vmcnt(0)
	ds_write_b32 v112, v114
	s_waitcnt lgkmcnt(0)
	; wave barrier
	s_waitcnt lgkmcnt(0)
	s_and_saveexec_b64 s[8:9], s[6:7]
	s_cbranch_execz .LBB118_1060
; %bb.1051:
	s_and_b64 vcc, exec, s[4:5]
	s_cbranch_vccnz .LBB118_1053
; %bb.1052:
	buffer_load_dword v114, v113, s[0:3], 0 offen
	ds_read_b32 v115, v112
	s_waitcnt vmcnt(0) lgkmcnt(0)
	v_mul_f32_e32 v114, v114, v115
	s_cbranch_execz .LBB118_1054
	s_branch .LBB118_1055
.LBB118_1053:
                                        ; implicit-def: $vgpr114
.LBB118_1054:
	ds_read_b32 v114, v112
.LBB118_1055:
	v_cmp_ne_u32_e32 vcc, 52, v0
	s_and_saveexec_b64 s[10:11], vcc
	s_cbranch_execz .LBB118_1059
; %bb.1056:
	v_mov_b32_e32 v116, 0
	v_add_u32_e32 v115, 0xe4, v1
	v_add3_u32 v116, v1, v116, 4
	s_mov_b64 s[12:13], 0
	v_mov_b32_e32 v117, v0
.LBB118_1057:                           ; =>This Inner Loop Header: Depth=1
	buffer_load_dword v118, v116, s[0:3], 0 offen
	ds_read_b32 v119, v115
	v_add_u32_e32 v117, 1, v117
	v_cmp_lt_u32_e32 vcc, 51, v117
	v_add_u32_e32 v115, 4, v115
	v_add_u32_e32 v116, 4, v116
	s_or_b64 s[12:13], vcc, s[12:13]
	s_waitcnt vmcnt(0) lgkmcnt(0)
	v_fmac_f32_e32 v114, v118, v119
	s_andn2_b64 exec, exec, s[12:13]
	s_cbranch_execnz .LBB118_1057
; %bb.1058:
	s_or_b64 exec, exec, s[12:13]
.LBB118_1059:
	s_or_b64 exec, exec, s[10:11]
	v_mov_b32_e32 v115, 0
	ds_read_b32 v115, v115 offset:212
	s_waitcnt lgkmcnt(0)
	v_mul_f32_e32 v114, v114, v115
	buffer_store_dword v114, off, s[0:3], 0 offset:212
.LBB118_1060:
	s_or_b64 exec, exec, s[8:9]
	buffer_load_dword v114, off, s[0:3], 0 offset:216
	v_cmp_ne_u32_e32 vcc, 54, v0
	s_waitcnt vmcnt(0)
	ds_write_b32 v112, v114
	s_waitcnt lgkmcnt(0)
	; wave barrier
	s_waitcnt lgkmcnt(0)
	s_and_saveexec_b64 s[8:9], vcc
	s_cbranch_execz .LBB118_1070
; %bb.1061:
	s_and_b64 vcc, exec, s[4:5]
	s_cbranch_vccnz .LBB118_1063
; %bb.1062:
	buffer_load_dword v113, v113, s[0:3], 0 offen
	ds_read_b32 v114, v112
	s_waitcnt vmcnt(0) lgkmcnt(0)
	v_mul_f32_e32 v113, v113, v114
	s_cbranch_execz .LBB118_1064
	s_branch .LBB118_1065
.LBB118_1063:
                                        ; implicit-def: $vgpr113
.LBB118_1064:
	ds_read_b32 v113, v112
.LBB118_1065:
	s_and_saveexec_b64 s[4:5], s[6:7]
	s_cbranch_execz .LBB118_1069
; %bb.1066:
	v_mov_b32_e32 v114, 0
	v_add_u32_e32 v112, 0xe4, v1
	v_add3_u32 v1, v1, v114, 4
	s_mov_b64 s[6:7], 0
.LBB118_1067:                           ; =>This Inner Loop Header: Depth=1
	buffer_load_dword v114, v1, s[0:3], 0 offen
	ds_read_b32 v115, v112
	v_add_u32_e32 v0, 1, v0
	v_cmp_lt_u32_e32 vcc, 52, v0
	v_add_u32_e32 v112, 4, v112
	v_add_u32_e32 v1, 4, v1
	s_or_b64 s[6:7], vcc, s[6:7]
	s_waitcnt vmcnt(0) lgkmcnt(0)
	v_fmac_f32_e32 v113, v114, v115
	s_andn2_b64 exec, exec, s[6:7]
	s_cbranch_execnz .LBB118_1067
; %bb.1068:
	s_or_b64 exec, exec, s[6:7]
.LBB118_1069:
	s_or_b64 exec, exec, s[4:5]
	v_mov_b32_e32 v0, 0
	ds_read_b32 v0, v0 offset:216
	s_waitcnt lgkmcnt(0)
	v_mul_f32_e32 v0, v113, v0
	buffer_store_dword v0, off, s[0:3], 0 offset:216
.LBB118_1070:
	s_or_b64 exec, exec, s[8:9]
.LBB118_1071:
	buffer_load_dword v0, off, s[0:3], 0
	buffer_load_dword v1, off, s[0:3], 0 offset:4
	buffer_load_dword v112, off, s[0:3], 0 offset:8
	;; [unrolled: 1-line block ×47, first 2 shown]
	s_waitcnt vmcnt(47)
	global_store_dword v[110:111], v0, off
	buffer_load_dword v0, off, s[0:3], 0 offset:192
	s_nop 0
	buffer_load_dword v110, off, s[0:3], 0 offset:196
	buffer_load_dword v111, off, s[0:3], 0 offset:200
	;; [unrolled: 1-line block ×6, first 2 shown]
	s_waitcnt vmcnt(54)
	global_store_dword v[108:109], v1, off
	s_waitcnt vmcnt(54)
	global_store_dword v[2:3], v112, off
	;; [unrolled: 2-line block ×54, first 2 shown]
.LBB118_1072:
	s_endpgm
	.section	.rodata,"a",@progbits
	.p2align	6, 0x0
	.amdhsa_kernel _ZN9rocsolver6v33100L18trti2_kernel_smallILi55EfPKPfEEv13rocblas_fill_17rocblas_diagonal_T1_iil
		.amdhsa_group_segment_fixed_size 444
		.amdhsa_private_segment_fixed_size 224
		.amdhsa_kernarg_size 32
		.amdhsa_user_sgpr_count 8
		.amdhsa_user_sgpr_private_segment_buffer 1
		.amdhsa_user_sgpr_dispatch_ptr 0
		.amdhsa_user_sgpr_queue_ptr 0
		.amdhsa_user_sgpr_kernarg_segment_ptr 1
		.amdhsa_user_sgpr_dispatch_id 0
		.amdhsa_user_sgpr_flat_scratch_init 1
		.amdhsa_user_sgpr_kernarg_preload_length 0
		.amdhsa_user_sgpr_kernarg_preload_offset 0
		.amdhsa_user_sgpr_private_segment_size 0
		.amdhsa_uses_dynamic_stack 0
		.amdhsa_system_sgpr_private_segment_wavefront_offset 1
		.amdhsa_system_sgpr_workgroup_id_x 1
		.amdhsa_system_sgpr_workgroup_id_y 0
		.amdhsa_system_sgpr_workgroup_id_z 0
		.amdhsa_system_sgpr_workgroup_info 0
		.amdhsa_system_vgpr_workitem_id 0
		.amdhsa_next_free_vgpr 164
		.amdhsa_next_free_sgpr 16
		.amdhsa_accum_offset 164
		.amdhsa_reserve_vcc 1
		.amdhsa_reserve_flat_scratch 0
		.amdhsa_float_round_mode_32 0
		.amdhsa_float_round_mode_16_64 0
		.amdhsa_float_denorm_mode_32 3
		.amdhsa_float_denorm_mode_16_64 3
		.amdhsa_dx10_clamp 1
		.amdhsa_ieee_mode 1
		.amdhsa_fp16_overflow 0
		.amdhsa_tg_split 0
		.amdhsa_exception_fp_ieee_invalid_op 0
		.amdhsa_exception_fp_denorm_src 0
		.amdhsa_exception_fp_ieee_div_zero 0
		.amdhsa_exception_fp_ieee_overflow 0
		.amdhsa_exception_fp_ieee_underflow 0
		.amdhsa_exception_fp_ieee_inexact 0
		.amdhsa_exception_int_div_zero 0
	.end_amdhsa_kernel
	.section	.text._ZN9rocsolver6v33100L18trti2_kernel_smallILi55EfPKPfEEv13rocblas_fill_17rocblas_diagonal_T1_iil,"axG",@progbits,_ZN9rocsolver6v33100L18trti2_kernel_smallILi55EfPKPfEEv13rocblas_fill_17rocblas_diagonal_T1_iil,comdat
.Lfunc_end118:
	.size	_ZN9rocsolver6v33100L18trti2_kernel_smallILi55EfPKPfEEv13rocblas_fill_17rocblas_diagonal_T1_iil, .Lfunc_end118-_ZN9rocsolver6v33100L18trti2_kernel_smallILi55EfPKPfEEv13rocblas_fill_17rocblas_diagonal_T1_iil
                                        ; -- End function
	.section	.AMDGPU.csdata,"",@progbits
; Kernel info:
; codeLenInByte = 26960
; NumSgprs: 20
; NumVgprs: 164
; NumAgprs: 0
; TotalNumVgprs: 164
; ScratchSize: 224
; MemoryBound: 0
; FloatMode: 240
; IeeeMode: 1
; LDSByteSize: 444 bytes/workgroup (compile time only)
; SGPRBlocks: 2
; VGPRBlocks: 20
; NumSGPRsForWavesPerEU: 20
; NumVGPRsForWavesPerEU: 164
; AccumOffset: 164
; Occupancy: 3
; WaveLimiterHint : 1
; COMPUTE_PGM_RSRC2:SCRATCH_EN: 1
; COMPUTE_PGM_RSRC2:USER_SGPR: 8
; COMPUTE_PGM_RSRC2:TRAP_HANDLER: 0
; COMPUTE_PGM_RSRC2:TGID_X_EN: 1
; COMPUTE_PGM_RSRC2:TGID_Y_EN: 0
; COMPUTE_PGM_RSRC2:TGID_Z_EN: 0
; COMPUTE_PGM_RSRC2:TIDIG_COMP_CNT: 0
; COMPUTE_PGM_RSRC3_GFX90A:ACCUM_OFFSET: 40
; COMPUTE_PGM_RSRC3_GFX90A:TG_SPLIT: 0
	.section	.text._ZN9rocsolver6v33100L18trti2_kernel_smallILi56EfPKPfEEv13rocblas_fill_17rocblas_diagonal_T1_iil,"axG",@progbits,_ZN9rocsolver6v33100L18trti2_kernel_smallILi56EfPKPfEEv13rocblas_fill_17rocblas_diagonal_T1_iil,comdat
	.globl	_ZN9rocsolver6v33100L18trti2_kernel_smallILi56EfPKPfEEv13rocblas_fill_17rocblas_diagonal_T1_iil ; -- Begin function _ZN9rocsolver6v33100L18trti2_kernel_smallILi56EfPKPfEEv13rocblas_fill_17rocblas_diagonal_T1_iil
	.p2align	8
	.type	_ZN9rocsolver6v33100L18trti2_kernel_smallILi56EfPKPfEEv13rocblas_fill_17rocblas_diagonal_T1_iil,@function
_ZN9rocsolver6v33100L18trti2_kernel_smallILi56EfPKPfEEv13rocblas_fill_17rocblas_diagonal_T1_iil: ; @_ZN9rocsolver6v33100L18trti2_kernel_smallILi56EfPKPfEEv13rocblas_fill_17rocblas_diagonal_T1_iil
; %bb.0:
	s_add_u32 s0, s0, s9
	s_addc_u32 s1, s1, 0
	v_cmp_gt_u32_e32 vcc, 56, v0
	s_and_saveexec_b64 s[6:7], vcc
	s_cbranch_execz .LBB119_1092
; %bb.1:
	s_load_dwordx2 s[6:7], s[4:5], 0x10
	s_load_dwordx4 s[12:15], s[4:5], 0x0
	s_ashr_i32 s9, s8, 31
	s_lshl_b64 s[4:5], s[8:9], 3
	s_waitcnt lgkmcnt(0)
	s_ashr_i32 s9, s6, 31
	s_add_u32 s4, s14, s4
	s_addc_u32 s5, s15, s5
	s_load_dwordx2 s[4:5], s[4:5], 0x0
	s_mov_b32 s8, s6
	s_lshl_b64 s[8:9], s[8:9], 2
	s_waitcnt lgkmcnt(0)
	s_add_u32 s4, s4, s8
	s_addc_u32 s5, s5, s9
	s_add_i32 s6, s7, s7
	v_add_u32_e32 v4, s6, v0
	v_ashrrev_i32_e32 v5, 31, v4
	v_lshlrev_b64 v[2:3], 2, v[4:5]
	v_add_u32_e32 v6, s7, v4
	v_mov_b32_e32 v1, s5
	v_add_co_u32_e32 v2, vcc, s4, v2
	v_ashrrev_i32_e32 v7, 31, v6
	v_addc_co_u32_e32 v3, vcc, v1, v3, vcc
	v_lshlrev_b64 v[4:5], 2, v[6:7]
	v_add_u32_e32 v8, s7, v6
	v_add_co_u32_e32 v4, vcc, s4, v4
	v_ashrrev_i32_e32 v9, 31, v8
	v_addc_co_u32_e32 v5, vcc, v1, v5, vcc
	v_lshlrev_b64 v[6:7], 2, v[8:9]
	v_add_u32_e32 v10, s7, v8
	;; [unrolled: 5-line block ×43, first 2 shown]
	v_add_co_u32_e32 v88, vcc, s4, v88
	v_ashrrev_i32_e32 v93, 31, v92
	v_addc_co_u32_e32 v89, vcc, v1, v89, vcc
	v_lshlrev_b64 v[90:91], 2, v[92:93]
	v_add_co_u32_e32 v90, vcc, s4, v90
	v_addc_co_u32_e32 v91, vcc, v1, v91, vcc
	v_lshlrev_b32_e32 v1, 2, v0
	v_add_u32_e32 v94, s7, v92
	v_mov_b32_e32 v92, s5
	v_add_co_u32_e32 v110, vcc, s4, v1
	s_ashr_i32 s9, s7, 31
	s_mov_b32 s8, s7
	v_addc_co_u32_e32 v111, vcc, 0, v92, vcc
	s_lshl_b64 s[8:9], s[8:9], 2
	v_mov_b32_e32 v92, s9
	v_add_co_u32_e32 v112, vcc, s8, v110
	global_load_dword v114, v1, s[4:5]
	v_addc_co_u32_e32 v113, vcc, v111, v92, vcc
	global_load_dword v115, v[112:113], off
	global_load_dword v116, v[2:3], off
	;; [unrolled: 1-line block ×5, first 2 shown]
	v_ashrrev_i32_e32 v95, 31, v94
	v_lshlrev_b64 v[92:93], 2, v[94:95]
	v_mov_b32_e32 v96, s5
	v_add_co_u32_e32 v92, vcc, s4, v92
	v_addc_co_u32_e32 v93, vcc, v96, v93, vcc
	v_add_u32_e32 v96, s7, v94
	v_ashrrev_i32_e32 v97, 31, v96
	v_lshlrev_b64 v[94:95], 2, v[96:97]
	v_mov_b32_e32 v98, s5
	v_add_co_u32_e32 v94, vcc, s4, v94
	v_addc_co_u32_e32 v95, vcc, v98, v95, vcc
	v_add_u32_e32 v98, s7, v96
	;; [unrolled: 6-line block ×7, first 2 shown]
	v_ashrrev_i32_e32 v109, 31, v108
	v_lshlrev_b64 v[106:107], 2, v[108:109]
	v_add_u32_e32 v108, s7, v108
	v_mov_b32_e32 v120, s5
	v_add_co_u32_e32 v106, vcc, s4, v106
	v_ashrrev_i32_e32 v109, 31, v108
	v_addc_co_u32_e32 v107, vcc, v120, v107, vcc
	v_lshlrev_b64 v[108:109], 2, v[108:109]
	v_add_co_u32_e32 v108, vcc, s4, v108
	v_addc_co_u32_e32 v109, vcc, v120, v109, vcc
	global_load_dword v120, v[108:109], off
	s_cmpk_lg_i32 s13, 0x84
	s_cselect_b64 s[8:9], -1, 0
	s_cmpk_eq_i32 s13, 0x84
	s_waitcnt vmcnt(6)
	buffer_store_dword v114, off, s[0:3], 0
	global_load_dword v114, v[10:11], off
	s_nop 0
	global_load_dword v121, v[12:13], off
	global_load_dword v122, v[14:15], off
	s_waitcnt vmcnt(9)
	buffer_store_dword v115, off, s[0:3], 0 offset:4
	s_waitcnt vmcnt(9)
	buffer_store_dword v116, off, s[0:3], 0 offset:8
	global_load_dword v115, v[16:17], off
	s_nop 0
	global_load_dword v116, v[22:23], off
	global_load_dword v123, v[24:25], off
	global_load_dword v124, v[26:27], off
	global_load_dword v125, v[28:29], off
	global_load_dword v126, v[30:31], off
	global_load_dword v127, v[20:21], off
	global_load_dword v128, v[18:19], off
	global_load_dword v129, v[32:33], off
	global_load_dword v130, v[34:35], off
	global_load_dword v131, v[36:37], off
	global_load_dword v132, v[46:47], off
	global_load_dword v133, v[44:45], off
	global_load_dword v134, v[42:43], off
	global_load_dword v135, v[40:41], off
	global_load_dword v136, v[38:39], off
	global_load_dword v137, v[48:49], off
	global_load_dword v138, v[62:63], off
	global_load_dword v139, v[60:61], off
	global_load_dword v140, v[58:59], off
	global_load_dword v141, v[56:57], off
	global_load_dword v142, v[54:55], off
	global_load_dword v143, v[52:53], off
	global_load_dword v144, v[50:51], off
	global_load_dword v145, v[64:65], off
	global_load_dword v146, v[78:79], off
	global_load_dword v147, v[76:77], off
	global_load_dword v148, v[74:75], off
	global_load_dword v149, v[72:73], off
	global_load_dword v150, v[70:71], off
	global_load_dword v151, v[68:69], off
	global_load_dword v152, v[66:67], off
	global_load_dword v153, v[80:81], off
	global_load_dword v154, v[94:95], off
	global_load_dword v155, v[92:93], off
	global_load_dword v156, v[90:91], off
	global_load_dword v157, v[88:89], off
	global_load_dword v158, v[86:87], off
	global_load_dword v159, v[84:85], off
	global_load_dword v160, v[82:83], off
	s_waitcnt vmcnt(49)
	buffer_store_dword v117, off, s[0:3], 0 offset:12
	s_waitcnt vmcnt(49)
	buffer_store_dword v118, off, s[0:3], 0 offset:16
	;; [unrolled: 2-line block ×3, first 2 shown]
	global_load_dword v117, v[96:97], off
	global_load_dword v118, v[106:107], off
	s_nop 0
	global_load_dword v119, v[102:103], off
	global_load_dword v161, v[100:101], off
	;; [unrolled: 1-line block ×4, first 2 shown]
	s_waitcnt vmcnt(53)
	buffer_store_dword v114, off, s[0:3], 0 offset:24
	s_waitcnt vmcnt(53)
	buffer_store_dword v121, off, s[0:3], 0 offset:28
	;; [unrolled: 2-line block ×6, first 2 shown]
	buffer_store_dword v116, off, s[0:3], 0 offset:48
	buffer_store_dword v123, off, s[0:3], 0 offset:52
	;; [unrolled: 1-line block ×5, first 2 shown]
	s_waitcnt vmcnt(51)
	buffer_store_dword v129, off, s[0:3], 0 offset:68
	s_waitcnt vmcnt(51)
	buffer_store_dword v130, off, s[0:3], 0 offset:72
	;; [unrolled: 2-line block ×5, first 2 shown]
	buffer_store_dword v133, off, s[0:3], 0 offset:92
	buffer_store_dword v134, off, s[0:3], 0 offset:88
	s_waitcnt vmcnt(50)
	buffer_store_dword v137, off, s[0:3], 0 offset:100
	buffer_store_dword v132, off, s[0:3], 0 offset:96
	s_waitcnt vmcnt(46)
	buffer_store_dword v143, off, s[0:3], 0 offset:108
	s_waitcnt vmcnt(46)
	buffer_store_dword v144, off, s[0:3], 0 offset:104
	buffer_store_dword v141, off, s[0:3], 0 offset:116
	buffer_store_dword v142, off, s[0:3], 0 offset:112
	buffer_store_dword v139, off, s[0:3], 0 offset:124
	buffer_store_dword v140, off, s[0:3], 0 offset:120
	s_waitcnt vmcnt(50)
	buffer_store_dword v145, off, s[0:3], 0 offset:132
	buffer_store_dword v138, off, s[0:3], 0 offset:128
	s_waitcnt vmcnt(46)
	buffer_store_dword v151, off, s[0:3], 0 offset:140
	s_waitcnt vmcnt(46)
	buffer_store_dword v152, off, s[0:3], 0 offset:136
	buffer_store_dword v149, off, s[0:3], 0 offset:148
	buffer_store_dword v150, off, s[0:3], 0 offset:144
	;; [unrolled: 11-line block ×3, first 2 shown]
	buffer_store_dword v155, off, s[0:3], 0 offset:188
	buffer_store_dword v156, off, s[0:3], 0 offset:184
	s_waitcnt vmcnt(47)
	buffer_store_dword v117, off, s[0:3], 0 offset:196
	buffer_store_dword v154, off, s[0:3], 0 offset:192
	s_waitcnt vmcnt(46)
	buffer_store_dword v161, off, s[0:3], 0 offset:204
	s_waitcnt vmcnt(46)
	;; [unrolled: 2-line block ×3, first 2 shown]
	buffer_store_dword v163, off, s[0:3], 0 offset:212
	buffer_store_dword v119, off, s[0:3], 0 offset:208
	;; [unrolled: 1-line block ×4, first 2 shown]
	v_mov_b32_e32 v141, 0
	v_mov_b32_e32 v114, -1.0
	s_cbranch_scc1 .LBB119_3
; %bb.2:
	v_lshl_add_u32 v114, v0, 2, v141
	buffer_load_dword v115, v114, s[0:3], 0 offen
	s_waitcnt vmcnt(0)
	v_div_scale_f32 v116, s[4:5], v115, v115, 1.0
	v_rcp_f32_e32 v117, v116
	v_div_scale_f32 v118, vcc, 1.0, v115, 1.0
	v_fma_f32 v119, -v116, v117, 1.0
	v_fmac_f32_e32 v117, v119, v117
	v_mul_f32_e32 v119, v118, v117
	v_fma_f32 v120, -v116, v119, v118
	v_fmac_f32_e32 v119, v120, v117
	v_fma_f32 v116, -v116, v119, v118
	v_div_fmas_f32 v116, v116, v117, v119
	v_div_fixup_f32 v115, v116, v115, 1.0
	buffer_store_dword v115, v114, s[0:3], 0 offen
	v_xor_b32_e32 v114, 0x80000000, v115
.LBB119_3:
	ds_write_b32 v1, v114
	s_cmpk_eq_i32 s12, 0x79
	v_add_u32_e32 v114, 0xe0, v1
	v_add_u32_e32 v115, 0, v1
	s_mov_b64 s[4:5], -1
	s_cbranch_scc1 .LBB119_547
; %bb.4:
	buffer_load_dword v116, off, s[0:3], 0 offset:216
	v_cmp_eq_u32_e64 s[4:5], 55, v0
	s_waitcnt vmcnt(0)
	ds_write_b32 v114, v116
	s_waitcnt lgkmcnt(0)
	; wave barrier
	s_waitcnt lgkmcnt(0)
	s_and_saveexec_b64 s[6:7], s[4:5]
	s_cbranch_execz .LBB119_10
; %bb.5:
	s_and_b64 vcc, exec, s[8:9]
	s_cbranch_vccz .LBB119_7
; %bb.6:
	buffer_load_dword v116, v115, s[0:3], 0 offen
	ds_read_b32 v117, v114
	s_waitcnt vmcnt(0) lgkmcnt(0)
	v_mul_f32_e32 v116, v116, v117
	s_cbranch_execz .LBB119_8
	s_branch .LBB119_9
.LBB119_7:
                                        ; implicit-def: $vgpr116
.LBB119_8:
	ds_read_b32 v116, v114
.LBB119_9:
	v_mov_b32_e32 v117, 0
	ds_read_b32 v117, v117 offset:216
	s_waitcnt lgkmcnt(0)
	v_mul_f32_e32 v116, v116, v117
	buffer_store_dword v116, off, s[0:3], 0 offset:216
.LBB119_10:
	s_or_b64 exec, exec, s[6:7]
	buffer_load_dword v142, off, s[0:3], 0 offset:212
	v_or_b32_e32 v116, 8, v141
	v_add_u32_e32 v117, 16, v141
	v_add_u32_e32 v118, 24, v141
	;; [unrolled: 1-line block ×25, first 2 shown]
	v_cmp_lt_u32_e64 s[6:7], 53, v0
	s_waitcnt vmcnt(0)
	ds_write_b32 v114, v142
	s_waitcnt lgkmcnt(0)
	; wave barrier
	s_waitcnt lgkmcnt(0)
	s_and_saveexec_b64 s[10:11], s[6:7]
	s_cbranch_execz .LBB119_16
; %bb.11:
	s_andn2_b64 vcc, exec, s[8:9]
	s_cbranch_vccnz .LBB119_13
; %bb.12:
	buffer_load_dword v142, v115, s[0:3], 0 offen
	ds_read_b32 v143, v114
	s_waitcnt vmcnt(0) lgkmcnt(0)
	v_mul_f32_e32 v142, v142, v143
	s_cbranch_execz .LBB119_14
	s_branch .LBB119_15
.LBB119_13:
                                        ; implicit-def: $vgpr142
.LBB119_14:
	ds_read_b32 v142, v114
.LBB119_15:
	buffer_load_dword v143, off, s[0:3], 0 offset:216
	v_mov_b32_e32 v144, 0
	ds_read2_b32 v[144:145], v144 offset0:53 offset1:110
	s_waitcnt vmcnt(0) lgkmcnt(0)
	v_fma_f32 v143, v143, v145, v142
	v_cndmask_b32_e64 v142, v142, v143, s[4:5]
	v_mul_f32_e32 v142, v142, v144
	buffer_store_dword v142, off, s[0:3], 0 offset:212
.LBB119_16:
	s_or_b64 exec, exec, s[10:11]
	buffer_load_dword v142, off, s[0:3], 0 offset:208
	v_cmp_lt_u32_e64 s[4:5], 52, v0
	s_waitcnt vmcnt(0)
	ds_write_b32 v114, v142
	s_waitcnt lgkmcnt(0)
	; wave barrier
	s_waitcnt lgkmcnt(0)
	s_and_saveexec_b64 s[10:11], s[4:5]
	s_cbranch_execz .LBB119_26
; %bb.17:
	s_andn2_b64 vcc, exec, s[8:9]
	s_cbranch_vccnz .LBB119_19
; %bb.18:
	buffer_load_dword v142, v115, s[0:3], 0 offen
	ds_read_b32 v143, v114
	s_waitcnt vmcnt(0) lgkmcnt(0)
	v_mul_f32_e32 v142, v142, v143
	s_cbranch_execz .LBB119_20
	s_branch .LBB119_21
.LBB119_19:
                                        ; implicit-def: $vgpr142
.LBB119_20:
	ds_read_b32 v142, v114
.LBB119_21:
	s_and_saveexec_b64 s[12:13], s[6:7]
	s_cbranch_execz .LBB119_25
; %bb.22:
	v_mov_b32_e32 v143, 0
	v_add_u32_e32 v143, 0xd4, v143
	v_subrev_u32_e32 v144, 53, v0
	s_movk_i32 s14, 0x1b4
	s_mov_b64 s[6:7], 0
.LBB119_23:                             ; =>This Inner Loop Header: Depth=1
	buffer_load_dword v145, v143, s[0:3], 0 offen
	v_mov_b32_e32 v146, s14
	ds_read_b32 v146, v146
	v_add_u32_e32 v144, -1, v144
	s_add_i32 s14, s14, 4
	v_cmp_eq_u32_e32 vcc, 0, v144
	v_add_u32_e32 v143, 4, v143
	s_or_b64 s[6:7], vcc, s[6:7]
	s_waitcnt vmcnt(0) lgkmcnt(0)
	v_fmac_f32_e32 v142, v145, v146
	s_andn2_b64 exec, exec, s[6:7]
	s_cbranch_execnz .LBB119_23
; %bb.24:
	s_or_b64 exec, exec, s[6:7]
.LBB119_25:
	s_or_b64 exec, exec, s[12:13]
	v_mov_b32_e32 v143, 0
	ds_read_b32 v143, v143 offset:208
	s_waitcnt lgkmcnt(0)
	v_mul_f32_e32 v142, v142, v143
	buffer_store_dword v142, off, s[0:3], 0 offset:208
.LBB119_26:
	s_or_b64 exec, exec, s[10:11]
	buffer_load_dword v142, off, s[0:3], 0 offset:204
	v_cmp_lt_u32_e64 s[6:7], 51, v0
	s_waitcnt vmcnt(0)
	ds_write_b32 v114, v142
	s_waitcnt lgkmcnt(0)
	; wave barrier
	s_waitcnt lgkmcnt(0)
	s_and_saveexec_b64 s[10:11], s[6:7]
	s_cbranch_execz .LBB119_36
; %bb.27:
	s_andn2_b64 vcc, exec, s[8:9]
	s_cbranch_vccnz .LBB119_29
; %bb.28:
	buffer_load_dword v142, v115, s[0:3], 0 offen
	ds_read_b32 v143, v114
	s_waitcnt vmcnt(0) lgkmcnt(0)
	v_mul_f32_e32 v142, v142, v143
	s_cbranch_execz .LBB119_30
	s_branch .LBB119_31
.LBB119_29:
                                        ; implicit-def: $vgpr142
.LBB119_30:
	ds_read_b32 v142, v114
.LBB119_31:
	s_and_saveexec_b64 s[12:13], s[4:5]
	s_cbranch_execz .LBB119_35
; %bb.32:
	v_subrev_u32_e32 v143, 52, v0
	s_movk_i32 s14, 0x1b0
	s_mov_b64 s[4:5], 0
.LBB119_33:                             ; =>This Inner Loop Header: Depth=1
	buffer_load_dword v144, v141, s[0:3], 0 offen
	v_mov_b32_e32 v145, s14
	ds_read_b32 v145, v145
	v_add_u32_e32 v143, -1, v143
	s_add_i32 s14, s14, 4
	v_cmp_eq_u32_e32 vcc, 0, v143
	v_add_u32_e32 v141, 4, v141
	s_or_b64 s[4:5], vcc, s[4:5]
	s_waitcnt vmcnt(0) lgkmcnt(0)
	v_fmac_f32_e32 v142, v144, v145
	s_andn2_b64 exec, exec, s[4:5]
	s_cbranch_execnz .LBB119_33
; %bb.34:
	s_or_b64 exec, exec, s[4:5]
.LBB119_35:
	s_or_b64 exec, exec, s[12:13]
	v_mov_b32_e32 v141, 0
	ds_read_b32 v141, v141 offset:204
	s_waitcnt lgkmcnt(0)
	v_mul_f32_e32 v141, v142, v141
	buffer_store_dword v141, off, s[0:3], 0 offset:204
.LBB119_36:
	s_or_b64 exec, exec, s[10:11]
	buffer_load_dword v141, off, s[0:3], 0 offset:200
	v_cmp_lt_u32_e64 s[4:5], 50, v0
	s_waitcnt vmcnt(0)
	ds_write_b32 v114, v141
	s_waitcnt lgkmcnt(0)
	; wave barrier
	s_waitcnt lgkmcnt(0)
	s_and_saveexec_b64 s[10:11], s[4:5]
	s_cbranch_execz .LBB119_46
; %bb.37:
	s_andn2_b64 vcc, exec, s[8:9]
	s_cbranch_vccnz .LBB119_39
; %bb.38:
	buffer_load_dword v141, v115, s[0:3], 0 offen
	ds_read_b32 v142, v114
	s_waitcnt vmcnt(0) lgkmcnt(0)
	v_mul_f32_e32 v141, v141, v142
	s_cbranch_execz .LBB119_40
	s_branch .LBB119_41
.LBB119_39:
                                        ; implicit-def: $vgpr141
.LBB119_40:
	ds_read_b32 v141, v114
.LBB119_41:
	s_and_saveexec_b64 s[12:13], s[6:7]
	s_cbranch_execz .LBB119_45
; %bb.42:
	v_mov_b32_e32 v142, 0
	v_add_u32_e32 v142, 0xcc, v142
	v_subrev_u32_e32 v143, 51, v0
	s_movk_i32 s14, 0x1ac
	s_mov_b64 s[6:7], 0
.LBB119_43:                             ; =>This Inner Loop Header: Depth=1
	buffer_load_dword v144, v142, s[0:3], 0 offen
	v_mov_b32_e32 v145, s14
	ds_read_b32 v145, v145
	v_add_u32_e32 v143, -1, v143
	s_add_i32 s14, s14, 4
	v_cmp_eq_u32_e32 vcc, 0, v143
	v_add_u32_e32 v142, 4, v142
	s_or_b64 s[6:7], vcc, s[6:7]
	s_waitcnt vmcnt(0) lgkmcnt(0)
	v_fmac_f32_e32 v141, v144, v145
	s_andn2_b64 exec, exec, s[6:7]
	s_cbranch_execnz .LBB119_43
; %bb.44:
	s_or_b64 exec, exec, s[6:7]
.LBB119_45:
	s_or_b64 exec, exec, s[12:13]
	v_mov_b32_e32 v142, 0
	ds_read_b32 v142, v142 offset:200
	s_waitcnt lgkmcnt(0)
	v_mul_f32_e32 v141, v141, v142
	buffer_store_dword v141, off, s[0:3], 0 offset:200
.LBB119_46:
	s_or_b64 exec, exec, s[10:11]
	buffer_load_dword v141, off, s[0:3], 0 offset:196
	v_cmp_lt_u32_e64 s[6:7], 49, v0
	s_waitcnt vmcnt(0)
	ds_write_b32 v114, v141
	s_waitcnt lgkmcnt(0)
	; wave barrier
	s_waitcnt lgkmcnt(0)
	s_and_saveexec_b64 s[10:11], s[6:7]
	s_cbranch_execz .LBB119_56
; %bb.47:
	s_andn2_b64 vcc, exec, s[8:9]
	s_cbranch_vccnz .LBB119_49
; %bb.48:
	buffer_load_dword v141, v115, s[0:3], 0 offen
	ds_read_b32 v142, v114
	s_waitcnt vmcnt(0) lgkmcnt(0)
	v_mul_f32_e32 v141, v141, v142
	s_cbranch_execz .LBB119_50
	s_branch .LBB119_51
.LBB119_49:
                                        ; implicit-def: $vgpr141
.LBB119_50:
	ds_read_b32 v141, v114
.LBB119_51:
	s_and_saveexec_b64 s[12:13], s[4:5]
	s_cbranch_execz .LBB119_55
; %bb.52:
	v_subrev_u32_e32 v142, 50, v0
	s_movk_i32 s14, 0x1a8
	s_mov_b64 s[4:5], 0
.LBB119_53:                             ; =>This Inner Loop Header: Depth=1
	buffer_load_dword v143, v140, s[0:3], 0 offen
	v_mov_b32_e32 v144, s14
	ds_read_b32 v144, v144
	v_add_u32_e32 v142, -1, v142
	s_add_i32 s14, s14, 4
	v_cmp_eq_u32_e32 vcc, 0, v142
	v_add_u32_e32 v140, 4, v140
	s_or_b64 s[4:5], vcc, s[4:5]
	s_waitcnt vmcnt(0) lgkmcnt(0)
	v_fmac_f32_e32 v141, v143, v144
	s_andn2_b64 exec, exec, s[4:5]
	s_cbranch_execnz .LBB119_53
; %bb.54:
	s_or_b64 exec, exec, s[4:5]
.LBB119_55:
	s_or_b64 exec, exec, s[12:13]
	v_mov_b32_e32 v140, 0
	ds_read_b32 v140, v140 offset:196
	s_waitcnt lgkmcnt(0)
	v_mul_f32_e32 v140, v141, v140
	buffer_store_dword v140, off, s[0:3], 0 offset:196
.LBB119_56:
	s_or_b64 exec, exec, s[10:11]
	buffer_load_dword v140, off, s[0:3], 0 offset:192
	v_cmp_lt_u32_e64 s[4:5], 48, v0
	s_waitcnt vmcnt(0)
	ds_write_b32 v114, v140
	s_waitcnt lgkmcnt(0)
	; wave barrier
	s_waitcnt lgkmcnt(0)
	s_and_saveexec_b64 s[10:11], s[4:5]
	s_cbranch_execz .LBB119_66
; %bb.57:
	s_andn2_b64 vcc, exec, s[8:9]
	s_cbranch_vccnz .LBB119_59
; %bb.58:
	buffer_load_dword v140, v115, s[0:3], 0 offen
	ds_read_b32 v141, v114
	s_waitcnt vmcnt(0) lgkmcnt(0)
	v_mul_f32_e32 v140, v140, v141
	s_cbranch_execz .LBB119_60
	s_branch .LBB119_61
.LBB119_59:
                                        ; implicit-def: $vgpr140
.LBB119_60:
	ds_read_b32 v140, v114
.LBB119_61:
	s_and_saveexec_b64 s[12:13], s[6:7]
	s_cbranch_execz .LBB119_65
; %bb.62:
	v_mov_b32_e32 v141, 0
	v_add_u32_e32 v141, 0xc4, v141
	v_subrev_u32_e32 v142, 49, v0
	s_movk_i32 s14, 0x1a4
	s_mov_b64 s[6:7], 0
.LBB119_63:                             ; =>This Inner Loop Header: Depth=1
	buffer_load_dword v143, v141, s[0:3], 0 offen
	v_mov_b32_e32 v144, s14
	ds_read_b32 v144, v144
	v_add_u32_e32 v142, -1, v142
	s_add_i32 s14, s14, 4
	v_cmp_eq_u32_e32 vcc, 0, v142
	v_add_u32_e32 v141, 4, v141
	s_or_b64 s[6:7], vcc, s[6:7]
	s_waitcnt vmcnt(0) lgkmcnt(0)
	v_fmac_f32_e32 v140, v143, v144
	s_andn2_b64 exec, exec, s[6:7]
	s_cbranch_execnz .LBB119_63
; %bb.64:
	s_or_b64 exec, exec, s[6:7]
.LBB119_65:
	s_or_b64 exec, exec, s[12:13]
	v_mov_b32_e32 v141, 0
	ds_read_b32 v141, v141 offset:192
	s_waitcnt lgkmcnt(0)
	v_mul_f32_e32 v140, v140, v141
	buffer_store_dword v140, off, s[0:3], 0 offset:192
.LBB119_66:
	s_or_b64 exec, exec, s[10:11]
	buffer_load_dword v140, off, s[0:3], 0 offset:188
	v_cmp_lt_u32_e64 s[6:7], 47, v0
	s_waitcnt vmcnt(0)
	ds_write_b32 v114, v140
	s_waitcnt lgkmcnt(0)
	; wave barrier
	s_waitcnt lgkmcnt(0)
	s_and_saveexec_b64 s[10:11], s[6:7]
	s_cbranch_execz .LBB119_76
; %bb.67:
	s_andn2_b64 vcc, exec, s[8:9]
	s_cbranch_vccnz .LBB119_69
; %bb.68:
	buffer_load_dword v140, v115, s[0:3], 0 offen
	ds_read_b32 v141, v114
	s_waitcnt vmcnt(0) lgkmcnt(0)
	v_mul_f32_e32 v140, v140, v141
	s_cbranch_execz .LBB119_70
	s_branch .LBB119_71
.LBB119_69:
                                        ; implicit-def: $vgpr140
.LBB119_70:
	ds_read_b32 v140, v114
.LBB119_71:
	s_and_saveexec_b64 s[12:13], s[4:5]
	s_cbranch_execz .LBB119_75
; %bb.72:
	v_subrev_u32_e32 v141, 48, v0
	s_movk_i32 s14, 0x1a0
	s_mov_b64 s[4:5], 0
.LBB119_73:                             ; =>This Inner Loop Header: Depth=1
	buffer_load_dword v142, v139, s[0:3], 0 offen
	v_mov_b32_e32 v143, s14
	ds_read_b32 v143, v143
	v_add_u32_e32 v141, -1, v141
	s_add_i32 s14, s14, 4
	v_cmp_eq_u32_e32 vcc, 0, v141
	v_add_u32_e32 v139, 4, v139
	s_or_b64 s[4:5], vcc, s[4:5]
	s_waitcnt vmcnt(0) lgkmcnt(0)
	v_fmac_f32_e32 v140, v142, v143
	s_andn2_b64 exec, exec, s[4:5]
	s_cbranch_execnz .LBB119_73
; %bb.74:
	s_or_b64 exec, exec, s[4:5]
.LBB119_75:
	s_or_b64 exec, exec, s[12:13]
	v_mov_b32_e32 v139, 0
	ds_read_b32 v139, v139 offset:188
	s_waitcnt lgkmcnt(0)
	v_mul_f32_e32 v139, v140, v139
	buffer_store_dword v139, off, s[0:3], 0 offset:188
.LBB119_76:
	s_or_b64 exec, exec, s[10:11]
	buffer_load_dword v139, off, s[0:3], 0 offset:184
	v_cmp_lt_u32_e64 s[4:5], 46, v0
	s_waitcnt vmcnt(0)
	ds_write_b32 v114, v139
	s_waitcnt lgkmcnt(0)
	; wave barrier
	s_waitcnt lgkmcnt(0)
	s_and_saveexec_b64 s[10:11], s[4:5]
	s_cbranch_execz .LBB119_86
; %bb.77:
	s_andn2_b64 vcc, exec, s[8:9]
	s_cbranch_vccnz .LBB119_79
; %bb.78:
	buffer_load_dword v139, v115, s[0:3], 0 offen
	ds_read_b32 v140, v114
	s_waitcnt vmcnt(0) lgkmcnt(0)
	v_mul_f32_e32 v139, v139, v140
	s_cbranch_execz .LBB119_80
	s_branch .LBB119_81
.LBB119_79:
                                        ; implicit-def: $vgpr139
.LBB119_80:
	ds_read_b32 v139, v114
.LBB119_81:
	s_and_saveexec_b64 s[12:13], s[6:7]
	s_cbranch_execz .LBB119_85
; %bb.82:
	v_mov_b32_e32 v140, 0
	v_add_u32_e32 v140, 0xbc, v140
	v_subrev_u32_e32 v141, 47, v0
	s_movk_i32 s14, 0x19c
	s_mov_b64 s[6:7], 0
.LBB119_83:                             ; =>This Inner Loop Header: Depth=1
	buffer_load_dword v142, v140, s[0:3], 0 offen
	v_mov_b32_e32 v143, s14
	ds_read_b32 v143, v143
	v_add_u32_e32 v141, -1, v141
	s_add_i32 s14, s14, 4
	v_cmp_eq_u32_e32 vcc, 0, v141
	v_add_u32_e32 v140, 4, v140
	s_or_b64 s[6:7], vcc, s[6:7]
	s_waitcnt vmcnt(0) lgkmcnt(0)
	v_fmac_f32_e32 v139, v142, v143
	s_andn2_b64 exec, exec, s[6:7]
	s_cbranch_execnz .LBB119_83
; %bb.84:
	s_or_b64 exec, exec, s[6:7]
.LBB119_85:
	s_or_b64 exec, exec, s[12:13]
	v_mov_b32_e32 v140, 0
	ds_read_b32 v140, v140 offset:184
	s_waitcnt lgkmcnt(0)
	v_mul_f32_e32 v139, v139, v140
	buffer_store_dword v139, off, s[0:3], 0 offset:184
.LBB119_86:
	s_or_b64 exec, exec, s[10:11]
	buffer_load_dword v139, off, s[0:3], 0 offset:180
	v_cmp_lt_u32_e64 s[6:7], 45, v0
	s_waitcnt vmcnt(0)
	ds_write_b32 v114, v139
	s_waitcnt lgkmcnt(0)
	; wave barrier
	s_waitcnt lgkmcnt(0)
	s_and_saveexec_b64 s[10:11], s[6:7]
	s_cbranch_execz .LBB119_96
; %bb.87:
	s_andn2_b64 vcc, exec, s[8:9]
	s_cbranch_vccnz .LBB119_89
; %bb.88:
	buffer_load_dword v139, v115, s[0:3], 0 offen
	ds_read_b32 v140, v114
	s_waitcnt vmcnt(0) lgkmcnt(0)
	v_mul_f32_e32 v139, v139, v140
	s_cbranch_execz .LBB119_90
	s_branch .LBB119_91
.LBB119_89:
                                        ; implicit-def: $vgpr139
.LBB119_90:
	ds_read_b32 v139, v114
.LBB119_91:
	s_and_saveexec_b64 s[12:13], s[4:5]
	s_cbranch_execz .LBB119_95
; %bb.92:
	v_subrev_u32_e32 v140, 46, v0
	s_movk_i32 s14, 0x198
	s_mov_b64 s[4:5], 0
.LBB119_93:                             ; =>This Inner Loop Header: Depth=1
	buffer_load_dword v141, v138, s[0:3], 0 offen
	v_mov_b32_e32 v142, s14
	ds_read_b32 v142, v142
	v_add_u32_e32 v140, -1, v140
	s_add_i32 s14, s14, 4
	v_cmp_eq_u32_e32 vcc, 0, v140
	v_add_u32_e32 v138, 4, v138
	s_or_b64 s[4:5], vcc, s[4:5]
	s_waitcnt vmcnt(0) lgkmcnt(0)
	v_fmac_f32_e32 v139, v141, v142
	s_andn2_b64 exec, exec, s[4:5]
	s_cbranch_execnz .LBB119_93
; %bb.94:
	s_or_b64 exec, exec, s[4:5]
.LBB119_95:
	s_or_b64 exec, exec, s[12:13]
	v_mov_b32_e32 v138, 0
	ds_read_b32 v138, v138 offset:180
	s_waitcnt lgkmcnt(0)
	v_mul_f32_e32 v138, v139, v138
	buffer_store_dword v138, off, s[0:3], 0 offset:180
.LBB119_96:
	s_or_b64 exec, exec, s[10:11]
	buffer_load_dword v138, off, s[0:3], 0 offset:176
	v_cmp_lt_u32_e64 s[4:5], 44, v0
	s_waitcnt vmcnt(0)
	ds_write_b32 v114, v138
	s_waitcnt lgkmcnt(0)
	; wave barrier
	s_waitcnt lgkmcnt(0)
	s_and_saveexec_b64 s[10:11], s[4:5]
	s_cbranch_execz .LBB119_106
; %bb.97:
	s_andn2_b64 vcc, exec, s[8:9]
	s_cbranch_vccnz .LBB119_99
; %bb.98:
	buffer_load_dword v138, v115, s[0:3], 0 offen
	ds_read_b32 v139, v114
	s_waitcnt vmcnt(0) lgkmcnt(0)
	v_mul_f32_e32 v138, v138, v139
	s_cbranch_execz .LBB119_100
	s_branch .LBB119_101
.LBB119_99:
                                        ; implicit-def: $vgpr138
.LBB119_100:
	ds_read_b32 v138, v114
.LBB119_101:
	s_and_saveexec_b64 s[12:13], s[6:7]
	s_cbranch_execz .LBB119_105
; %bb.102:
	v_mov_b32_e32 v139, 0
	v_add_u32_e32 v139, 0xb4, v139
	v_subrev_u32_e32 v140, 45, v0
	s_movk_i32 s14, 0x194
	s_mov_b64 s[6:7], 0
.LBB119_103:                            ; =>This Inner Loop Header: Depth=1
	buffer_load_dword v141, v139, s[0:3], 0 offen
	v_mov_b32_e32 v142, s14
	ds_read_b32 v142, v142
	v_add_u32_e32 v140, -1, v140
	s_add_i32 s14, s14, 4
	v_cmp_eq_u32_e32 vcc, 0, v140
	v_add_u32_e32 v139, 4, v139
	s_or_b64 s[6:7], vcc, s[6:7]
	s_waitcnt vmcnt(0) lgkmcnt(0)
	v_fmac_f32_e32 v138, v141, v142
	s_andn2_b64 exec, exec, s[6:7]
	s_cbranch_execnz .LBB119_103
; %bb.104:
	s_or_b64 exec, exec, s[6:7]
.LBB119_105:
	s_or_b64 exec, exec, s[12:13]
	v_mov_b32_e32 v139, 0
	ds_read_b32 v139, v139 offset:176
	s_waitcnt lgkmcnt(0)
	v_mul_f32_e32 v138, v138, v139
	buffer_store_dword v138, off, s[0:3], 0 offset:176
.LBB119_106:
	s_or_b64 exec, exec, s[10:11]
	buffer_load_dword v138, off, s[0:3], 0 offset:172
	v_cmp_lt_u32_e64 s[6:7], 43, v0
	s_waitcnt vmcnt(0)
	ds_write_b32 v114, v138
	s_waitcnt lgkmcnt(0)
	; wave barrier
	s_waitcnt lgkmcnt(0)
	s_and_saveexec_b64 s[10:11], s[6:7]
	s_cbranch_execz .LBB119_116
; %bb.107:
	s_andn2_b64 vcc, exec, s[8:9]
	s_cbranch_vccnz .LBB119_109
; %bb.108:
	buffer_load_dword v138, v115, s[0:3], 0 offen
	ds_read_b32 v139, v114
	s_waitcnt vmcnt(0) lgkmcnt(0)
	v_mul_f32_e32 v138, v138, v139
	s_cbranch_execz .LBB119_110
	s_branch .LBB119_111
.LBB119_109:
                                        ; implicit-def: $vgpr138
.LBB119_110:
	ds_read_b32 v138, v114
.LBB119_111:
	s_and_saveexec_b64 s[12:13], s[4:5]
	s_cbranch_execz .LBB119_115
; %bb.112:
	v_subrev_u32_e32 v139, 44, v0
	s_movk_i32 s14, 0x190
	s_mov_b64 s[4:5], 0
.LBB119_113:                            ; =>This Inner Loop Header: Depth=1
	buffer_load_dword v140, v137, s[0:3], 0 offen
	v_mov_b32_e32 v141, s14
	ds_read_b32 v141, v141
	v_add_u32_e32 v139, -1, v139
	s_add_i32 s14, s14, 4
	v_cmp_eq_u32_e32 vcc, 0, v139
	v_add_u32_e32 v137, 4, v137
	s_or_b64 s[4:5], vcc, s[4:5]
	s_waitcnt vmcnt(0) lgkmcnt(0)
	v_fmac_f32_e32 v138, v140, v141
	s_andn2_b64 exec, exec, s[4:5]
	s_cbranch_execnz .LBB119_113
; %bb.114:
	s_or_b64 exec, exec, s[4:5]
.LBB119_115:
	s_or_b64 exec, exec, s[12:13]
	v_mov_b32_e32 v137, 0
	ds_read_b32 v137, v137 offset:172
	s_waitcnt lgkmcnt(0)
	v_mul_f32_e32 v137, v138, v137
	buffer_store_dword v137, off, s[0:3], 0 offset:172
.LBB119_116:
	s_or_b64 exec, exec, s[10:11]
	buffer_load_dword v137, off, s[0:3], 0 offset:168
	v_cmp_lt_u32_e64 s[4:5], 42, v0
	s_waitcnt vmcnt(0)
	ds_write_b32 v114, v137
	s_waitcnt lgkmcnt(0)
	; wave barrier
	s_waitcnt lgkmcnt(0)
	s_and_saveexec_b64 s[10:11], s[4:5]
	s_cbranch_execz .LBB119_126
; %bb.117:
	s_andn2_b64 vcc, exec, s[8:9]
	s_cbranch_vccnz .LBB119_119
; %bb.118:
	buffer_load_dword v137, v115, s[0:3], 0 offen
	ds_read_b32 v138, v114
	s_waitcnt vmcnt(0) lgkmcnt(0)
	v_mul_f32_e32 v137, v137, v138
	s_cbranch_execz .LBB119_120
	s_branch .LBB119_121
.LBB119_119:
                                        ; implicit-def: $vgpr137
.LBB119_120:
	ds_read_b32 v137, v114
.LBB119_121:
	s_and_saveexec_b64 s[12:13], s[6:7]
	s_cbranch_execz .LBB119_125
; %bb.122:
	v_mov_b32_e32 v138, 0
	v_add_u32_e32 v138, 0xac, v138
	v_subrev_u32_e32 v139, 43, v0
	s_movk_i32 s14, 0x18c
	s_mov_b64 s[6:7], 0
.LBB119_123:                            ; =>This Inner Loop Header: Depth=1
	buffer_load_dword v140, v138, s[0:3], 0 offen
	v_mov_b32_e32 v141, s14
	ds_read_b32 v141, v141
	v_add_u32_e32 v139, -1, v139
	s_add_i32 s14, s14, 4
	v_cmp_eq_u32_e32 vcc, 0, v139
	v_add_u32_e32 v138, 4, v138
	s_or_b64 s[6:7], vcc, s[6:7]
	s_waitcnt vmcnt(0) lgkmcnt(0)
	v_fmac_f32_e32 v137, v140, v141
	s_andn2_b64 exec, exec, s[6:7]
	s_cbranch_execnz .LBB119_123
; %bb.124:
	s_or_b64 exec, exec, s[6:7]
.LBB119_125:
	s_or_b64 exec, exec, s[12:13]
	v_mov_b32_e32 v138, 0
	ds_read_b32 v138, v138 offset:168
	s_waitcnt lgkmcnt(0)
	v_mul_f32_e32 v137, v137, v138
	buffer_store_dword v137, off, s[0:3], 0 offset:168
.LBB119_126:
	s_or_b64 exec, exec, s[10:11]
	buffer_load_dword v137, off, s[0:3], 0 offset:164
	v_cmp_lt_u32_e64 s[6:7], 41, v0
	s_waitcnt vmcnt(0)
	ds_write_b32 v114, v137
	s_waitcnt lgkmcnt(0)
	; wave barrier
	s_waitcnt lgkmcnt(0)
	s_and_saveexec_b64 s[10:11], s[6:7]
	s_cbranch_execz .LBB119_136
; %bb.127:
	s_andn2_b64 vcc, exec, s[8:9]
	s_cbranch_vccnz .LBB119_129
; %bb.128:
	buffer_load_dword v137, v115, s[0:3], 0 offen
	ds_read_b32 v138, v114
	s_waitcnt vmcnt(0) lgkmcnt(0)
	v_mul_f32_e32 v137, v137, v138
	s_cbranch_execz .LBB119_130
	s_branch .LBB119_131
.LBB119_129:
                                        ; implicit-def: $vgpr137
.LBB119_130:
	ds_read_b32 v137, v114
.LBB119_131:
	s_and_saveexec_b64 s[12:13], s[4:5]
	s_cbranch_execz .LBB119_135
; %bb.132:
	v_subrev_u32_e32 v138, 42, v0
	s_movk_i32 s14, 0x188
	s_mov_b64 s[4:5], 0
.LBB119_133:                            ; =>This Inner Loop Header: Depth=1
	buffer_load_dword v139, v136, s[0:3], 0 offen
	v_mov_b32_e32 v140, s14
	ds_read_b32 v140, v140
	v_add_u32_e32 v138, -1, v138
	s_add_i32 s14, s14, 4
	v_cmp_eq_u32_e32 vcc, 0, v138
	v_add_u32_e32 v136, 4, v136
	s_or_b64 s[4:5], vcc, s[4:5]
	s_waitcnt vmcnt(0) lgkmcnt(0)
	v_fmac_f32_e32 v137, v139, v140
	s_andn2_b64 exec, exec, s[4:5]
	s_cbranch_execnz .LBB119_133
; %bb.134:
	s_or_b64 exec, exec, s[4:5]
.LBB119_135:
	s_or_b64 exec, exec, s[12:13]
	v_mov_b32_e32 v136, 0
	ds_read_b32 v136, v136 offset:164
	s_waitcnt lgkmcnt(0)
	v_mul_f32_e32 v136, v137, v136
	buffer_store_dword v136, off, s[0:3], 0 offset:164
.LBB119_136:
	s_or_b64 exec, exec, s[10:11]
	buffer_load_dword v136, off, s[0:3], 0 offset:160
	v_cmp_lt_u32_e64 s[4:5], 40, v0
	s_waitcnt vmcnt(0)
	ds_write_b32 v114, v136
	s_waitcnt lgkmcnt(0)
	; wave barrier
	s_waitcnt lgkmcnt(0)
	s_and_saveexec_b64 s[10:11], s[4:5]
	s_cbranch_execz .LBB119_146
; %bb.137:
	s_andn2_b64 vcc, exec, s[8:9]
	s_cbranch_vccnz .LBB119_139
; %bb.138:
	buffer_load_dword v136, v115, s[0:3], 0 offen
	ds_read_b32 v137, v114
	s_waitcnt vmcnt(0) lgkmcnt(0)
	v_mul_f32_e32 v136, v136, v137
	s_cbranch_execz .LBB119_140
	s_branch .LBB119_141
.LBB119_139:
                                        ; implicit-def: $vgpr136
.LBB119_140:
	ds_read_b32 v136, v114
.LBB119_141:
	s_and_saveexec_b64 s[12:13], s[6:7]
	s_cbranch_execz .LBB119_145
; %bb.142:
	v_mov_b32_e32 v137, 0
	v_add_u32_e32 v137, 0xa4, v137
	v_subrev_u32_e32 v138, 41, v0
	s_movk_i32 s14, 0x184
	s_mov_b64 s[6:7], 0
.LBB119_143:                            ; =>This Inner Loop Header: Depth=1
	buffer_load_dword v139, v137, s[0:3], 0 offen
	v_mov_b32_e32 v140, s14
	ds_read_b32 v140, v140
	v_add_u32_e32 v138, -1, v138
	s_add_i32 s14, s14, 4
	v_cmp_eq_u32_e32 vcc, 0, v138
	v_add_u32_e32 v137, 4, v137
	s_or_b64 s[6:7], vcc, s[6:7]
	s_waitcnt vmcnt(0) lgkmcnt(0)
	v_fmac_f32_e32 v136, v139, v140
	s_andn2_b64 exec, exec, s[6:7]
	s_cbranch_execnz .LBB119_143
; %bb.144:
	s_or_b64 exec, exec, s[6:7]
.LBB119_145:
	s_or_b64 exec, exec, s[12:13]
	v_mov_b32_e32 v137, 0
	ds_read_b32 v137, v137 offset:160
	s_waitcnt lgkmcnt(0)
	v_mul_f32_e32 v136, v136, v137
	buffer_store_dword v136, off, s[0:3], 0 offset:160
.LBB119_146:
	s_or_b64 exec, exec, s[10:11]
	buffer_load_dword v136, off, s[0:3], 0 offset:156
	v_cmp_lt_u32_e64 s[6:7], 39, v0
	s_waitcnt vmcnt(0)
	ds_write_b32 v114, v136
	s_waitcnt lgkmcnt(0)
	; wave barrier
	s_waitcnt lgkmcnt(0)
	s_and_saveexec_b64 s[10:11], s[6:7]
	s_cbranch_execz .LBB119_156
; %bb.147:
	s_andn2_b64 vcc, exec, s[8:9]
	s_cbranch_vccnz .LBB119_149
; %bb.148:
	buffer_load_dword v136, v115, s[0:3], 0 offen
	ds_read_b32 v137, v114
	s_waitcnt vmcnt(0) lgkmcnt(0)
	v_mul_f32_e32 v136, v136, v137
	s_cbranch_execz .LBB119_150
	s_branch .LBB119_151
.LBB119_149:
                                        ; implicit-def: $vgpr136
.LBB119_150:
	ds_read_b32 v136, v114
.LBB119_151:
	s_and_saveexec_b64 s[12:13], s[4:5]
	s_cbranch_execz .LBB119_155
; %bb.152:
	v_subrev_u32_e32 v137, 40, v0
	s_movk_i32 s14, 0x180
	s_mov_b64 s[4:5], 0
.LBB119_153:                            ; =>This Inner Loop Header: Depth=1
	buffer_load_dword v138, v135, s[0:3], 0 offen
	v_mov_b32_e32 v139, s14
	ds_read_b32 v139, v139
	v_add_u32_e32 v137, -1, v137
	s_add_i32 s14, s14, 4
	v_cmp_eq_u32_e32 vcc, 0, v137
	v_add_u32_e32 v135, 4, v135
	s_or_b64 s[4:5], vcc, s[4:5]
	s_waitcnt vmcnt(0) lgkmcnt(0)
	v_fmac_f32_e32 v136, v138, v139
	s_andn2_b64 exec, exec, s[4:5]
	s_cbranch_execnz .LBB119_153
; %bb.154:
	s_or_b64 exec, exec, s[4:5]
.LBB119_155:
	s_or_b64 exec, exec, s[12:13]
	v_mov_b32_e32 v135, 0
	ds_read_b32 v135, v135 offset:156
	s_waitcnt lgkmcnt(0)
	v_mul_f32_e32 v135, v136, v135
	buffer_store_dword v135, off, s[0:3], 0 offset:156
.LBB119_156:
	s_or_b64 exec, exec, s[10:11]
	buffer_load_dword v135, off, s[0:3], 0 offset:152
	v_cmp_lt_u32_e64 s[4:5], 38, v0
	s_waitcnt vmcnt(0)
	ds_write_b32 v114, v135
	s_waitcnt lgkmcnt(0)
	; wave barrier
	s_waitcnt lgkmcnt(0)
	s_and_saveexec_b64 s[10:11], s[4:5]
	s_cbranch_execz .LBB119_166
; %bb.157:
	s_andn2_b64 vcc, exec, s[8:9]
	s_cbranch_vccnz .LBB119_159
; %bb.158:
	buffer_load_dword v135, v115, s[0:3], 0 offen
	ds_read_b32 v136, v114
	s_waitcnt vmcnt(0) lgkmcnt(0)
	v_mul_f32_e32 v135, v135, v136
	s_cbranch_execz .LBB119_160
	s_branch .LBB119_161
.LBB119_159:
                                        ; implicit-def: $vgpr135
.LBB119_160:
	ds_read_b32 v135, v114
.LBB119_161:
	s_and_saveexec_b64 s[12:13], s[6:7]
	s_cbranch_execz .LBB119_165
; %bb.162:
	v_mov_b32_e32 v136, 0
	v_add_u32_e32 v136, 0x9c, v136
	v_subrev_u32_e32 v137, 39, v0
	s_movk_i32 s14, 0x17c
	s_mov_b64 s[6:7], 0
.LBB119_163:                            ; =>This Inner Loop Header: Depth=1
	buffer_load_dword v138, v136, s[0:3], 0 offen
	v_mov_b32_e32 v139, s14
	ds_read_b32 v139, v139
	v_add_u32_e32 v137, -1, v137
	s_add_i32 s14, s14, 4
	v_cmp_eq_u32_e32 vcc, 0, v137
	v_add_u32_e32 v136, 4, v136
	s_or_b64 s[6:7], vcc, s[6:7]
	s_waitcnt vmcnt(0) lgkmcnt(0)
	v_fmac_f32_e32 v135, v138, v139
	s_andn2_b64 exec, exec, s[6:7]
	s_cbranch_execnz .LBB119_163
; %bb.164:
	s_or_b64 exec, exec, s[6:7]
.LBB119_165:
	s_or_b64 exec, exec, s[12:13]
	v_mov_b32_e32 v136, 0
	ds_read_b32 v136, v136 offset:152
	s_waitcnt lgkmcnt(0)
	v_mul_f32_e32 v135, v135, v136
	buffer_store_dword v135, off, s[0:3], 0 offset:152
.LBB119_166:
	s_or_b64 exec, exec, s[10:11]
	buffer_load_dword v135, off, s[0:3], 0 offset:148
	v_cmp_lt_u32_e64 s[6:7], 37, v0
	s_waitcnt vmcnt(0)
	ds_write_b32 v114, v135
	s_waitcnt lgkmcnt(0)
	; wave barrier
	s_waitcnt lgkmcnt(0)
	s_and_saveexec_b64 s[10:11], s[6:7]
	s_cbranch_execz .LBB119_176
; %bb.167:
	s_andn2_b64 vcc, exec, s[8:9]
	s_cbranch_vccnz .LBB119_169
; %bb.168:
	buffer_load_dword v135, v115, s[0:3], 0 offen
	ds_read_b32 v136, v114
	s_waitcnt vmcnt(0) lgkmcnt(0)
	v_mul_f32_e32 v135, v135, v136
	s_cbranch_execz .LBB119_170
	s_branch .LBB119_171
.LBB119_169:
                                        ; implicit-def: $vgpr135
.LBB119_170:
	ds_read_b32 v135, v114
.LBB119_171:
	s_and_saveexec_b64 s[12:13], s[4:5]
	s_cbranch_execz .LBB119_175
; %bb.172:
	v_subrev_u32_e32 v136, 38, v0
	s_movk_i32 s14, 0x178
	s_mov_b64 s[4:5], 0
.LBB119_173:                            ; =>This Inner Loop Header: Depth=1
	buffer_load_dword v137, v134, s[0:3], 0 offen
	v_mov_b32_e32 v138, s14
	ds_read_b32 v138, v138
	v_add_u32_e32 v136, -1, v136
	s_add_i32 s14, s14, 4
	v_cmp_eq_u32_e32 vcc, 0, v136
	v_add_u32_e32 v134, 4, v134
	s_or_b64 s[4:5], vcc, s[4:5]
	s_waitcnt vmcnt(0) lgkmcnt(0)
	v_fmac_f32_e32 v135, v137, v138
	s_andn2_b64 exec, exec, s[4:5]
	s_cbranch_execnz .LBB119_173
; %bb.174:
	s_or_b64 exec, exec, s[4:5]
.LBB119_175:
	s_or_b64 exec, exec, s[12:13]
	v_mov_b32_e32 v134, 0
	ds_read_b32 v134, v134 offset:148
	s_waitcnt lgkmcnt(0)
	v_mul_f32_e32 v134, v135, v134
	buffer_store_dword v134, off, s[0:3], 0 offset:148
.LBB119_176:
	s_or_b64 exec, exec, s[10:11]
	buffer_load_dword v134, off, s[0:3], 0 offset:144
	v_cmp_lt_u32_e64 s[4:5], 36, v0
	s_waitcnt vmcnt(0)
	ds_write_b32 v114, v134
	s_waitcnt lgkmcnt(0)
	; wave barrier
	s_waitcnt lgkmcnt(0)
	s_and_saveexec_b64 s[10:11], s[4:5]
	s_cbranch_execz .LBB119_186
; %bb.177:
	s_andn2_b64 vcc, exec, s[8:9]
	s_cbranch_vccnz .LBB119_179
; %bb.178:
	buffer_load_dword v134, v115, s[0:3], 0 offen
	ds_read_b32 v135, v114
	s_waitcnt vmcnt(0) lgkmcnt(0)
	v_mul_f32_e32 v134, v134, v135
	s_cbranch_execz .LBB119_180
	s_branch .LBB119_181
.LBB119_179:
                                        ; implicit-def: $vgpr134
.LBB119_180:
	ds_read_b32 v134, v114
.LBB119_181:
	s_and_saveexec_b64 s[12:13], s[6:7]
	s_cbranch_execz .LBB119_185
; %bb.182:
	v_mov_b32_e32 v135, 0
	v_add_u32_e32 v135, 0x94, v135
	v_subrev_u32_e32 v136, 37, v0
	s_movk_i32 s14, 0x174
	s_mov_b64 s[6:7], 0
.LBB119_183:                            ; =>This Inner Loop Header: Depth=1
	buffer_load_dword v137, v135, s[0:3], 0 offen
	v_mov_b32_e32 v138, s14
	ds_read_b32 v138, v138
	v_add_u32_e32 v136, -1, v136
	s_add_i32 s14, s14, 4
	v_cmp_eq_u32_e32 vcc, 0, v136
	v_add_u32_e32 v135, 4, v135
	s_or_b64 s[6:7], vcc, s[6:7]
	s_waitcnt vmcnt(0) lgkmcnt(0)
	v_fmac_f32_e32 v134, v137, v138
	s_andn2_b64 exec, exec, s[6:7]
	s_cbranch_execnz .LBB119_183
; %bb.184:
	s_or_b64 exec, exec, s[6:7]
.LBB119_185:
	s_or_b64 exec, exec, s[12:13]
	v_mov_b32_e32 v135, 0
	ds_read_b32 v135, v135 offset:144
	s_waitcnt lgkmcnt(0)
	v_mul_f32_e32 v134, v134, v135
	buffer_store_dword v134, off, s[0:3], 0 offset:144
.LBB119_186:
	s_or_b64 exec, exec, s[10:11]
	buffer_load_dword v134, off, s[0:3], 0 offset:140
	v_cmp_lt_u32_e64 s[6:7], 35, v0
	s_waitcnt vmcnt(0)
	ds_write_b32 v114, v134
	s_waitcnt lgkmcnt(0)
	; wave barrier
	s_waitcnt lgkmcnt(0)
	s_and_saveexec_b64 s[10:11], s[6:7]
	s_cbranch_execz .LBB119_196
; %bb.187:
	s_andn2_b64 vcc, exec, s[8:9]
	s_cbranch_vccnz .LBB119_189
; %bb.188:
	buffer_load_dword v134, v115, s[0:3], 0 offen
	ds_read_b32 v135, v114
	s_waitcnt vmcnt(0) lgkmcnt(0)
	v_mul_f32_e32 v134, v134, v135
	s_cbranch_execz .LBB119_190
	s_branch .LBB119_191
.LBB119_189:
                                        ; implicit-def: $vgpr134
.LBB119_190:
	ds_read_b32 v134, v114
.LBB119_191:
	s_and_saveexec_b64 s[12:13], s[4:5]
	s_cbranch_execz .LBB119_195
; %bb.192:
	v_subrev_u32_e32 v135, 36, v0
	s_movk_i32 s14, 0x170
	s_mov_b64 s[4:5], 0
.LBB119_193:                            ; =>This Inner Loop Header: Depth=1
	buffer_load_dword v136, v133, s[0:3], 0 offen
	v_mov_b32_e32 v137, s14
	ds_read_b32 v137, v137
	v_add_u32_e32 v135, -1, v135
	s_add_i32 s14, s14, 4
	v_cmp_eq_u32_e32 vcc, 0, v135
	v_add_u32_e32 v133, 4, v133
	s_or_b64 s[4:5], vcc, s[4:5]
	s_waitcnt vmcnt(0) lgkmcnt(0)
	v_fmac_f32_e32 v134, v136, v137
	s_andn2_b64 exec, exec, s[4:5]
	s_cbranch_execnz .LBB119_193
; %bb.194:
	s_or_b64 exec, exec, s[4:5]
.LBB119_195:
	s_or_b64 exec, exec, s[12:13]
	v_mov_b32_e32 v133, 0
	ds_read_b32 v133, v133 offset:140
	s_waitcnt lgkmcnt(0)
	v_mul_f32_e32 v133, v134, v133
	buffer_store_dword v133, off, s[0:3], 0 offset:140
.LBB119_196:
	s_or_b64 exec, exec, s[10:11]
	buffer_load_dword v133, off, s[0:3], 0 offset:136
	v_cmp_lt_u32_e64 s[4:5], 34, v0
	s_waitcnt vmcnt(0)
	ds_write_b32 v114, v133
	s_waitcnt lgkmcnt(0)
	; wave barrier
	s_waitcnt lgkmcnt(0)
	s_and_saveexec_b64 s[10:11], s[4:5]
	s_cbranch_execz .LBB119_206
; %bb.197:
	s_andn2_b64 vcc, exec, s[8:9]
	s_cbranch_vccnz .LBB119_199
; %bb.198:
	buffer_load_dword v133, v115, s[0:3], 0 offen
	ds_read_b32 v134, v114
	s_waitcnt vmcnt(0) lgkmcnt(0)
	v_mul_f32_e32 v133, v133, v134
	s_cbranch_execz .LBB119_200
	s_branch .LBB119_201
.LBB119_199:
                                        ; implicit-def: $vgpr133
.LBB119_200:
	ds_read_b32 v133, v114
.LBB119_201:
	s_and_saveexec_b64 s[12:13], s[6:7]
	s_cbranch_execz .LBB119_205
; %bb.202:
	v_mov_b32_e32 v134, 0
	v_add_u32_e32 v134, 0x8c, v134
	v_subrev_u32_e32 v135, 35, v0
	s_movk_i32 s14, 0x16c
	s_mov_b64 s[6:7], 0
.LBB119_203:                            ; =>This Inner Loop Header: Depth=1
	buffer_load_dword v136, v134, s[0:3], 0 offen
	v_mov_b32_e32 v137, s14
	ds_read_b32 v137, v137
	v_add_u32_e32 v135, -1, v135
	s_add_i32 s14, s14, 4
	v_cmp_eq_u32_e32 vcc, 0, v135
	v_add_u32_e32 v134, 4, v134
	s_or_b64 s[6:7], vcc, s[6:7]
	s_waitcnt vmcnt(0) lgkmcnt(0)
	v_fmac_f32_e32 v133, v136, v137
	s_andn2_b64 exec, exec, s[6:7]
	s_cbranch_execnz .LBB119_203
; %bb.204:
	s_or_b64 exec, exec, s[6:7]
.LBB119_205:
	s_or_b64 exec, exec, s[12:13]
	v_mov_b32_e32 v134, 0
	ds_read_b32 v134, v134 offset:136
	s_waitcnt lgkmcnt(0)
	v_mul_f32_e32 v133, v133, v134
	buffer_store_dword v133, off, s[0:3], 0 offset:136
.LBB119_206:
	s_or_b64 exec, exec, s[10:11]
	buffer_load_dword v133, off, s[0:3], 0 offset:132
	v_cmp_lt_u32_e64 s[6:7], 33, v0
	s_waitcnt vmcnt(0)
	ds_write_b32 v114, v133
	s_waitcnt lgkmcnt(0)
	; wave barrier
	s_waitcnt lgkmcnt(0)
	s_and_saveexec_b64 s[10:11], s[6:7]
	s_cbranch_execz .LBB119_216
; %bb.207:
	s_andn2_b64 vcc, exec, s[8:9]
	s_cbranch_vccnz .LBB119_209
; %bb.208:
	buffer_load_dword v133, v115, s[0:3], 0 offen
	ds_read_b32 v134, v114
	s_waitcnt vmcnt(0) lgkmcnt(0)
	v_mul_f32_e32 v133, v133, v134
	s_cbranch_execz .LBB119_210
	s_branch .LBB119_211
.LBB119_209:
                                        ; implicit-def: $vgpr133
.LBB119_210:
	ds_read_b32 v133, v114
.LBB119_211:
	s_and_saveexec_b64 s[12:13], s[4:5]
	s_cbranch_execz .LBB119_215
; %bb.212:
	v_subrev_u32_e32 v134, 34, v0
	s_movk_i32 s14, 0x168
	s_mov_b64 s[4:5], 0
.LBB119_213:                            ; =>This Inner Loop Header: Depth=1
	buffer_load_dword v135, v132, s[0:3], 0 offen
	v_mov_b32_e32 v136, s14
	ds_read_b32 v136, v136
	v_add_u32_e32 v134, -1, v134
	s_add_i32 s14, s14, 4
	v_cmp_eq_u32_e32 vcc, 0, v134
	v_add_u32_e32 v132, 4, v132
	s_or_b64 s[4:5], vcc, s[4:5]
	s_waitcnt vmcnt(0) lgkmcnt(0)
	v_fmac_f32_e32 v133, v135, v136
	s_andn2_b64 exec, exec, s[4:5]
	s_cbranch_execnz .LBB119_213
; %bb.214:
	s_or_b64 exec, exec, s[4:5]
.LBB119_215:
	s_or_b64 exec, exec, s[12:13]
	v_mov_b32_e32 v132, 0
	ds_read_b32 v132, v132 offset:132
	s_waitcnt lgkmcnt(0)
	v_mul_f32_e32 v132, v133, v132
	buffer_store_dword v132, off, s[0:3], 0 offset:132
.LBB119_216:
	s_or_b64 exec, exec, s[10:11]
	buffer_load_dword v132, off, s[0:3], 0 offset:128
	v_cmp_lt_u32_e64 s[4:5], 32, v0
	s_waitcnt vmcnt(0)
	ds_write_b32 v114, v132
	s_waitcnt lgkmcnt(0)
	; wave barrier
	s_waitcnt lgkmcnt(0)
	s_and_saveexec_b64 s[10:11], s[4:5]
	s_cbranch_execz .LBB119_226
; %bb.217:
	s_andn2_b64 vcc, exec, s[8:9]
	s_cbranch_vccnz .LBB119_219
; %bb.218:
	buffer_load_dword v132, v115, s[0:3], 0 offen
	ds_read_b32 v133, v114
	s_waitcnt vmcnt(0) lgkmcnt(0)
	v_mul_f32_e32 v132, v132, v133
	s_cbranch_execz .LBB119_220
	s_branch .LBB119_221
.LBB119_219:
                                        ; implicit-def: $vgpr132
.LBB119_220:
	ds_read_b32 v132, v114
.LBB119_221:
	s_and_saveexec_b64 s[12:13], s[6:7]
	s_cbranch_execz .LBB119_225
; %bb.222:
	v_mov_b32_e32 v133, 0
	v_add_u32_e32 v133, 0x84, v133
	v_subrev_u32_e32 v134, 33, v0
	s_movk_i32 s14, 0x164
	s_mov_b64 s[6:7], 0
.LBB119_223:                            ; =>This Inner Loop Header: Depth=1
	buffer_load_dword v135, v133, s[0:3], 0 offen
	v_mov_b32_e32 v136, s14
	ds_read_b32 v136, v136
	v_add_u32_e32 v134, -1, v134
	s_add_i32 s14, s14, 4
	v_cmp_eq_u32_e32 vcc, 0, v134
	v_add_u32_e32 v133, 4, v133
	s_or_b64 s[6:7], vcc, s[6:7]
	s_waitcnt vmcnt(0) lgkmcnt(0)
	v_fmac_f32_e32 v132, v135, v136
	s_andn2_b64 exec, exec, s[6:7]
	s_cbranch_execnz .LBB119_223
; %bb.224:
	s_or_b64 exec, exec, s[6:7]
.LBB119_225:
	s_or_b64 exec, exec, s[12:13]
	v_mov_b32_e32 v133, 0
	ds_read_b32 v133, v133 offset:128
	s_waitcnt lgkmcnt(0)
	v_mul_f32_e32 v132, v132, v133
	buffer_store_dword v132, off, s[0:3], 0 offset:128
.LBB119_226:
	s_or_b64 exec, exec, s[10:11]
	buffer_load_dword v132, off, s[0:3], 0 offset:124
	v_cmp_lt_u32_e64 s[6:7], 31, v0
	s_waitcnt vmcnt(0)
	ds_write_b32 v114, v132
	s_waitcnt lgkmcnt(0)
	; wave barrier
	s_waitcnt lgkmcnt(0)
	s_and_saveexec_b64 s[10:11], s[6:7]
	s_cbranch_execz .LBB119_236
; %bb.227:
	s_andn2_b64 vcc, exec, s[8:9]
	s_cbranch_vccnz .LBB119_229
; %bb.228:
	buffer_load_dword v132, v115, s[0:3], 0 offen
	ds_read_b32 v133, v114
	s_waitcnt vmcnt(0) lgkmcnt(0)
	v_mul_f32_e32 v132, v132, v133
	s_cbranch_execz .LBB119_230
	s_branch .LBB119_231
.LBB119_229:
                                        ; implicit-def: $vgpr132
.LBB119_230:
	ds_read_b32 v132, v114
.LBB119_231:
	s_and_saveexec_b64 s[12:13], s[4:5]
	s_cbranch_execz .LBB119_235
; %bb.232:
	v_subrev_u32_e32 v133, 32, v0
	s_movk_i32 s14, 0x160
	s_mov_b64 s[4:5], 0
.LBB119_233:                            ; =>This Inner Loop Header: Depth=1
	buffer_load_dword v134, v131, s[0:3], 0 offen
	v_mov_b32_e32 v135, s14
	ds_read_b32 v135, v135
	v_add_u32_e32 v133, -1, v133
	s_add_i32 s14, s14, 4
	v_cmp_eq_u32_e32 vcc, 0, v133
	v_add_u32_e32 v131, 4, v131
	s_or_b64 s[4:5], vcc, s[4:5]
	s_waitcnt vmcnt(0) lgkmcnt(0)
	v_fmac_f32_e32 v132, v134, v135
	s_andn2_b64 exec, exec, s[4:5]
	s_cbranch_execnz .LBB119_233
; %bb.234:
	s_or_b64 exec, exec, s[4:5]
.LBB119_235:
	s_or_b64 exec, exec, s[12:13]
	v_mov_b32_e32 v131, 0
	ds_read_b32 v131, v131 offset:124
	s_waitcnt lgkmcnt(0)
	v_mul_f32_e32 v131, v132, v131
	buffer_store_dword v131, off, s[0:3], 0 offset:124
.LBB119_236:
	s_or_b64 exec, exec, s[10:11]
	buffer_load_dword v131, off, s[0:3], 0 offset:120
	v_cmp_lt_u32_e64 s[4:5], 30, v0
	s_waitcnt vmcnt(0)
	ds_write_b32 v114, v131
	s_waitcnt lgkmcnt(0)
	; wave barrier
	s_waitcnt lgkmcnt(0)
	s_and_saveexec_b64 s[10:11], s[4:5]
	s_cbranch_execz .LBB119_246
; %bb.237:
	s_andn2_b64 vcc, exec, s[8:9]
	s_cbranch_vccnz .LBB119_239
; %bb.238:
	buffer_load_dword v131, v115, s[0:3], 0 offen
	ds_read_b32 v132, v114
	s_waitcnt vmcnt(0) lgkmcnt(0)
	v_mul_f32_e32 v131, v131, v132
	s_cbranch_execz .LBB119_240
	s_branch .LBB119_241
.LBB119_239:
                                        ; implicit-def: $vgpr131
.LBB119_240:
	ds_read_b32 v131, v114
.LBB119_241:
	s_and_saveexec_b64 s[12:13], s[6:7]
	s_cbranch_execz .LBB119_245
; %bb.242:
	v_mov_b32_e32 v132, 0
	v_add_u32_e32 v132, 0x7c, v132
	v_subrev_u32_e32 v133, 31, v0
	s_movk_i32 s14, 0x15c
	s_mov_b64 s[6:7], 0
.LBB119_243:                            ; =>This Inner Loop Header: Depth=1
	buffer_load_dword v134, v132, s[0:3], 0 offen
	v_mov_b32_e32 v135, s14
	ds_read_b32 v135, v135
	v_add_u32_e32 v133, -1, v133
	s_add_i32 s14, s14, 4
	v_cmp_eq_u32_e32 vcc, 0, v133
	v_add_u32_e32 v132, 4, v132
	s_or_b64 s[6:7], vcc, s[6:7]
	s_waitcnt vmcnt(0) lgkmcnt(0)
	v_fmac_f32_e32 v131, v134, v135
	s_andn2_b64 exec, exec, s[6:7]
	s_cbranch_execnz .LBB119_243
; %bb.244:
	s_or_b64 exec, exec, s[6:7]
.LBB119_245:
	s_or_b64 exec, exec, s[12:13]
	v_mov_b32_e32 v132, 0
	ds_read_b32 v132, v132 offset:120
	s_waitcnt lgkmcnt(0)
	v_mul_f32_e32 v131, v131, v132
	buffer_store_dword v131, off, s[0:3], 0 offset:120
.LBB119_246:
	s_or_b64 exec, exec, s[10:11]
	buffer_load_dword v131, off, s[0:3], 0 offset:116
	v_cmp_lt_u32_e64 s[6:7], 29, v0
	s_waitcnt vmcnt(0)
	ds_write_b32 v114, v131
	s_waitcnt lgkmcnt(0)
	; wave barrier
	s_waitcnt lgkmcnt(0)
	s_and_saveexec_b64 s[10:11], s[6:7]
	s_cbranch_execz .LBB119_256
; %bb.247:
	s_andn2_b64 vcc, exec, s[8:9]
	s_cbranch_vccnz .LBB119_249
; %bb.248:
	buffer_load_dword v131, v115, s[0:3], 0 offen
	ds_read_b32 v132, v114
	s_waitcnt vmcnt(0) lgkmcnt(0)
	v_mul_f32_e32 v131, v131, v132
	s_cbranch_execz .LBB119_250
	s_branch .LBB119_251
.LBB119_249:
                                        ; implicit-def: $vgpr131
.LBB119_250:
	ds_read_b32 v131, v114
.LBB119_251:
	s_and_saveexec_b64 s[12:13], s[4:5]
	s_cbranch_execz .LBB119_255
; %bb.252:
	v_subrev_u32_e32 v132, 30, v0
	s_movk_i32 s14, 0x158
	s_mov_b64 s[4:5], 0
.LBB119_253:                            ; =>This Inner Loop Header: Depth=1
	buffer_load_dword v133, v130, s[0:3], 0 offen
	v_mov_b32_e32 v134, s14
	ds_read_b32 v134, v134
	v_add_u32_e32 v132, -1, v132
	s_add_i32 s14, s14, 4
	v_cmp_eq_u32_e32 vcc, 0, v132
	v_add_u32_e32 v130, 4, v130
	s_or_b64 s[4:5], vcc, s[4:5]
	s_waitcnt vmcnt(0) lgkmcnt(0)
	v_fmac_f32_e32 v131, v133, v134
	s_andn2_b64 exec, exec, s[4:5]
	s_cbranch_execnz .LBB119_253
; %bb.254:
	s_or_b64 exec, exec, s[4:5]
.LBB119_255:
	s_or_b64 exec, exec, s[12:13]
	v_mov_b32_e32 v130, 0
	ds_read_b32 v130, v130 offset:116
	s_waitcnt lgkmcnt(0)
	v_mul_f32_e32 v130, v131, v130
	buffer_store_dword v130, off, s[0:3], 0 offset:116
.LBB119_256:
	s_or_b64 exec, exec, s[10:11]
	buffer_load_dword v130, off, s[0:3], 0 offset:112
	v_cmp_lt_u32_e64 s[4:5], 28, v0
	s_waitcnt vmcnt(0)
	ds_write_b32 v114, v130
	s_waitcnt lgkmcnt(0)
	; wave barrier
	s_waitcnt lgkmcnt(0)
	s_and_saveexec_b64 s[10:11], s[4:5]
	s_cbranch_execz .LBB119_266
; %bb.257:
	s_andn2_b64 vcc, exec, s[8:9]
	s_cbranch_vccnz .LBB119_259
; %bb.258:
	buffer_load_dword v130, v115, s[0:3], 0 offen
	ds_read_b32 v131, v114
	s_waitcnt vmcnt(0) lgkmcnt(0)
	v_mul_f32_e32 v130, v130, v131
	s_cbranch_execz .LBB119_260
	s_branch .LBB119_261
.LBB119_259:
                                        ; implicit-def: $vgpr130
.LBB119_260:
	ds_read_b32 v130, v114
.LBB119_261:
	s_and_saveexec_b64 s[12:13], s[6:7]
	s_cbranch_execz .LBB119_265
; %bb.262:
	v_mov_b32_e32 v131, 0
	v_add_u32_e32 v131, 0x74, v131
	v_subrev_u32_e32 v132, 29, v0
	s_movk_i32 s14, 0x154
	s_mov_b64 s[6:7], 0
.LBB119_263:                            ; =>This Inner Loop Header: Depth=1
	buffer_load_dword v133, v131, s[0:3], 0 offen
	v_mov_b32_e32 v134, s14
	ds_read_b32 v134, v134
	v_add_u32_e32 v132, -1, v132
	s_add_i32 s14, s14, 4
	v_cmp_eq_u32_e32 vcc, 0, v132
	v_add_u32_e32 v131, 4, v131
	s_or_b64 s[6:7], vcc, s[6:7]
	s_waitcnt vmcnt(0) lgkmcnt(0)
	v_fmac_f32_e32 v130, v133, v134
	s_andn2_b64 exec, exec, s[6:7]
	s_cbranch_execnz .LBB119_263
; %bb.264:
	s_or_b64 exec, exec, s[6:7]
.LBB119_265:
	s_or_b64 exec, exec, s[12:13]
	v_mov_b32_e32 v131, 0
	ds_read_b32 v131, v131 offset:112
	s_waitcnt lgkmcnt(0)
	v_mul_f32_e32 v130, v130, v131
	buffer_store_dword v130, off, s[0:3], 0 offset:112
.LBB119_266:
	s_or_b64 exec, exec, s[10:11]
	buffer_load_dword v130, off, s[0:3], 0 offset:108
	v_cmp_lt_u32_e64 s[6:7], 27, v0
	s_waitcnt vmcnt(0)
	ds_write_b32 v114, v130
	s_waitcnt lgkmcnt(0)
	; wave barrier
	s_waitcnt lgkmcnt(0)
	s_and_saveexec_b64 s[10:11], s[6:7]
	s_cbranch_execz .LBB119_276
; %bb.267:
	s_andn2_b64 vcc, exec, s[8:9]
	s_cbranch_vccnz .LBB119_269
; %bb.268:
	buffer_load_dword v130, v115, s[0:3], 0 offen
	ds_read_b32 v131, v114
	s_waitcnt vmcnt(0) lgkmcnt(0)
	v_mul_f32_e32 v130, v130, v131
	s_cbranch_execz .LBB119_270
	s_branch .LBB119_271
.LBB119_269:
                                        ; implicit-def: $vgpr130
.LBB119_270:
	ds_read_b32 v130, v114
.LBB119_271:
	s_and_saveexec_b64 s[12:13], s[4:5]
	s_cbranch_execz .LBB119_275
; %bb.272:
	v_subrev_u32_e32 v131, 28, v0
	s_movk_i32 s14, 0x150
	s_mov_b64 s[4:5], 0
.LBB119_273:                            ; =>This Inner Loop Header: Depth=1
	buffer_load_dword v132, v129, s[0:3], 0 offen
	v_mov_b32_e32 v133, s14
	ds_read_b32 v133, v133
	v_add_u32_e32 v131, -1, v131
	s_add_i32 s14, s14, 4
	v_cmp_eq_u32_e32 vcc, 0, v131
	v_add_u32_e32 v129, 4, v129
	s_or_b64 s[4:5], vcc, s[4:5]
	s_waitcnt vmcnt(0) lgkmcnt(0)
	v_fmac_f32_e32 v130, v132, v133
	s_andn2_b64 exec, exec, s[4:5]
	s_cbranch_execnz .LBB119_273
; %bb.274:
	s_or_b64 exec, exec, s[4:5]
.LBB119_275:
	s_or_b64 exec, exec, s[12:13]
	v_mov_b32_e32 v129, 0
	ds_read_b32 v129, v129 offset:108
	s_waitcnt lgkmcnt(0)
	v_mul_f32_e32 v129, v130, v129
	buffer_store_dword v129, off, s[0:3], 0 offset:108
.LBB119_276:
	s_or_b64 exec, exec, s[10:11]
	buffer_load_dword v129, off, s[0:3], 0 offset:104
	v_cmp_lt_u32_e64 s[4:5], 26, v0
	s_waitcnt vmcnt(0)
	ds_write_b32 v114, v129
	s_waitcnt lgkmcnt(0)
	; wave barrier
	s_waitcnt lgkmcnt(0)
	s_and_saveexec_b64 s[10:11], s[4:5]
	s_cbranch_execz .LBB119_286
; %bb.277:
	s_andn2_b64 vcc, exec, s[8:9]
	s_cbranch_vccnz .LBB119_279
; %bb.278:
	buffer_load_dword v129, v115, s[0:3], 0 offen
	ds_read_b32 v130, v114
	s_waitcnt vmcnt(0) lgkmcnt(0)
	v_mul_f32_e32 v129, v129, v130
	s_cbranch_execz .LBB119_280
	s_branch .LBB119_281
.LBB119_279:
                                        ; implicit-def: $vgpr129
.LBB119_280:
	ds_read_b32 v129, v114
.LBB119_281:
	s_and_saveexec_b64 s[12:13], s[6:7]
	s_cbranch_execz .LBB119_285
; %bb.282:
	v_mov_b32_e32 v130, 0
	v_add_u32_e32 v130, 0x6c, v130
	v_subrev_u32_e32 v131, 27, v0
	s_movk_i32 s14, 0x14c
	s_mov_b64 s[6:7], 0
.LBB119_283:                            ; =>This Inner Loop Header: Depth=1
	buffer_load_dword v132, v130, s[0:3], 0 offen
	v_mov_b32_e32 v133, s14
	ds_read_b32 v133, v133
	v_add_u32_e32 v131, -1, v131
	s_add_i32 s14, s14, 4
	v_cmp_eq_u32_e32 vcc, 0, v131
	v_add_u32_e32 v130, 4, v130
	s_or_b64 s[6:7], vcc, s[6:7]
	s_waitcnt vmcnt(0) lgkmcnt(0)
	v_fmac_f32_e32 v129, v132, v133
	s_andn2_b64 exec, exec, s[6:7]
	s_cbranch_execnz .LBB119_283
; %bb.284:
	s_or_b64 exec, exec, s[6:7]
.LBB119_285:
	s_or_b64 exec, exec, s[12:13]
	v_mov_b32_e32 v130, 0
	ds_read_b32 v130, v130 offset:104
	s_waitcnt lgkmcnt(0)
	v_mul_f32_e32 v129, v129, v130
	buffer_store_dword v129, off, s[0:3], 0 offset:104
.LBB119_286:
	s_or_b64 exec, exec, s[10:11]
	buffer_load_dword v129, off, s[0:3], 0 offset:100
	v_cmp_lt_u32_e64 s[6:7], 25, v0
	s_waitcnt vmcnt(0)
	ds_write_b32 v114, v129
	s_waitcnt lgkmcnt(0)
	; wave barrier
	s_waitcnt lgkmcnt(0)
	s_and_saveexec_b64 s[10:11], s[6:7]
	s_cbranch_execz .LBB119_296
; %bb.287:
	s_andn2_b64 vcc, exec, s[8:9]
	s_cbranch_vccnz .LBB119_289
; %bb.288:
	buffer_load_dword v129, v115, s[0:3], 0 offen
	ds_read_b32 v130, v114
	s_waitcnt vmcnt(0) lgkmcnt(0)
	v_mul_f32_e32 v129, v129, v130
	s_cbranch_execz .LBB119_290
	s_branch .LBB119_291
.LBB119_289:
                                        ; implicit-def: $vgpr129
.LBB119_290:
	ds_read_b32 v129, v114
.LBB119_291:
	s_and_saveexec_b64 s[12:13], s[4:5]
	s_cbranch_execz .LBB119_295
; %bb.292:
	v_subrev_u32_e32 v130, 26, v0
	s_movk_i32 s14, 0x148
	s_mov_b64 s[4:5], 0
.LBB119_293:                            ; =>This Inner Loop Header: Depth=1
	buffer_load_dword v131, v128, s[0:3], 0 offen
	v_mov_b32_e32 v132, s14
	ds_read_b32 v132, v132
	v_add_u32_e32 v130, -1, v130
	s_add_i32 s14, s14, 4
	v_cmp_eq_u32_e32 vcc, 0, v130
	v_add_u32_e32 v128, 4, v128
	s_or_b64 s[4:5], vcc, s[4:5]
	s_waitcnt vmcnt(0) lgkmcnt(0)
	v_fmac_f32_e32 v129, v131, v132
	s_andn2_b64 exec, exec, s[4:5]
	s_cbranch_execnz .LBB119_293
; %bb.294:
	s_or_b64 exec, exec, s[4:5]
.LBB119_295:
	s_or_b64 exec, exec, s[12:13]
	v_mov_b32_e32 v128, 0
	ds_read_b32 v128, v128 offset:100
	s_waitcnt lgkmcnt(0)
	v_mul_f32_e32 v128, v129, v128
	buffer_store_dword v128, off, s[0:3], 0 offset:100
.LBB119_296:
	s_or_b64 exec, exec, s[10:11]
	buffer_load_dword v128, off, s[0:3], 0 offset:96
	v_cmp_lt_u32_e64 s[4:5], 24, v0
	s_waitcnt vmcnt(0)
	ds_write_b32 v114, v128
	s_waitcnt lgkmcnt(0)
	; wave barrier
	s_waitcnt lgkmcnt(0)
	s_and_saveexec_b64 s[10:11], s[4:5]
	s_cbranch_execz .LBB119_306
; %bb.297:
	s_andn2_b64 vcc, exec, s[8:9]
	s_cbranch_vccnz .LBB119_299
; %bb.298:
	buffer_load_dword v128, v115, s[0:3], 0 offen
	ds_read_b32 v129, v114
	s_waitcnt vmcnt(0) lgkmcnt(0)
	v_mul_f32_e32 v128, v128, v129
	s_cbranch_execz .LBB119_300
	s_branch .LBB119_301
.LBB119_299:
                                        ; implicit-def: $vgpr128
.LBB119_300:
	ds_read_b32 v128, v114
.LBB119_301:
	s_and_saveexec_b64 s[12:13], s[6:7]
	s_cbranch_execz .LBB119_305
; %bb.302:
	v_mov_b32_e32 v129, 0
	v_add_u32_e32 v129, 0x64, v129
	v_subrev_u32_e32 v130, 25, v0
	s_movk_i32 s14, 0x144
	s_mov_b64 s[6:7], 0
.LBB119_303:                            ; =>This Inner Loop Header: Depth=1
	buffer_load_dword v131, v129, s[0:3], 0 offen
	v_mov_b32_e32 v132, s14
	ds_read_b32 v132, v132
	v_add_u32_e32 v130, -1, v130
	s_add_i32 s14, s14, 4
	v_cmp_eq_u32_e32 vcc, 0, v130
	v_add_u32_e32 v129, 4, v129
	s_or_b64 s[6:7], vcc, s[6:7]
	s_waitcnt vmcnt(0) lgkmcnt(0)
	v_fmac_f32_e32 v128, v131, v132
	s_andn2_b64 exec, exec, s[6:7]
	s_cbranch_execnz .LBB119_303
; %bb.304:
	s_or_b64 exec, exec, s[6:7]
.LBB119_305:
	s_or_b64 exec, exec, s[12:13]
	v_mov_b32_e32 v129, 0
	ds_read_b32 v129, v129 offset:96
	s_waitcnt lgkmcnt(0)
	v_mul_f32_e32 v128, v128, v129
	buffer_store_dword v128, off, s[0:3], 0 offset:96
.LBB119_306:
	s_or_b64 exec, exec, s[10:11]
	buffer_load_dword v128, off, s[0:3], 0 offset:92
	v_cmp_lt_u32_e64 s[6:7], 23, v0
	s_waitcnt vmcnt(0)
	ds_write_b32 v114, v128
	s_waitcnt lgkmcnt(0)
	; wave barrier
	s_waitcnt lgkmcnt(0)
	s_and_saveexec_b64 s[10:11], s[6:7]
	s_cbranch_execz .LBB119_316
; %bb.307:
	s_andn2_b64 vcc, exec, s[8:9]
	s_cbranch_vccnz .LBB119_309
; %bb.308:
	buffer_load_dword v128, v115, s[0:3], 0 offen
	ds_read_b32 v129, v114
	s_waitcnt vmcnt(0) lgkmcnt(0)
	v_mul_f32_e32 v128, v128, v129
	s_cbranch_execz .LBB119_310
	s_branch .LBB119_311
.LBB119_309:
                                        ; implicit-def: $vgpr128
.LBB119_310:
	ds_read_b32 v128, v114
.LBB119_311:
	s_and_saveexec_b64 s[12:13], s[4:5]
	s_cbranch_execz .LBB119_315
; %bb.312:
	v_subrev_u32_e32 v129, 24, v0
	s_movk_i32 s14, 0x140
	s_mov_b64 s[4:5], 0
.LBB119_313:                            ; =>This Inner Loop Header: Depth=1
	buffer_load_dword v130, v127, s[0:3], 0 offen
	v_mov_b32_e32 v131, s14
	ds_read_b32 v131, v131
	v_add_u32_e32 v129, -1, v129
	s_add_i32 s14, s14, 4
	v_cmp_eq_u32_e32 vcc, 0, v129
	v_add_u32_e32 v127, 4, v127
	s_or_b64 s[4:5], vcc, s[4:5]
	s_waitcnt vmcnt(0) lgkmcnt(0)
	v_fmac_f32_e32 v128, v130, v131
	s_andn2_b64 exec, exec, s[4:5]
	s_cbranch_execnz .LBB119_313
; %bb.314:
	s_or_b64 exec, exec, s[4:5]
.LBB119_315:
	s_or_b64 exec, exec, s[12:13]
	v_mov_b32_e32 v127, 0
	ds_read_b32 v127, v127 offset:92
	s_waitcnt lgkmcnt(0)
	v_mul_f32_e32 v127, v128, v127
	buffer_store_dword v127, off, s[0:3], 0 offset:92
.LBB119_316:
	s_or_b64 exec, exec, s[10:11]
	buffer_load_dword v127, off, s[0:3], 0 offset:88
	v_cmp_lt_u32_e64 s[4:5], 22, v0
	s_waitcnt vmcnt(0)
	ds_write_b32 v114, v127
	s_waitcnt lgkmcnt(0)
	; wave barrier
	s_waitcnt lgkmcnt(0)
	s_and_saveexec_b64 s[10:11], s[4:5]
	s_cbranch_execz .LBB119_326
; %bb.317:
	s_andn2_b64 vcc, exec, s[8:9]
	s_cbranch_vccnz .LBB119_319
; %bb.318:
	buffer_load_dword v127, v115, s[0:3], 0 offen
	ds_read_b32 v128, v114
	s_waitcnt vmcnt(0) lgkmcnt(0)
	v_mul_f32_e32 v127, v127, v128
	s_cbranch_execz .LBB119_320
	s_branch .LBB119_321
.LBB119_319:
                                        ; implicit-def: $vgpr127
.LBB119_320:
	ds_read_b32 v127, v114
.LBB119_321:
	s_and_saveexec_b64 s[12:13], s[6:7]
	s_cbranch_execz .LBB119_325
; %bb.322:
	v_mov_b32_e32 v128, 0
	v_add_u32_e32 v128, 0x5c, v128
	v_subrev_u32_e32 v129, 23, v0
	s_movk_i32 s14, 0x13c
	s_mov_b64 s[6:7], 0
.LBB119_323:                            ; =>This Inner Loop Header: Depth=1
	buffer_load_dword v130, v128, s[0:3], 0 offen
	v_mov_b32_e32 v131, s14
	ds_read_b32 v131, v131
	v_add_u32_e32 v129, -1, v129
	s_add_i32 s14, s14, 4
	v_cmp_eq_u32_e32 vcc, 0, v129
	v_add_u32_e32 v128, 4, v128
	s_or_b64 s[6:7], vcc, s[6:7]
	s_waitcnt vmcnt(0) lgkmcnt(0)
	v_fmac_f32_e32 v127, v130, v131
	s_andn2_b64 exec, exec, s[6:7]
	s_cbranch_execnz .LBB119_323
; %bb.324:
	s_or_b64 exec, exec, s[6:7]
.LBB119_325:
	s_or_b64 exec, exec, s[12:13]
	v_mov_b32_e32 v128, 0
	ds_read_b32 v128, v128 offset:88
	s_waitcnt lgkmcnt(0)
	v_mul_f32_e32 v127, v127, v128
	buffer_store_dword v127, off, s[0:3], 0 offset:88
.LBB119_326:
	s_or_b64 exec, exec, s[10:11]
	buffer_load_dword v127, off, s[0:3], 0 offset:84
	v_cmp_lt_u32_e64 s[6:7], 21, v0
	s_waitcnt vmcnt(0)
	ds_write_b32 v114, v127
	s_waitcnt lgkmcnt(0)
	; wave barrier
	s_waitcnt lgkmcnt(0)
	s_and_saveexec_b64 s[10:11], s[6:7]
	s_cbranch_execz .LBB119_336
; %bb.327:
	s_andn2_b64 vcc, exec, s[8:9]
	s_cbranch_vccnz .LBB119_329
; %bb.328:
	buffer_load_dword v127, v115, s[0:3], 0 offen
	ds_read_b32 v128, v114
	s_waitcnt vmcnt(0) lgkmcnt(0)
	v_mul_f32_e32 v127, v127, v128
	s_cbranch_execz .LBB119_330
	s_branch .LBB119_331
.LBB119_329:
                                        ; implicit-def: $vgpr127
.LBB119_330:
	ds_read_b32 v127, v114
.LBB119_331:
	s_and_saveexec_b64 s[12:13], s[4:5]
	s_cbranch_execz .LBB119_335
; %bb.332:
	v_subrev_u32_e32 v128, 22, v0
	s_movk_i32 s14, 0x138
	s_mov_b64 s[4:5], 0
.LBB119_333:                            ; =>This Inner Loop Header: Depth=1
	buffer_load_dword v129, v126, s[0:3], 0 offen
	v_mov_b32_e32 v130, s14
	ds_read_b32 v130, v130
	v_add_u32_e32 v128, -1, v128
	s_add_i32 s14, s14, 4
	v_cmp_eq_u32_e32 vcc, 0, v128
	v_add_u32_e32 v126, 4, v126
	s_or_b64 s[4:5], vcc, s[4:5]
	s_waitcnt vmcnt(0) lgkmcnt(0)
	v_fmac_f32_e32 v127, v129, v130
	s_andn2_b64 exec, exec, s[4:5]
	s_cbranch_execnz .LBB119_333
; %bb.334:
	s_or_b64 exec, exec, s[4:5]
.LBB119_335:
	s_or_b64 exec, exec, s[12:13]
	v_mov_b32_e32 v126, 0
	ds_read_b32 v126, v126 offset:84
	s_waitcnt lgkmcnt(0)
	v_mul_f32_e32 v126, v127, v126
	buffer_store_dword v126, off, s[0:3], 0 offset:84
.LBB119_336:
	s_or_b64 exec, exec, s[10:11]
	buffer_load_dword v126, off, s[0:3], 0 offset:80
	v_cmp_lt_u32_e64 s[4:5], 20, v0
	s_waitcnt vmcnt(0)
	ds_write_b32 v114, v126
	s_waitcnt lgkmcnt(0)
	; wave barrier
	s_waitcnt lgkmcnt(0)
	s_and_saveexec_b64 s[10:11], s[4:5]
	s_cbranch_execz .LBB119_346
; %bb.337:
	s_andn2_b64 vcc, exec, s[8:9]
	s_cbranch_vccnz .LBB119_339
; %bb.338:
	buffer_load_dword v126, v115, s[0:3], 0 offen
	ds_read_b32 v127, v114
	s_waitcnt vmcnt(0) lgkmcnt(0)
	v_mul_f32_e32 v126, v126, v127
	s_cbranch_execz .LBB119_340
	s_branch .LBB119_341
.LBB119_339:
                                        ; implicit-def: $vgpr126
.LBB119_340:
	ds_read_b32 v126, v114
.LBB119_341:
	s_and_saveexec_b64 s[12:13], s[6:7]
	s_cbranch_execz .LBB119_345
; %bb.342:
	v_mov_b32_e32 v127, 0
	v_add_u32_e32 v127, 0x54, v127
	v_subrev_u32_e32 v128, 21, v0
	s_movk_i32 s14, 0x134
	s_mov_b64 s[6:7], 0
.LBB119_343:                            ; =>This Inner Loop Header: Depth=1
	buffer_load_dword v129, v127, s[0:3], 0 offen
	v_mov_b32_e32 v130, s14
	ds_read_b32 v130, v130
	v_add_u32_e32 v128, -1, v128
	s_add_i32 s14, s14, 4
	v_cmp_eq_u32_e32 vcc, 0, v128
	v_add_u32_e32 v127, 4, v127
	s_or_b64 s[6:7], vcc, s[6:7]
	s_waitcnt vmcnt(0) lgkmcnt(0)
	v_fmac_f32_e32 v126, v129, v130
	s_andn2_b64 exec, exec, s[6:7]
	s_cbranch_execnz .LBB119_343
; %bb.344:
	s_or_b64 exec, exec, s[6:7]
.LBB119_345:
	s_or_b64 exec, exec, s[12:13]
	v_mov_b32_e32 v127, 0
	ds_read_b32 v127, v127 offset:80
	s_waitcnt lgkmcnt(0)
	v_mul_f32_e32 v126, v126, v127
	buffer_store_dword v126, off, s[0:3], 0 offset:80
.LBB119_346:
	s_or_b64 exec, exec, s[10:11]
	buffer_load_dword v126, off, s[0:3], 0 offset:76
	v_cmp_lt_u32_e64 s[6:7], 19, v0
	s_waitcnt vmcnt(0)
	ds_write_b32 v114, v126
	s_waitcnt lgkmcnt(0)
	; wave barrier
	s_waitcnt lgkmcnt(0)
	s_and_saveexec_b64 s[10:11], s[6:7]
	s_cbranch_execz .LBB119_356
; %bb.347:
	s_andn2_b64 vcc, exec, s[8:9]
	s_cbranch_vccnz .LBB119_349
; %bb.348:
	buffer_load_dword v126, v115, s[0:3], 0 offen
	ds_read_b32 v127, v114
	s_waitcnt vmcnt(0) lgkmcnt(0)
	v_mul_f32_e32 v126, v126, v127
	s_cbranch_execz .LBB119_350
	s_branch .LBB119_351
.LBB119_349:
                                        ; implicit-def: $vgpr126
.LBB119_350:
	ds_read_b32 v126, v114
.LBB119_351:
	s_and_saveexec_b64 s[12:13], s[4:5]
	s_cbranch_execz .LBB119_355
; %bb.352:
	v_subrev_u32_e32 v127, 20, v0
	s_movk_i32 s14, 0x130
	s_mov_b64 s[4:5], 0
.LBB119_353:                            ; =>This Inner Loop Header: Depth=1
	buffer_load_dword v128, v125, s[0:3], 0 offen
	v_mov_b32_e32 v129, s14
	ds_read_b32 v129, v129
	v_add_u32_e32 v127, -1, v127
	s_add_i32 s14, s14, 4
	v_cmp_eq_u32_e32 vcc, 0, v127
	v_add_u32_e32 v125, 4, v125
	s_or_b64 s[4:5], vcc, s[4:5]
	s_waitcnt vmcnt(0) lgkmcnt(0)
	v_fmac_f32_e32 v126, v128, v129
	s_andn2_b64 exec, exec, s[4:5]
	s_cbranch_execnz .LBB119_353
; %bb.354:
	s_or_b64 exec, exec, s[4:5]
.LBB119_355:
	s_or_b64 exec, exec, s[12:13]
	v_mov_b32_e32 v125, 0
	ds_read_b32 v125, v125 offset:76
	s_waitcnt lgkmcnt(0)
	v_mul_f32_e32 v125, v126, v125
	buffer_store_dword v125, off, s[0:3], 0 offset:76
.LBB119_356:
	s_or_b64 exec, exec, s[10:11]
	buffer_load_dword v125, off, s[0:3], 0 offset:72
	v_cmp_lt_u32_e64 s[4:5], 18, v0
	s_waitcnt vmcnt(0)
	ds_write_b32 v114, v125
	s_waitcnt lgkmcnt(0)
	; wave barrier
	s_waitcnt lgkmcnt(0)
	s_and_saveexec_b64 s[10:11], s[4:5]
	s_cbranch_execz .LBB119_366
; %bb.357:
	s_andn2_b64 vcc, exec, s[8:9]
	s_cbranch_vccnz .LBB119_359
; %bb.358:
	buffer_load_dword v125, v115, s[0:3], 0 offen
	ds_read_b32 v126, v114
	s_waitcnt vmcnt(0) lgkmcnt(0)
	v_mul_f32_e32 v125, v125, v126
	s_cbranch_execz .LBB119_360
	s_branch .LBB119_361
.LBB119_359:
                                        ; implicit-def: $vgpr125
.LBB119_360:
	ds_read_b32 v125, v114
.LBB119_361:
	s_and_saveexec_b64 s[12:13], s[6:7]
	s_cbranch_execz .LBB119_365
; %bb.362:
	v_mov_b32_e32 v126, 0
	v_add_u32_e32 v126, 0x4c, v126
	v_subrev_u32_e32 v127, 19, v0
	s_movk_i32 s14, 0x12c
	s_mov_b64 s[6:7], 0
.LBB119_363:                            ; =>This Inner Loop Header: Depth=1
	buffer_load_dword v128, v126, s[0:3], 0 offen
	v_mov_b32_e32 v129, s14
	ds_read_b32 v129, v129
	v_add_u32_e32 v127, -1, v127
	s_add_i32 s14, s14, 4
	v_cmp_eq_u32_e32 vcc, 0, v127
	v_add_u32_e32 v126, 4, v126
	s_or_b64 s[6:7], vcc, s[6:7]
	s_waitcnt vmcnt(0) lgkmcnt(0)
	v_fmac_f32_e32 v125, v128, v129
	s_andn2_b64 exec, exec, s[6:7]
	s_cbranch_execnz .LBB119_363
; %bb.364:
	s_or_b64 exec, exec, s[6:7]
.LBB119_365:
	s_or_b64 exec, exec, s[12:13]
	v_mov_b32_e32 v126, 0
	ds_read_b32 v126, v126 offset:72
	s_waitcnt lgkmcnt(0)
	v_mul_f32_e32 v125, v125, v126
	buffer_store_dword v125, off, s[0:3], 0 offset:72
.LBB119_366:
	s_or_b64 exec, exec, s[10:11]
	buffer_load_dword v125, off, s[0:3], 0 offset:68
	v_cmp_lt_u32_e64 s[6:7], 17, v0
	s_waitcnt vmcnt(0)
	ds_write_b32 v114, v125
	s_waitcnt lgkmcnt(0)
	; wave barrier
	s_waitcnt lgkmcnt(0)
	s_and_saveexec_b64 s[10:11], s[6:7]
	s_cbranch_execz .LBB119_376
; %bb.367:
	s_andn2_b64 vcc, exec, s[8:9]
	s_cbranch_vccnz .LBB119_369
; %bb.368:
	buffer_load_dword v125, v115, s[0:3], 0 offen
	ds_read_b32 v126, v114
	s_waitcnt vmcnt(0) lgkmcnt(0)
	v_mul_f32_e32 v125, v125, v126
	s_cbranch_execz .LBB119_370
	s_branch .LBB119_371
.LBB119_369:
                                        ; implicit-def: $vgpr125
.LBB119_370:
	ds_read_b32 v125, v114
.LBB119_371:
	s_and_saveexec_b64 s[12:13], s[4:5]
	s_cbranch_execz .LBB119_375
; %bb.372:
	v_subrev_u32_e32 v126, 18, v0
	s_movk_i32 s14, 0x128
	s_mov_b64 s[4:5], 0
.LBB119_373:                            ; =>This Inner Loop Header: Depth=1
	buffer_load_dword v127, v124, s[0:3], 0 offen
	v_mov_b32_e32 v128, s14
	ds_read_b32 v128, v128
	v_add_u32_e32 v126, -1, v126
	s_add_i32 s14, s14, 4
	v_cmp_eq_u32_e32 vcc, 0, v126
	v_add_u32_e32 v124, 4, v124
	s_or_b64 s[4:5], vcc, s[4:5]
	s_waitcnt vmcnt(0) lgkmcnt(0)
	v_fmac_f32_e32 v125, v127, v128
	s_andn2_b64 exec, exec, s[4:5]
	s_cbranch_execnz .LBB119_373
; %bb.374:
	s_or_b64 exec, exec, s[4:5]
.LBB119_375:
	s_or_b64 exec, exec, s[12:13]
	v_mov_b32_e32 v124, 0
	ds_read_b32 v124, v124 offset:68
	s_waitcnt lgkmcnt(0)
	v_mul_f32_e32 v124, v125, v124
	buffer_store_dword v124, off, s[0:3], 0 offset:68
.LBB119_376:
	s_or_b64 exec, exec, s[10:11]
	buffer_load_dword v124, off, s[0:3], 0 offset:64
	v_cmp_lt_u32_e64 s[4:5], 16, v0
	s_waitcnt vmcnt(0)
	ds_write_b32 v114, v124
	s_waitcnt lgkmcnt(0)
	; wave barrier
	s_waitcnt lgkmcnt(0)
	s_and_saveexec_b64 s[10:11], s[4:5]
	s_cbranch_execz .LBB119_386
; %bb.377:
	s_andn2_b64 vcc, exec, s[8:9]
	s_cbranch_vccnz .LBB119_379
; %bb.378:
	buffer_load_dword v124, v115, s[0:3], 0 offen
	ds_read_b32 v125, v114
	s_waitcnt vmcnt(0) lgkmcnt(0)
	v_mul_f32_e32 v124, v124, v125
	s_cbranch_execz .LBB119_380
	s_branch .LBB119_381
.LBB119_379:
                                        ; implicit-def: $vgpr124
.LBB119_380:
	ds_read_b32 v124, v114
.LBB119_381:
	s_and_saveexec_b64 s[12:13], s[6:7]
	s_cbranch_execz .LBB119_385
; %bb.382:
	v_mov_b32_e32 v125, 0
	v_add_u32_e32 v125, 0x44, v125
	v_subrev_u32_e32 v126, 17, v0
	s_movk_i32 s14, 0x124
	s_mov_b64 s[6:7], 0
.LBB119_383:                            ; =>This Inner Loop Header: Depth=1
	buffer_load_dword v127, v125, s[0:3], 0 offen
	v_mov_b32_e32 v128, s14
	ds_read_b32 v128, v128
	v_add_u32_e32 v126, -1, v126
	s_add_i32 s14, s14, 4
	v_cmp_eq_u32_e32 vcc, 0, v126
	v_add_u32_e32 v125, 4, v125
	s_or_b64 s[6:7], vcc, s[6:7]
	s_waitcnt vmcnt(0) lgkmcnt(0)
	v_fmac_f32_e32 v124, v127, v128
	s_andn2_b64 exec, exec, s[6:7]
	s_cbranch_execnz .LBB119_383
; %bb.384:
	s_or_b64 exec, exec, s[6:7]
.LBB119_385:
	s_or_b64 exec, exec, s[12:13]
	v_mov_b32_e32 v125, 0
	ds_read_b32 v125, v125 offset:64
	s_waitcnt lgkmcnt(0)
	v_mul_f32_e32 v124, v124, v125
	buffer_store_dword v124, off, s[0:3], 0 offset:64
.LBB119_386:
	s_or_b64 exec, exec, s[10:11]
	buffer_load_dword v124, off, s[0:3], 0 offset:60
	v_cmp_lt_u32_e64 s[6:7], 15, v0
	s_waitcnt vmcnt(0)
	ds_write_b32 v114, v124
	s_waitcnt lgkmcnt(0)
	; wave barrier
	s_waitcnt lgkmcnt(0)
	s_and_saveexec_b64 s[10:11], s[6:7]
	s_cbranch_execz .LBB119_396
; %bb.387:
	s_andn2_b64 vcc, exec, s[8:9]
	s_cbranch_vccnz .LBB119_389
; %bb.388:
	buffer_load_dword v124, v115, s[0:3], 0 offen
	ds_read_b32 v125, v114
	s_waitcnt vmcnt(0) lgkmcnt(0)
	v_mul_f32_e32 v124, v124, v125
	s_cbranch_execz .LBB119_390
	s_branch .LBB119_391
.LBB119_389:
                                        ; implicit-def: $vgpr124
.LBB119_390:
	ds_read_b32 v124, v114
.LBB119_391:
	s_and_saveexec_b64 s[12:13], s[4:5]
	s_cbranch_execz .LBB119_395
; %bb.392:
	v_add_u32_e32 v125, -16, v0
	s_movk_i32 s14, 0x120
	s_mov_b64 s[4:5], 0
.LBB119_393:                            ; =>This Inner Loop Header: Depth=1
	buffer_load_dword v126, v123, s[0:3], 0 offen
	v_mov_b32_e32 v127, s14
	ds_read_b32 v127, v127
	v_add_u32_e32 v125, -1, v125
	s_add_i32 s14, s14, 4
	v_cmp_eq_u32_e32 vcc, 0, v125
	v_add_u32_e32 v123, 4, v123
	s_or_b64 s[4:5], vcc, s[4:5]
	s_waitcnt vmcnt(0) lgkmcnt(0)
	v_fmac_f32_e32 v124, v126, v127
	s_andn2_b64 exec, exec, s[4:5]
	s_cbranch_execnz .LBB119_393
; %bb.394:
	s_or_b64 exec, exec, s[4:5]
.LBB119_395:
	s_or_b64 exec, exec, s[12:13]
	v_mov_b32_e32 v123, 0
	ds_read_b32 v123, v123 offset:60
	s_waitcnt lgkmcnt(0)
	v_mul_f32_e32 v123, v124, v123
	buffer_store_dword v123, off, s[0:3], 0 offset:60
.LBB119_396:
	s_or_b64 exec, exec, s[10:11]
	buffer_load_dword v123, off, s[0:3], 0 offset:56
	v_cmp_lt_u32_e64 s[4:5], 14, v0
	s_waitcnt vmcnt(0)
	ds_write_b32 v114, v123
	s_waitcnt lgkmcnt(0)
	; wave barrier
	s_waitcnt lgkmcnt(0)
	s_and_saveexec_b64 s[10:11], s[4:5]
	s_cbranch_execz .LBB119_406
; %bb.397:
	s_andn2_b64 vcc, exec, s[8:9]
	s_cbranch_vccnz .LBB119_399
; %bb.398:
	buffer_load_dword v123, v115, s[0:3], 0 offen
	ds_read_b32 v124, v114
	s_waitcnt vmcnt(0) lgkmcnt(0)
	v_mul_f32_e32 v123, v123, v124
	s_cbranch_execz .LBB119_400
	s_branch .LBB119_401
.LBB119_399:
                                        ; implicit-def: $vgpr123
.LBB119_400:
	ds_read_b32 v123, v114
.LBB119_401:
	s_and_saveexec_b64 s[12:13], s[6:7]
	s_cbranch_execz .LBB119_405
; %bb.402:
	v_mov_b32_e32 v124, 0
	v_add_u32_e32 v124, 60, v124
	v_add_u32_e32 v125, -15, v0
	s_movk_i32 s14, 0x11c
	s_mov_b64 s[6:7], 0
.LBB119_403:                            ; =>This Inner Loop Header: Depth=1
	buffer_load_dword v126, v124, s[0:3], 0 offen
	v_mov_b32_e32 v127, s14
	ds_read_b32 v127, v127
	v_add_u32_e32 v125, -1, v125
	s_add_i32 s14, s14, 4
	v_cmp_eq_u32_e32 vcc, 0, v125
	v_add_u32_e32 v124, 4, v124
	s_or_b64 s[6:7], vcc, s[6:7]
	s_waitcnt vmcnt(0) lgkmcnt(0)
	v_fmac_f32_e32 v123, v126, v127
	s_andn2_b64 exec, exec, s[6:7]
	s_cbranch_execnz .LBB119_403
; %bb.404:
	s_or_b64 exec, exec, s[6:7]
.LBB119_405:
	s_or_b64 exec, exec, s[12:13]
	v_mov_b32_e32 v124, 0
	ds_read_b32 v124, v124 offset:56
	s_waitcnt lgkmcnt(0)
	v_mul_f32_e32 v123, v123, v124
	buffer_store_dword v123, off, s[0:3], 0 offset:56
.LBB119_406:
	s_or_b64 exec, exec, s[10:11]
	buffer_load_dword v123, off, s[0:3], 0 offset:52
	v_cmp_lt_u32_e64 s[6:7], 13, v0
	s_waitcnt vmcnt(0)
	ds_write_b32 v114, v123
	s_waitcnt lgkmcnt(0)
	; wave barrier
	s_waitcnt lgkmcnt(0)
	s_and_saveexec_b64 s[10:11], s[6:7]
	s_cbranch_execz .LBB119_416
; %bb.407:
	s_andn2_b64 vcc, exec, s[8:9]
	s_cbranch_vccnz .LBB119_409
; %bb.408:
	buffer_load_dword v123, v115, s[0:3], 0 offen
	ds_read_b32 v124, v114
	s_waitcnt vmcnt(0) lgkmcnt(0)
	v_mul_f32_e32 v123, v123, v124
	s_cbranch_execz .LBB119_410
	s_branch .LBB119_411
.LBB119_409:
                                        ; implicit-def: $vgpr123
.LBB119_410:
	ds_read_b32 v123, v114
.LBB119_411:
	s_and_saveexec_b64 s[12:13], s[4:5]
	s_cbranch_execz .LBB119_415
; %bb.412:
	v_add_u32_e32 v124, -14, v0
	s_movk_i32 s14, 0x118
	s_mov_b64 s[4:5], 0
.LBB119_413:                            ; =>This Inner Loop Header: Depth=1
	buffer_load_dword v125, v122, s[0:3], 0 offen
	v_mov_b32_e32 v126, s14
	ds_read_b32 v126, v126
	v_add_u32_e32 v124, -1, v124
	s_add_i32 s14, s14, 4
	v_cmp_eq_u32_e32 vcc, 0, v124
	v_add_u32_e32 v122, 4, v122
	s_or_b64 s[4:5], vcc, s[4:5]
	s_waitcnt vmcnt(0) lgkmcnt(0)
	v_fmac_f32_e32 v123, v125, v126
	s_andn2_b64 exec, exec, s[4:5]
	s_cbranch_execnz .LBB119_413
; %bb.414:
	s_or_b64 exec, exec, s[4:5]
.LBB119_415:
	s_or_b64 exec, exec, s[12:13]
	v_mov_b32_e32 v122, 0
	ds_read_b32 v122, v122 offset:52
	s_waitcnt lgkmcnt(0)
	v_mul_f32_e32 v122, v123, v122
	buffer_store_dword v122, off, s[0:3], 0 offset:52
.LBB119_416:
	s_or_b64 exec, exec, s[10:11]
	buffer_load_dword v122, off, s[0:3], 0 offset:48
	v_cmp_lt_u32_e64 s[4:5], 12, v0
	s_waitcnt vmcnt(0)
	ds_write_b32 v114, v122
	s_waitcnt lgkmcnt(0)
	; wave barrier
	s_waitcnt lgkmcnt(0)
	s_and_saveexec_b64 s[10:11], s[4:5]
	s_cbranch_execz .LBB119_426
; %bb.417:
	s_andn2_b64 vcc, exec, s[8:9]
	s_cbranch_vccnz .LBB119_419
; %bb.418:
	buffer_load_dword v122, v115, s[0:3], 0 offen
	ds_read_b32 v123, v114
	s_waitcnt vmcnt(0) lgkmcnt(0)
	v_mul_f32_e32 v122, v122, v123
	s_cbranch_execz .LBB119_420
	s_branch .LBB119_421
.LBB119_419:
                                        ; implicit-def: $vgpr122
.LBB119_420:
	ds_read_b32 v122, v114
.LBB119_421:
	s_and_saveexec_b64 s[12:13], s[6:7]
	s_cbranch_execz .LBB119_425
; %bb.422:
	v_mov_b32_e32 v123, 0
	v_add_u32_e32 v123, 52, v123
	v_add_u32_e32 v124, -13, v0
	s_movk_i32 s14, 0x114
	s_mov_b64 s[6:7], 0
.LBB119_423:                            ; =>This Inner Loop Header: Depth=1
	buffer_load_dword v125, v123, s[0:3], 0 offen
	v_mov_b32_e32 v126, s14
	ds_read_b32 v126, v126
	v_add_u32_e32 v124, -1, v124
	s_add_i32 s14, s14, 4
	v_cmp_eq_u32_e32 vcc, 0, v124
	v_add_u32_e32 v123, 4, v123
	s_or_b64 s[6:7], vcc, s[6:7]
	s_waitcnt vmcnt(0) lgkmcnt(0)
	v_fmac_f32_e32 v122, v125, v126
	s_andn2_b64 exec, exec, s[6:7]
	s_cbranch_execnz .LBB119_423
; %bb.424:
	s_or_b64 exec, exec, s[6:7]
.LBB119_425:
	s_or_b64 exec, exec, s[12:13]
	v_mov_b32_e32 v123, 0
	ds_read_b32 v123, v123 offset:48
	s_waitcnt lgkmcnt(0)
	v_mul_f32_e32 v122, v122, v123
	buffer_store_dword v122, off, s[0:3], 0 offset:48
.LBB119_426:
	s_or_b64 exec, exec, s[10:11]
	buffer_load_dword v122, off, s[0:3], 0 offset:44
	v_cmp_lt_u32_e64 s[6:7], 11, v0
	s_waitcnt vmcnt(0)
	ds_write_b32 v114, v122
	s_waitcnt lgkmcnt(0)
	; wave barrier
	s_waitcnt lgkmcnt(0)
	s_and_saveexec_b64 s[10:11], s[6:7]
	s_cbranch_execz .LBB119_436
; %bb.427:
	s_andn2_b64 vcc, exec, s[8:9]
	s_cbranch_vccnz .LBB119_429
; %bb.428:
	buffer_load_dword v122, v115, s[0:3], 0 offen
	ds_read_b32 v123, v114
	s_waitcnt vmcnt(0) lgkmcnt(0)
	v_mul_f32_e32 v122, v122, v123
	s_cbranch_execz .LBB119_430
	s_branch .LBB119_431
.LBB119_429:
                                        ; implicit-def: $vgpr122
.LBB119_430:
	ds_read_b32 v122, v114
.LBB119_431:
	s_and_saveexec_b64 s[12:13], s[4:5]
	s_cbranch_execz .LBB119_435
; %bb.432:
	v_add_u32_e32 v123, -12, v0
	s_movk_i32 s14, 0x110
	s_mov_b64 s[4:5], 0
.LBB119_433:                            ; =>This Inner Loop Header: Depth=1
	buffer_load_dword v124, v121, s[0:3], 0 offen
	v_mov_b32_e32 v125, s14
	ds_read_b32 v125, v125
	v_add_u32_e32 v123, -1, v123
	s_add_i32 s14, s14, 4
	v_cmp_eq_u32_e32 vcc, 0, v123
	v_add_u32_e32 v121, 4, v121
	s_or_b64 s[4:5], vcc, s[4:5]
	s_waitcnt vmcnt(0) lgkmcnt(0)
	v_fmac_f32_e32 v122, v124, v125
	s_andn2_b64 exec, exec, s[4:5]
	s_cbranch_execnz .LBB119_433
; %bb.434:
	s_or_b64 exec, exec, s[4:5]
.LBB119_435:
	s_or_b64 exec, exec, s[12:13]
	v_mov_b32_e32 v121, 0
	ds_read_b32 v121, v121 offset:44
	s_waitcnt lgkmcnt(0)
	v_mul_f32_e32 v121, v122, v121
	buffer_store_dword v121, off, s[0:3], 0 offset:44
.LBB119_436:
	s_or_b64 exec, exec, s[10:11]
	buffer_load_dword v121, off, s[0:3], 0 offset:40
	v_cmp_lt_u32_e64 s[4:5], 10, v0
	s_waitcnt vmcnt(0)
	ds_write_b32 v114, v121
	s_waitcnt lgkmcnt(0)
	; wave barrier
	s_waitcnt lgkmcnt(0)
	s_and_saveexec_b64 s[10:11], s[4:5]
	s_cbranch_execz .LBB119_446
; %bb.437:
	s_andn2_b64 vcc, exec, s[8:9]
	s_cbranch_vccnz .LBB119_439
; %bb.438:
	buffer_load_dword v121, v115, s[0:3], 0 offen
	ds_read_b32 v122, v114
	s_waitcnt vmcnt(0) lgkmcnt(0)
	v_mul_f32_e32 v121, v121, v122
	s_cbranch_execz .LBB119_440
	s_branch .LBB119_441
.LBB119_439:
                                        ; implicit-def: $vgpr121
.LBB119_440:
	ds_read_b32 v121, v114
.LBB119_441:
	s_and_saveexec_b64 s[12:13], s[6:7]
	s_cbranch_execz .LBB119_445
; %bb.442:
	v_mov_b32_e32 v122, 0
	v_add_u32_e32 v122, 44, v122
	v_add_u32_e32 v123, -11, v0
	s_movk_i32 s14, 0x10c
	s_mov_b64 s[6:7], 0
.LBB119_443:                            ; =>This Inner Loop Header: Depth=1
	buffer_load_dword v124, v122, s[0:3], 0 offen
	v_mov_b32_e32 v125, s14
	ds_read_b32 v125, v125
	v_add_u32_e32 v123, -1, v123
	s_add_i32 s14, s14, 4
	v_cmp_eq_u32_e32 vcc, 0, v123
	v_add_u32_e32 v122, 4, v122
	s_or_b64 s[6:7], vcc, s[6:7]
	s_waitcnt vmcnt(0) lgkmcnt(0)
	v_fmac_f32_e32 v121, v124, v125
	s_andn2_b64 exec, exec, s[6:7]
	s_cbranch_execnz .LBB119_443
; %bb.444:
	s_or_b64 exec, exec, s[6:7]
.LBB119_445:
	s_or_b64 exec, exec, s[12:13]
	v_mov_b32_e32 v122, 0
	ds_read_b32 v122, v122 offset:40
	s_waitcnt lgkmcnt(0)
	v_mul_f32_e32 v121, v121, v122
	buffer_store_dword v121, off, s[0:3], 0 offset:40
.LBB119_446:
	s_or_b64 exec, exec, s[10:11]
	buffer_load_dword v121, off, s[0:3], 0 offset:36
	v_cmp_lt_u32_e64 s[6:7], 9, v0
	s_waitcnt vmcnt(0)
	ds_write_b32 v114, v121
	s_waitcnt lgkmcnt(0)
	; wave barrier
	s_waitcnt lgkmcnt(0)
	s_and_saveexec_b64 s[10:11], s[6:7]
	s_cbranch_execz .LBB119_456
; %bb.447:
	s_andn2_b64 vcc, exec, s[8:9]
	s_cbranch_vccnz .LBB119_449
; %bb.448:
	buffer_load_dword v121, v115, s[0:3], 0 offen
	ds_read_b32 v122, v114
	s_waitcnt vmcnt(0) lgkmcnt(0)
	v_mul_f32_e32 v121, v121, v122
	s_cbranch_execz .LBB119_450
	s_branch .LBB119_451
.LBB119_449:
                                        ; implicit-def: $vgpr121
.LBB119_450:
	ds_read_b32 v121, v114
.LBB119_451:
	s_and_saveexec_b64 s[12:13], s[4:5]
	s_cbranch_execz .LBB119_455
; %bb.452:
	v_add_u32_e32 v122, -10, v0
	s_movk_i32 s14, 0x108
	s_mov_b64 s[4:5], 0
.LBB119_453:                            ; =>This Inner Loop Header: Depth=1
	buffer_load_dword v123, v120, s[0:3], 0 offen
	v_mov_b32_e32 v124, s14
	ds_read_b32 v124, v124
	v_add_u32_e32 v122, -1, v122
	s_add_i32 s14, s14, 4
	v_cmp_eq_u32_e32 vcc, 0, v122
	v_add_u32_e32 v120, 4, v120
	s_or_b64 s[4:5], vcc, s[4:5]
	s_waitcnt vmcnt(0) lgkmcnt(0)
	v_fmac_f32_e32 v121, v123, v124
	s_andn2_b64 exec, exec, s[4:5]
	s_cbranch_execnz .LBB119_453
; %bb.454:
	s_or_b64 exec, exec, s[4:5]
.LBB119_455:
	s_or_b64 exec, exec, s[12:13]
	v_mov_b32_e32 v120, 0
	ds_read_b32 v120, v120 offset:36
	s_waitcnt lgkmcnt(0)
	v_mul_f32_e32 v120, v121, v120
	buffer_store_dword v120, off, s[0:3], 0 offset:36
.LBB119_456:
	s_or_b64 exec, exec, s[10:11]
	buffer_load_dword v120, off, s[0:3], 0 offset:32
	v_cmp_lt_u32_e64 s[4:5], 8, v0
	s_waitcnt vmcnt(0)
	ds_write_b32 v114, v120
	s_waitcnt lgkmcnt(0)
	; wave barrier
	s_waitcnt lgkmcnt(0)
	s_and_saveexec_b64 s[10:11], s[4:5]
	s_cbranch_execz .LBB119_466
; %bb.457:
	s_andn2_b64 vcc, exec, s[8:9]
	s_cbranch_vccnz .LBB119_459
; %bb.458:
	buffer_load_dword v120, v115, s[0:3], 0 offen
	ds_read_b32 v121, v114
	s_waitcnt vmcnt(0) lgkmcnt(0)
	v_mul_f32_e32 v120, v120, v121
	s_cbranch_execz .LBB119_460
	s_branch .LBB119_461
.LBB119_459:
                                        ; implicit-def: $vgpr120
.LBB119_460:
	ds_read_b32 v120, v114
.LBB119_461:
	s_and_saveexec_b64 s[12:13], s[6:7]
	s_cbranch_execz .LBB119_465
; %bb.462:
	v_mov_b32_e32 v121, 0
	v_add_u32_e32 v121, 36, v121
	v_add_u32_e32 v122, -9, v0
	s_movk_i32 s14, 0x104
	s_mov_b64 s[6:7], 0
.LBB119_463:                            ; =>This Inner Loop Header: Depth=1
	buffer_load_dword v123, v121, s[0:3], 0 offen
	v_mov_b32_e32 v124, s14
	ds_read_b32 v124, v124
	v_add_u32_e32 v122, -1, v122
	s_add_i32 s14, s14, 4
	v_cmp_eq_u32_e32 vcc, 0, v122
	v_add_u32_e32 v121, 4, v121
	s_or_b64 s[6:7], vcc, s[6:7]
	s_waitcnt vmcnt(0) lgkmcnt(0)
	v_fmac_f32_e32 v120, v123, v124
	s_andn2_b64 exec, exec, s[6:7]
	s_cbranch_execnz .LBB119_463
; %bb.464:
	s_or_b64 exec, exec, s[6:7]
.LBB119_465:
	s_or_b64 exec, exec, s[12:13]
	v_mov_b32_e32 v121, 0
	ds_read_b32 v121, v121 offset:32
	s_waitcnt lgkmcnt(0)
	v_mul_f32_e32 v120, v120, v121
	buffer_store_dword v120, off, s[0:3], 0 offset:32
.LBB119_466:
	s_or_b64 exec, exec, s[10:11]
	buffer_load_dword v120, off, s[0:3], 0 offset:28
	v_cmp_lt_u32_e64 s[6:7], 7, v0
	s_waitcnt vmcnt(0)
	ds_write_b32 v114, v120
	s_waitcnt lgkmcnt(0)
	; wave barrier
	s_waitcnt lgkmcnt(0)
	s_and_saveexec_b64 s[10:11], s[6:7]
	s_cbranch_execz .LBB119_476
; %bb.467:
	s_andn2_b64 vcc, exec, s[8:9]
	s_cbranch_vccnz .LBB119_469
; %bb.468:
	buffer_load_dword v120, v115, s[0:3], 0 offen
	ds_read_b32 v121, v114
	s_waitcnt vmcnt(0) lgkmcnt(0)
	v_mul_f32_e32 v120, v120, v121
	s_cbranch_execz .LBB119_470
	s_branch .LBB119_471
.LBB119_469:
                                        ; implicit-def: $vgpr120
.LBB119_470:
	ds_read_b32 v120, v114
.LBB119_471:
	s_and_saveexec_b64 s[12:13], s[4:5]
	s_cbranch_execz .LBB119_475
; %bb.472:
	v_add_u32_e32 v121, -8, v0
	s_movk_i32 s14, 0x100
	s_mov_b64 s[4:5], 0
.LBB119_473:                            ; =>This Inner Loop Header: Depth=1
	buffer_load_dword v122, v119, s[0:3], 0 offen
	v_mov_b32_e32 v123, s14
	ds_read_b32 v123, v123
	v_add_u32_e32 v121, -1, v121
	s_add_i32 s14, s14, 4
	v_cmp_eq_u32_e32 vcc, 0, v121
	v_add_u32_e32 v119, 4, v119
	s_or_b64 s[4:5], vcc, s[4:5]
	s_waitcnt vmcnt(0) lgkmcnt(0)
	v_fmac_f32_e32 v120, v122, v123
	s_andn2_b64 exec, exec, s[4:5]
	s_cbranch_execnz .LBB119_473
; %bb.474:
	s_or_b64 exec, exec, s[4:5]
.LBB119_475:
	s_or_b64 exec, exec, s[12:13]
	v_mov_b32_e32 v119, 0
	ds_read_b32 v119, v119 offset:28
	s_waitcnt lgkmcnt(0)
	v_mul_f32_e32 v119, v120, v119
	buffer_store_dword v119, off, s[0:3], 0 offset:28
.LBB119_476:
	s_or_b64 exec, exec, s[10:11]
	buffer_load_dword v119, off, s[0:3], 0 offset:24
	v_cmp_lt_u32_e64 s[4:5], 6, v0
	s_waitcnt vmcnt(0)
	ds_write_b32 v114, v119
	s_waitcnt lgkmcnt(0)
	; wave barrier
	s_waitcnt lgkmcnt(0)
	s_and_saveexec_b64 s[10:11], s[4:5]
	s_cbranch_execz .LBB119_486
; %bb.477:
	s_andn2_b64 vcc, exec, s[8:9]
	s_cbranch_vccnz .LBB119_479
; %bb.478:
	buffer_load_dword v119, v115, s[0:3], 0 offen
	ds_read_b32 v120, v114
	s_waitcnt vmcnt(0) lgkmcnt(0)
	v_mul_f32_e32 v119, v119, v120
	s_cbranch_execz .LBB119_480
	s_branch .LBB119_481
.LBB119_479:
                                        ; implicit-def: $vgpr119
.LBB119_480:
	ds_read_b32 v119, v114
.LBB119_481:
	s_and_saveexec_b64 s[12:13], s[6:7]
	s_cbranch_execz .LBB119_485
; %bb.482:
	v_mov_b32_e32 v120, 0
	v_add_u32_e32 v120, 28, v120
	v_add_u32_e32 v121, -7, v0
	s_movk_i32 s14, 0xfc
	s_mov_b64 s[6:7], 0
.LBB119_483:                            ; =>This Inner Loop Header: Depth=1
	buffer_load_dword v122, v120, s[0:3], 0 offen
	v_mov_b32_e32 v123, s14
	ds_read_b32 v123, v123
	v_add_u32_e32 v121, -1, v121
	s_add_i32 s14, s14, 4
	v_cmp_eq_u32_e32 vcc, 0, v121
	v_add_u32_e32 v120, 4, v120
	s_or_b64 s[6:7], vcc, s[6:7]
	s_waitcnt vmcnt(0) lgkmcnt(0)
	v_fmac_f32_e32 v119, v122, v123
	s_andn2_b64 exec, exec, s[6:7]
	s_cbranch_execnz .LBB119_483
; %bb.484:
	s_or_b64 exec, exec, s[6:7]
.LBB119_485:
	s_or_b64 exec, exec, s[12:13]
	v_mov_b32_e32 v120, 0
	ds_read_b32 v120, v120 offset:24
	s_waitcnt lgkmcnt(0)
	v_mul_f32_e32 v119, v119, v120
	buffer_store_dword v119, off, s[0:3], 0 offset:24
.LBB119_486:
	s_or_b64 exec, exec, s[10:11]
	buffer_load_dword v119, off, s[0:3], 0 offset:20
	v_cmp_lt_u32_e64 s[6:7], 5, v0
	s_waitcnt vmcnt(0)
	ds_write_b32 v114, v119
	s_waitcnt lgkmcnt(0)
	; wave barrier
	s_waitcnt lgkmcnt(0)
	s_and_saveexec_b64 s[10:11], s[6:7]
	s_cbranch_execz .LBB119_496
; %bb.487:
	s_andn2_b64 vcc, exec, s[8:9]
	s_cbranch_vccnz .LBB119_489
; %bb.488:
	buffer_load_dword v119, v115, s[0:3], 0 offen
	ds_read_b32 v120, v114
	s_waitcnt vmcnt(0) lgkmcnt(0)
	v_mul_f32_e32 v119, v119, v120
	s_cbranch_execz .LBB119_490
	s_branch .LBB119_491
.LBB119_489:
                                        ; implicit-def: $vgpr119
.LBB119_490:
	ds_read_b32 v119, v114
.LBB119_491:
	s_and_saveexec_b64 s[12:13], s[4:5]
	s_cbranch_execz .LBB119_495
; %bb.492:
	v_add_u32_e32 v120, -6, v0
	s_movk_i32 s14, 0xf8
	s_mov_b64 s[4:5], 0
.LBB119_493:                            ; =>This Inner Loop Header: Depth=1
	buffer_load_dword v121, v118, s[0:3], 0 offen
	v_mov_b32_e32 v122, s14
	ds_read_b32 v122, v122
	v_add_u32_e32 v120, -1, v120
	s_add_i32 s14, s14, 4
	v_cmp_eq_u32_e32 vcc, 0, v120
	v_add_u32_e32 v118, 4, v118
	s_or_b64 s[4:5], vcc, s[4:5]
	s_waitcnt vmcnt(0) lgkmcnt(0)
	v_fmac_f32_e32 v119, v121, v122
	s_andn2_b64 exec, exec, s[4:5]
	s_cbranch_execnz .LBB119_493
; %bb.494:
	s_or_b64 exec, exec, s[4:5]
.LBB119_495:
	s_or_b64 exec, exec, s[12:13]
	v_mov_b32_e32 v118, 0
	ds_read_b32 v118, v118 offset:20
	s_waitcnt lgkmcnt(0)
	v_mul_f32_e32 v118, v119, v118
	buffer_store_dword v118, off, s[0:3], 0 offset:20
.LBB119_496:
	s_or_b64 exec, exec, s[10:11]
	buffer_load_dword v118, off, s[0:3], 0 offset:16
	v_cmp_lt_u32_e64 s[4:5], 4, v0
	s_waitcnt vmcnt(0)
	ds_write_b32 v114, v118
	s_waitcnt lgkmcnt(0)
	; wave barrier
	s_waitcnt lgkmcnt(0)
	s_and_saveexec_b64 s[10:11], s[4:5]
	s_cbranch_execz .LBB119_506
; %bb.497:
	s_andn2_b64 vcc, exec, s[8:9]
	s_cbranch_vccnz .LBB119_499
; %bb.498:
	buffer_load_dword v118, v115, s[0:3], 0 offen
	ds_read_b32 v119, v114
	s_waitcnt vmcnt(0) lgkmcnt(0)
	v_mul_f32_e32 v118, v118, v119
	s_cbranch_execz .LBB119_500
	s_branch .LBB119_501
.LBB119_499:
                                        ; implicit-def: $vgpr118
.LBB119_500:
	ds_read_b32 v118, v114
.LBB119_501:
	s_and_saveexec_b64 s[12:13], s[6:7]
	s_cbranch_execz .LBB119_505
; %bb.502:
	v_mov_b32_e32 v119, 0
	v_add_u32_e32 v119, 20, v119
	v_add_u32_e32 v120, -5, v0
	s_movk_i32 s14, 0xf4
	s_mov_b64 s[6:7], 0
.LBB119_503:                            ; =>This Inner Loop Header: Depth=1
	buffer_load_dword v121, v119, s[0:3], 0 offen
	v_mov_b32_e32 v122, s14
	ds_read_b32 v122, v122
	v_add_u32_e32 v120, -1, v120
	s_add_i32 s14, s14, 4
	v_cmp_eq_u32_e32 vcc, 0, v120
	v_add_u32_e32 v119, 4, v119
	s_or_b64 s[6:7], vcc, s[6:7]
	s_waitcnt vmcnt(0) lgkmcnt(0)
	v_fmac_f32_e32 v118, v121, v122
	s_andn2_b64 exec, exec, s[6:7]
	s_cbranch_execnz .LBB119_503
; %bb.504:
	s_or_b64 exec, exec, s[6:7]
.LBB119_505:
	s_or_b64 exec, exec, s[12:13]
	v_mov_b32_e32 v119, 0
	ds_read_b32 v119, v119 offset:16
	s_waitcnt lgkmcnt(0)
	v_mul_f32_e32 v118, v118, v119
	buffer_store_dword v118, off, s[0:3], 0 offset:16
.LBB119_506:
	s_or_b64 exec, exec, s[10:11]
	buffer_load_dword v118, off, s[0:3], 0 offset:12
	v_cmp_lt_u32_e64 s[6:7], 3, v0
	s_waitcnt vmcnt(0)
	ds_write_b32 v114, v118
	s_waitcnt lgkmcnt(0)
	; wave barrier
	s_waitcnt lgkmcnt(0)
	s_and_saveexec_b64 s[10:11], s[6:7]
	s_cbranch_execz .LBB119_516
; %bb.507:
	s_andn2_b64 vcc, exec, s[8:9]
	s_cbranch_vccnz .LBB119_509
; %bb.508:
	buffer_load_dword v118, v115, s[0:3], 0 offen
	ds_read_b32 v119, v114
	s_waitcnt vmcnt(0) lgkmcnt(0)
	v_mul_f32_e32 v118, v118, v119
	s_cbranch_execz .LBB119_510
	s_branch .LBB119_511
.LBB119_509:
                                        ; implicit-def: $vgpr118
.LBB119_510:
	ds_read_b32 v118, v114
.LBB119_511:
	s_and_saveexec_b64 s[12:13], s[4:5]
	s_cbranch_execz .LBB119_515
; %bb.512:
	v_add_u32_e32 v119, -4, v0
	s_movk_i32 s14, 0xf0
	s_mov_b64 s[4:5], 0
.LBB119_513:                            ; =>This Inner Loop Header: Depth=1
	buffer_load_dword v120, v117, s[0:3], 0 offen
	v_mov_b32_e32 v121, s14
	ds_read_b32 v121, v121
	v_add_u32_e32 v119, -1, v119
	s_add_i32 s14, s14, 4
	v_cmp_eq_u32_e32 vcc, 0, v119
	v_add_u32_e32 v117, 4, v117
	s_or_b64 s[4:5], vcc, s[4:5]
	s_waitcnt vmcnt(0) lgkmcnt(0)
	v_fmac_f32_e32 v118, v120, v121
	s_andn2_b64 exec, exec, s[4:5]
	s_cbranch_execnz .LBB119_513
; %bb.514:
	s_or_b64 exec, exec, s[4:5]
.LBB119_515:
	s_or_b64 exec, exec, s[12:13]
	v_mov_b32_e32 v117, 0
	ds_read_b32 v117, v117 offset:12
	s_waitcnt lgkmcnt(0)
	v_mul_f32_e32 v117, v118, v117
	buffer_store_dword v117, off, s[0:3], 0 offset:12
.LBB119_516:
	s_or_b64 exec, exec, s[10:11]
	buffer_load_dword v117, off, s[0:3], 0 offset:8
	v_cmp_lt_u32_e64 s[4:5], 2, v0
	s_waitcnt vmcnt(0)
	ds_write_b32 v114, v117
	s_waitcnt lgkmcnt(0)
	; wave barrier
	s_waitcnt lgkmcnt(0)
	s_and_saveexec_b64 s[10:11], s[4:5]
	s_cbranch_execz .LBB119_526
; %bb.517:
	s_andn2_b64 vcc, exec, s[8:9]
	s_cbranch_vccnz .LBB119_519
; %bb.518:
	buffer_load_dword v117, v115, s[0:3], 0 offen
	ds_read_b32 v118, v114
	s_waitcnt vmcnt(0) lgkmcnt(0)
	v_mul_f32_e32 v117, v117, v118
	s_cbranch_execz .LBB119_520
	s_branch .LBB119_521
.LBB119_519:
                                        ; implicit-def: $vgpr117
.LBB119_520:
	ds_read_b32 v117, v114
.LBB119_521:
	s_and_saveexec_b64 s[12:13], s[6:7]
	s_cbranch_execz .LBB119_525
; %bb.522:
	v_mov_b32_e32 v118, 0
	v_or_b32_e32 v118, 12, v118
	v_add_u32_e32 v119, -3, v0
	s_movk_i32 s14, 0xec
	s_mov_b64 s[6:7], 0
.LBB119_523:                            ; =>This Inner Loop Header: Depth=1
	buffer_load_dword v120, v118, s[0:3], 0 offen
	v_mov_b32_e32 v121, s14
	ds_read_b32 v121, v121
	v_add_u32_e32 v119, -1, v119
	s_add_i32 s14, s14, 4
	v_cmp_eq_u32_e32 vcc, 0, v119
	v_add_u32_e32 v118, 4, v118
	s_or_b64 s[6:7], vcc, s[6:7]
	s_waitcnt vmcnt(0) lgkmcnt(0)
	v_fmac_f32_e32 v117, v120, v121
	s_andn2_b64 exec, exec, s[6:7]
	s_cbranch_execnz .LBB119_523
; %bb.524:
	s_or_b64 exec, exec, s[6:7]
.LBB119_525:
	s_or_b64 exec, exec, s[12:13]
	v_mov_b32_e32 v118, 0
	ds_read_b32 v118, v118 offset:8
	s_waitcnt lgkmcnt(0)
	v_mul_f32_e32 v117, v117, v118
	buffer_store_dword v117, off, s[0:3], 0 offset:8
.LBB119_526:
	s_or_b64 exec, exec, s[10:11]
	buffer_load_dword v117, off, s[0:3], 0 offset:4
	v_cmp_lt_u32_e64 s[6:7], 1, v0
	s_waitcnt vmcnt(0)
	ds_write_b32 v114, v117
	s_waitcnt lgkmcnt(0)
	; wave barrier
	s_waitcnt lgkmcnt(0)
	s_and_saveexec_b64 s[10:11], s[6:7]
	s_cbranch_execz .LBB119_536
; %bb.527:
	s_andn2_b64 vcc, exec, s[8:9]
	s_cbranch_vccnz .LBB119_529
; %bb.528:
	buffer_load_dword v117, v115, s[0:3], 0 offen
	ds_read_b32 v118, v114
	s_waitcnt vmcnt(0) lgkmcnt(0)
	v_mul_f32_e32 v117, v117, v118
	s_cbranch_execz .LBB119_530
	s_branch .LBB119_531
.LBB119_529:
                                        ; implicit-def: $vgpr117
.LBB119_530:
	ds_read_b32 v117, v114
.LBB119_531:
	s_and_saveexec_b64 s[12:13], s[4:5]
	s_cbranch_execz .LBB119_535
; %bb.532:
	v_add_u32_e32 v118, -2, v0
	s_movk_i32 s14, 0xe8
	s_mov_b64 s[4:5], 0
.LBB119_533:                            ; =>This Inner Loop Header: Depth=1
	buffer_load_dword v119, v116, s[0:3], 0 offen
	v_mov_b32_e32 v120, s14
	ds_read_b32 v120, v120
	v_add_u32_e32 v118, -1, v118
	s_add_i32 s14, s14, 4
	v_cmp_eq_u32_e32 vcc, 0, v118
	v_add_u32_e32 v116, 4, v116
	s_or_b64 s[4:5], vcc, s[4:5]
	s_waitcnt vmcnt(0) lgkmcnt(0)
	v_fmac_f32_e32 v117, v119, v120
	s_andn2_b64 exec, exec, s[4:5]
	s_cbranch_execnz .LBB119_533
; %bb.534:
	s_or_b64 exec, exec, s[4:5]
.LBB119_535:
	s_or_b64 exec, exec, s[12:13]
	v_mov_b32_e32 v116, 0
	ds_read_b32 v116, v116 offset:4
	s_waitcnt lgkmcnt(0)
	v_mul_f32_e32 v116, v117, v116
	buffer_store_dword v116, off, s[0:3], 0 offset:4
.LBB119_536:
	s_or_b64 exec, exec, s[10:11]
	buffer_load_dword v116, off, s[0:3], 0
	v_cmp_ne_u32_e32 vcc, 0, v0
	s_waitcnt vmcnt(0)
	ds_write_b32 v114, v116
	s_waitcnt lgkmcnt(0)
	; wave barrier
	s_waitcnt lgkmcnt(0)
	s_and_saveexec_b64 s[4:5], vcc
	s_cbranch_execz .LBB119_546
; %bb.537:
	s_andn2_b64 vcc, exec, s[8:9]
	s_cbranch_vccnz .LBB119_539
; %bb.538:
	buffer_load_dword v116, v115, s[0:3], 0 offen
	ds_read_b32 v117, v114
	s_waitcnt vmcnt(0) lgkmcnt(0)
	v_mul_f32_e32 v116, v116, v117
	s_cbranch_execz .LBB119_540
	s_branch .LBB119_541
.LBB119_539:
                                        ; implicit-def: $vgpr116
.LBB119_540:
	ds_read_b32 v116, v114
.LBB119_541:
	s_and_saveexec_b64 s[10:11], s[6:7]
	s_cbranch_execz .LBB119_545
; %bb.542:
	v_mov_b32_e32 v117, 0
	v_or_b32_e32 v117, 4, v117
	v_add_u32_e32 v118, -1, v0
	s_movk_i32 s12, 0xe4
	s_mov_b64 s[6:7], 0
.LBB119_543:                            ; =>This Inner Loop Header: Depth=1
	buffer_load_dword v119, v117, s[0:3], 0 offen
	v_mov_b32_e32 v120, s12
	ds_read_b32 v120, v120
	v_add_u32_e32 v118, -1, v118
	s_add_i32 s12, s12, 4
	v_cmp_eq_u32_e32 vcc, 0, v118
	v_add_u32_e32 v117, 4, v117
	s_or_b64 s[6:7], vcc, s[6:7]
	s_waitcnt vmcnt(0) lgkmcnt(0)
	v_fmac_f32_e32 v116, v119, v120
	s_andn2_b64 exec, exec, s[6:7]
	s_cbranch_execnz .LBB119_543
; %bb.544:
	s_or_b64 exec, exec, s[6:7]
.LBB119_545:
	s_or_b64 exec, exec, s[10:11]
	v_mov_b32_e32 v117, 0
	ds_read_b32 v117, v117
	s_waitcnt lgkmcnt(0)
	v_mul_f32_e32 v116, v116, v117
	buffer_store_dword v116, off, s[0:3], 0
.LBB119_546:
	s_or_b64 exec, exec, s[4:5]
	s_mov_b64 s[4:5], 0
.LBB119_547:
	s_and_b64 vcc, exec, s[4:5]
	s_cbranch_vccz .LBB119_1091
; %bb.548:
	buffer_load_dword v116, off, s[0:3], 0 offset:4
	v_cmp_eq_u32_e64 s[6:7], 0, v0
	s_waitcnt vmcnt(0)
	ds_write_b32 v114, v116
	s_waitcnt lgkmcnt(0)
	; wave barrier
	s_waitcnt lgkmcnt(0)
	s_and_saveexec_b64 s[4:5], s[6:7]
	s_cbranch_execz .LBB119_554
; %bb.549:
	s_and_b64 vcc, exec, s[8:9]
	s_cbranch_vccz .LBB119_551
; %bb.550:
	buffer_load_dword v116, v115, s[0:3], 0 offen
	ds_read_b32 v117, v114
	s_waitcnt vmcnt(0) lgkmcnt(0)
	v_mul_f32_e32 v116, v116, v117
	s_cbranch_execz .LBB119_552
	s_branch .LBB119_553
.LBB119_551:
                                        ; implicit-def: $vgpr116
.LBB119_552:
	ds_read_b32 v116, v114
.LBB119_553:
	v_mov_b32_e32 v117, 0
	ds_read_b32 v117, v117 offset:4
	s_waitcnt lgkmcnt(0)
	v_mul_f32_e32 v116, v116, v117
	buffer_store_dword v116, off, s[0:3], 0 offset:4
.LBB119_554:
	s_or_b64 exec, exec, s[4:5]
	buffer_load_dword v116, off, s[0:3], 0 offset:8
	v_cndmask_b32_e64 v117, 0, 1, s[8:9]
	v_cmp_gt_u32_e32 vcc, 2, v0
	v_cmp_ne_u32_e64 s[4:5], 1, v117
	s_waitcnt vmcnt(0)
	ds_write_b32 v114, v116
	s_waitcnt lgkmcnt(0)
	; wave barrier
	s_waitcnt lgkmcnt(0)
	s_and_saveexec_b64 s[8:9], vcc
	s_cbranch_execz .LBB119_562
; %bb.555:
	s_and_b64 vcc, exec, s[4:5]
	s_cbranch_vccnz .LBB119_557
; %bb.556:
	buffer_load_dword v116, v115, s[0:3], 0 offen
	ds_read_b32 v117, v114
	s_waitcnt vmcnt(0) lgkmcnt(0)
	v_mul_f32_e32 v116, v116, v117
	s_cbranch_execz .LBB119_558
	s_branch .LBB119_559
.LBB119_557:
                                        ; implicit-def: $vgpr116
.LBB119_558:
	ds_read_b32 v116, v114
.LBB119_559:
	s_and_saveexec_b64 s[10:11], s[6:7]
	s_cbranch_execz .LBB119_561
; %bb.560:
	buffer_load_dword v117, v115, s[0:3], 0 offen offset:4
	ds_read_b32 v118, v114 offset:4
	s_waitcnt vmcnt(0) lgkmcnt(0)
	v_fmac_f32_e32 v116, v117, v118
.LBB119_561:
	s_or_b64 exec, exec, s[10:11]
	v_mov_b32_e32 v117, 0
	ds_read_b32 v117, v117 offset:8
	s_waitcnt lgkmcnt(0)
	v_mul_f32_e32 v116, v116, v117
	buffer_store_dword v116, off, s[0:3], 0 offset:8
.LBB119_562:
	s_or_b64 exec, exec, s[8:9]
	buffer_load_dword v116, off, s[0:3], 0 offset:12
	v_cmp_gt_u32_e32 vcc, 3, v0
	s_waitcnt vmcnt(0)
	ds_write_b32 v114, v116
	s_waitcnt lgkmcnt(0)
	; wave barrier
	s_waitcnt lgkmcnt(0)
	s_and_saveexec_b64 s[8:9], vcc
	s_cbranch_execz .LBB119_570
; %bb.563:
	s_and_b64 vcc, exec, s[4:5]
	s_cbranch_vccnz .LBB119_565
; %bb.564:
	buffer_load_dword v116, v115, s[0:3], 0 offen
	ds_read_b32 v117, v114
	s_waitcnt vmcnt(0) lgkmcnt(0)
	v_mul_f32_e32 v116, v116, v117
	s_cbranch_execz .LBB119_566
	s_branch .LBB119_567
.LBB119_565:
                                        ; implicit-def: $vgpr116
.LBB119_566:
	ds_read_b32 v116, v114
.LBB119_567:
	v_cmp_ne_u32_e32 vcc, 2, v0
	s_and_saveexec_b64 s[10:11], vcc
	s_cbranch_execz .LBB119_569
; %bb.568:
	buffer_load_dword v117, v115, s[0:3], 0 offen offset:4
	buffer_load_dword v118, off, s[0:3], 0 offset:8
	v_mov_b32_e32 v119, 0
	ds_read_b32 v120, v114 offset:4
	ds_read_b32 v119, v119 offset:232
	s_waitcnt vmcnt(1) lgkmcnt(1)
	v_fmac_f32_e32 v116, v117, v120
	s_waitcnt vmcnt(0) lgkmcnt(0)
	v_fma_f32 v117, v118, v119, v116
	v_cndmask_b32_e64 v116, v116, v117, s[6:7]
.LBB119_569:
	s_or_b64 exec, exec, s[10:11]
	v_mov_b32_e32 v117, 0
	ds_read_b32 v117, v117 offset:12
	s_waitcnt lgkmcnt(0)
	v_mul_f32_e32 v116, v116, v117
	buffer_store_dword v116, off, s[0:3], 0 offset:12
.LBB119_570:
	s_or_b64 exec, exec, s[8:9]
	buffer_load_dword v116, off, s[0:3], 0 offset:16
	v_cmp_gt_u32_e32 vcc, 4, v0
	s_waitcnt vmcnt(0)
	ds_write_b32 v114, v116
	s_waitcnt lgkmcnt(0)
	; wave barrier
	s_waitcnt lgkmcnt(0)
	s_and_saveexec_b64 s[6:7], vcc
	s_cbranch_execz .LBB119_580
; %bb.571:
	s_and_b64 vcc, exec, s[4:5]
	s_cbranch_vccnz .LBB119_573
; %bb.572:
	buffer_load_dword v116, v115, s[0:3], 0 offen
	ds_read_b32 v117, v114
	s_waitcnt vmcnt(0) lgkmcnt(0)
	v_mul_f32_e32 v116, v116, v117
	s_cbranch_execz .LBB119_574
	s_branch .LBB119_575
.LBB119_573:
                                        ; implicit-def: $vgpr116
.LBB119_574:
	ds_read_b32 v116, v114
.LBB119_575:
	v_cmp_ne_u32_e32 vcc, 3, v0
	s_and_saveexec_b64 s[8:9], vcc
	s_cbranch_execz .LBB119_579
; %bb.576:
	v_mov_b32_e32 v118, 0
	v_add_u32_e32 v117, 0xe4, v1
	v_add3_u32 v118, v1, v118, 4
	s_mov_b64 s[10:11], 0
	v_mov_b32_e32 v119, v0
.LBB119_577:                            ; =>This Inner Loop Header: Depth=1
	buffer_load_dword v120, v118, s[0:3], 0 offen
	ds_read_b32 v121, v117
	v_add_u32_e32 v119, 1, v119
	v_cmp_lt_u32_e32 vcc, 2, v119
	v_add_u32_e32 v117, 4, v117
	v_add_u32_e32 v118, 4, v118
	s_or_b64 s[10:11], vcc, s[10:11]
	s_waitcnt vmcnt(0) lgkmcnt(0)
	v_fmac_f32_e32 v116, v120, v121
	s_andn2_b64 exec, exec, s[10:11]
	s_cbranch_execnz .LBB119_577
; %bb.578:
	s_or_b64 exec, exec, s[10:11]
.LBB119_579:
	s_or_b64 exec, exec, s[8:9]
	v_mov_b32_e32 v117, 0
	ds_read_b32 v117, v117 offset:16
	s_waitcnt lgkmcnt(0)
	v_mul_f32_e32 v116, v116, v117
	buffer_store_dword v116, off, s[0:3], 0 offset:16
.LBB119_580:
	s_or_b64 exec, exec, s[6:7]
	buffer_load_dword v116, off, s[0:3], 0 offset:20
	v_cmp_gt_u32_e32 vcc, 5, v0
	s_waitcnt vmcnt(0)
	ds_write_b32 v114, v116
	s_waitcnt lgkmcnt(0)
	; wave barrier
	s_waitcnt lgkmcnt(0)
	s_and_saveexec_b64 s[6:7], vcc
	s_cbranch_execz .LBB119_590
; %bb.581:
	s_and_b64 vcc, exec, s[4:5]
	s_cbranch_vccnz .LBB119_583
; %bb.582:
	buffer_load_dword v116, v115, s[0:3], 0 offen
	ds_read_b32 v117, v114
	s_waitcnt vmcnt(0) lgkmcnt(0)
	v_mul_f32_e32 v116, v116, v117
	s_cbranch_execz .LBB119_584
	s_branch .LBB119_585
.LBB119_583:
                                        ; implicit-def: $vgpr116
.LBB119_584:
	ds_read_b32 v116, v114
.LBB119_585:
	v_cmp_ne_u32_e32 vcc, 4, v0
	s_and_saveexec_b64 s[8:9], vcc
	s_cbranch_execz .LBB119_589
; %bb.586:
	v_mov_b32_e32 v118, 0
	v_add_u32_e32 v117, 0xe4, v1
	v_add3_u32 v118, v1, v118, 4
	s_mov_b64 s[10:11], 0
	v_mov_b32_e32 v119, v0
.LBB119_587:                            ; =>This Inner Loop Header: Depth=1
	buffer_load_dword v120, v118, s[0:3], 0 offen
	ds_read_b32 v121, v117
	v_add_u32_e32 v119, 1, v119
	v_cmp_lt_u32_e32 vcc, 3, v119
	v_add_u32_e32 v117, 4, v117
	v_add_u32_e32 v118, 4, v118
	s_or_b64 s[10:11], vcc, s[10:11]
	s_waitcnt vmcnt(0) lgkmcnt(0)
	v_fmac_f32_e32 v116, v120, v121
	s_andn2_b64 exec, exec, s[10:11]
	s_cbranch_execnz .LBB119_587
; %bb.588:
	s_or_b64 exec, exec, s[10:11]
.LBB119_589:
	s_or_b64 exec, exec, s[8:9]
	v_mov_b32_e32 v117, 0
	ds_read_b32 v117, v117 offset:20
	s_waitcnt lgkmcnt(0)
	v_mul_f32_e32 v116, v116, v117
	buffer_store_dword v116, off, s[0:3], 0 offset:20
.LBB119_590:
	;; [unrolled: 56-line block ×43, first 2 shown]
	s_or_b64 exec, exec, s[6:7]
	buffer_load_dword v116, off, s[0:3], 0 offset:188
	v_cmp_gt_u32_e32 vcc, 47, v0
	s_waitcnt vmcnt(0)
	ds_write_b32 v114, v116
	s_waitcnt lgkmcnt(0)
	; wave barrier
	s_waitcnt lgkmcnt(0)
	s_and_saveexec_b64 s[6:7], vcc
	s_cbranch_execz .LBB119_1010
; %bb.1001:
	s_and_b64 vcc, exec, s[4:5]
	s_cbranch_vccnz .LBB119_1003
; %bb.1002:
	buffer_load_dword v116, v115, s[0:3], 0 offen
	ds_read_b32 v117, v114
	s_waitcnt vmcnt(0) lgkmcnt(0)
	v_mul_f32_e32 v116, v116, v117
	s_cbranch_execz .LBB119_1004
	s_branch .LBB119_1005
.LBB119_1003:
                                        ; implicit-def: $vgpr116
.LBB119_1004:
	ds_read_b32 v116, v114
.LBB119_1005:
	v_cmp_ne_u32_e32 vcc, 46, v0
	s_and_saveexec_b64 s[8:9], vcc
	s_cbranch_execz .LBB119_1009
; %bb.1006:
	v_mov_b32_e32 v118, 0
	v_add_u32_e32 v117, 0xe4, v1
	v_add3_u32 v118, v1, v118, 4
	s_mov_b64 s[10:11], 0
	v_mov_b32_e32 v119, v0
.LBB119_1007:                           ; =>This Inner Loop Header: Depth=1
	buffer_load_dword v120, v118, s[0:3], 0 offen
	ds_read_b32 v121, v117
	v_add_u32_e32 v119, 1, v119
	v_cmp_lt_u32_e32 vcc, 45, v119
	v_add_u32_e32 v117, 4, v117
	v_add_u32_e32 v118, 4, v118
	s_or_b64 s[10:11], vcc, s[10:11]
	s_waitcnt vmcnt(0) lgkmcnt(0)
	v_fmac_f32_e32 v116, v120, v121
	s_andn2_b64 exec, exec, s[10:11]
	s_cbranch_execnz .LBB119_1007
; %bb.1008:
	s_or_b64 exec, exec, s[10:11]
.LBB119_1009:
	s_or_b64 exec, exec, s[8:9]
	v_mov_b32_e32 v117, 0
	ds_read_b32 v117, v117 offset:188
	s_waitcnt lgkmcnt(0)
	v_mul_f32_e32 v116, v116, v117
	buffer_store_dword v116, off, s[0:3], 0 offset:188
.LBB119_1010:
	s_or_b64 exec, exec, s[6:7]
	buffer_load_dword v116, off, s[0:3], 0 offset:192
	v_cmp_gt_u32_e32 vcc, 48, v0
	s_waitcnt vmcnt(0)
	ds_write_b32 v114, v116
	s_waitcnt lgkmcnt(0)
	; wave barrier
	s_waitcnt lgkmcnt(0)
	s_and_saveexec_b64 s[6:7], vcc
	s_cbranch_execz .LBB119_1020
; %bb.1011:
	s_and_b64 vcc, exec, s[4:5]
	s_cbranch_vccnz .LBB119_1013
; %bb.1012:
	buffer_load_dword v116, v115, s[0:3], 0 offen
	ds_read_b32 v117, v114
	s_waitcnt vmcnt(0) lgkmcnt(0)
	v_mul_f32_e32 v116, v116, v117
	s_cbranch_execz .LBB119_1014
	s_branch .LBB119_1015
.LBB119_1013:
                                        ; implicit-def: $vgpr116
.LBB119_1014:
	ds_read_b32 v116, v114
.LBB119_1015:
	v_cmp_ne_u32_e32 vcc, 47, v0
	s_and_saveexec_b64 s[8:9], vcc
	s_cbranch_execz .LBB119_1019
; %bb.1016:
	v_mov_b32_e32 v118, 0
	v_add_u32_e32 v117, 0xe4, v1
	v_add3_u32 v118, v1, v118, 4
	s_mov_b64 s[10:11], 0
	v_mov_b32_e32 v119, v0
.LBB119_1017:                           ; =>This Inner Loop Header: Depth=1
	buffer_load_dword v120, v118, s[0:3], 0 offen
	ds_read_b32 v121, v117
	v_add_u32_e32 v119, 1, v119
	v_cmp_lt_u32_e32 vcc, 46, v119
	v_add_u32_e32 v117, 4, v117
	v_add_u32_e32 v118, 4, v118
	s_or_b64 s[10:11], vcc, s[10:11]
	s_waitcnt vmcnt(0) lgkmcnt(0)
	v_fmac_f32_e32 v116, v120, v121
	s_andn2_b64 exec, exec, s[10:11]
	s_cbranch_execnz .LBB119_1017
; %bb.1018:
	s_or_b64 exec, exec, s[10:11]
.LBB119_1019:
	s_or_b64 exec, exec, s[8:9]
	v_mov_b32_e32 v117, 0
	ds_read_b32 v117, v117 offset:192
	s_waitcnt lgkmcnt(0)
	v_mul_f32_e32 v116, v116, v117
	buffer_store_dword v116, off, s[0:3], 0 offset:192
.LBB119_1020:
	;; [unrolled: 56-line block ×7, first 2 shown]
	s_or_b64 exec, exec, s[6:7]
	buffer_load_dword v116, off, s[0:3], 0 offset:216
	v_cmp_gt_u32_e64 s[6:7], 54, v0
	s_waitcnt vmcnt(0)
	ds_write_b32 v114, v116
	s_waitcnt lgkmcnt(0)
	; wave barrier
	s_waitcnt lgkmcnt(0)
	s_and_saveexec_b64 s[8:9], s[6:7]
	s_cbranch_execz .LBB119_1080
; %bb.1071:
	s_and_b64 vcc, exec, s[4:5]
	s_cbranch_vccnz .LBB119_1073
; %bb.1072:
	buffer_load_dword v116, v115, s[0:3], 0 offen
	ds_read_b32 v117, v114
	s_waitcnt vmcnt(0) lgkmcnt(0)
	v_mul_f32_e32 v116, v116, v117
	s_cbranch_execz .LBB119_1074
	s_branch .LBB119_1075
.LBB119_1073:
                                        ; implicit-def: $vgpr116
.LBB119_1074:
	ds_read_b32 v116, v114
.LBB119_1075:
	v_cmp_ne_u32_e32 vcc, 53, v0
	s_and_saveexec_b64 s[10:11], vcc
	s_cbranch_execz .LBB119_1079
; %bb.1076:
	v_mov_b32_e32 v118, 0
	v_add_u32_e32 v117, 0xe4, v1
	v_add3_u32 v118, v1, v118, 4
	s_mov_b64 s[12:13], 0
	v_mov_b32_e32 v119, v0
.LBB119_1077:                           ; =>This Inner Loop Header: Depth=1
	buffer_load_dword v120, v118, s[0:3], 0 offen
	ds_read_b32 v121, v117
	v_add_u32_e32 v119, 1, v119
	v_cmp_lt_u32_e32 vcc, 52, v119
	v_add_u32_e32 v117, 4, v117
	v_add_u32_e32 v118, 4, v118
	s_or_b64 s[12:13], vcc, s[12:13]
	s_waitcnt vmcnt(0) lgkmcnt(0)
	v_fmac_f32_e32 v116, v120, v121
	s_andn2_b64 exec, exec, s[12:13]
	s_cbranch_execnz .LBB119_1077
; %bb.1078:
	s_or_b64 exec, exec, s[12:13]
.LBB119_1079:
	s_or_b64 exec, exec, s[10:11]
	v_mov_b32_e32 v117, 0
	ds_read_b32 v117, v117 offset:216
	s_waitcnt lgkmcnt(0)
	v_mul_f32_e32 v116, v116, v117
	buffer_store_dword v116, off, s[0:3], 0 offset:216
.LBB119_1080:
	s_or_b64 exec, exec, s[8:9]
	buffer_load_dword v116, off, s[0:3], 0 offset:220
	v_cmp_ne_u32_e32 vcc, 55, v0
	s_waitcnt vmcnt(0)
	ds_write_b32 v114, v116
	s_waitcnt lgkmcnt(0)
	; wave barrier
	s_waitcnt lgkmcnt(0)
	s_and_saveexec_b64 s[8:9], vcc
	s_cbranch_execz .LBB119_1090
; %bb.1081:
	s_and_b64 vcc, exec, s[4:5]
	s_cbranch_vccnz .LBB119_1083
; %bb.1082:
	buffer_load_dword v115, v115, s[0:3], 0 offen
	ds_read_b32 v116, v114
	s_waitcnt vmcnt(0) lgkmcnt(0)
	v_mul_f32_e32 v115, v115, v116
	s_cbranch_execz .LBB119_1084
	s_branch .LBB119_1085
.LBB119_1083:
                                        ; implicit-def: $vgpr115
.LBB119_1084:
	ds_read_b32 v115, v114
.LBB119_1085:
	s_and_saveexec_b64 s[4:5], s[6:7]
	s_cbranch_execz .LBB119_1089
; %bb.1086:
	v_mov_b32_e32 v116, 0
	v_add_u32_e32 v114, 0xe4, v1
	v_add3_u32 v1, v1, v116, 4
	s_mov_b64 s[6:7], 0
.LBB119_1087:                           ; =>This Inner Loop Header: Depth=1
	buffer_load_dword v116, v1, s[0:3], 0 offen
	ds_read_b32 v117, v114
	v_add_u32_e32 v0, 1, v0
	v_cmp_lt_u32_e32 vcc, 53, v0
	v_add_u32_e32 v114, 4, v114
	v_add_u32_e32 v1, 4, v1
	s_or_b64 s[6:7], vcc, s[6:7]
	s_waitcnt vmcnt(0) lgkmcnt(0)
	v_fmac_f32_e32 v115, v116, v117
	s_andn2_b64 exec, exec, s[6:7]
	s_cbranch_execnz .LBB119_1087
; %bb.1088:
	s_or_b64 exec, exec, s[6:7]
.LBB119_1089:
	s_or_b64 exec, exec, s[4:5]
	v_mov_b32_e32 v0, 0
	ds_read_b32 v0, v0 offset:220
	s_waitcnt lgkmcnt(0)
	v_mul_f32_e32 v0, v115, v0
	buffer_store_dword v0, off, s[0:3], 0 offset:220
.LBB119_1090:
	s_or_b64 exec, exec, s[8:9]
.LBB119_1091:
	buffer_load_dword v0, off, s[0:3], 0
	buffer_load_dword v1, off, s[0:3], 0 offset:4
	buffer_load_dword v114, off, s[0:3], 0 offset:8
	;; [unrolled: 1-line block ×47, first 2 shown]
	s_waitcnt vmcnt(47)
	global_store_dword v[110:111], v0, off
	s_waitcnt vmcnt(47)
	global_store_dword v[112:113], v1, off
	buffer_load_dword v0, off, s[0:3], 0 offset:192
	s_nop 0
	buffer_load_dword v1, off, s[0:3], 0 offset:196
	buffer_load_dword v110, off, s[0:3], 0 offset:200
	;; [unrolled: 1-line block ×7, first 2 shown]
	s_waitcnt vmcnt(55)
	global_store_dword v[2:3], v114, off
	s_waitcnt vmcnt(55)
	global_store_dword v[4:5], v115, off
	;; [unrolled: 2-line block ×54, first 2 shown]
.LBB119_1092:
	s_endpgm
	.section	.rodata,"a",@progbits
	.p2align	6, 0x0
	.amdhsa_kernel _ZN9rocsolver6v33100L18trti2_kernel_smallILi56EfPKPfEEv13rocblas_fill_17rocblas_diagonal_T1_iil
		.amdhsa_group_segment_fixed_size 448
		.amdhsa_private_segment_fixed_size 240
		.amdhsa_kernarg_size 32
		.amdhsa_user_sgpr_count 8
		.amdhsa_user_sgpr_private_segment_buffer 1
		.amdhsa_user_sgpr_dispatch_ptr 0
		.amdhsa_user_sgpr_queue_ptr 0
		.amdhsa_user_sgpr_kernarg_segment_ptr 1
		.amdhsa_user_sgpr_dispatch_id 0
		.amdhsa_user_sgpr_flat_scratch_init 1
		.amdhsa_user_sgpr_kernarg_preload_length 0
		.amdhsa_user_sgpr_kernarg_preload_offset 0
		.amdhsa_user_sgpr_private_segment_size 0
		.amdhsa_uses_dynamic_stack 0
		.amdhsa_system_sgpr_private_segment_wavefront_offset 1
		.amdhsa_system_sgpr_workgroup_id_x 1
		.amdhsa_system_sgpr_workgroup_id_y 0
		.amdhsa_system_sgpr_workgroup_id_z 0
		.amdhsa_system_sgpr_workgroup_info 0
		.amdhsa_system_vgpr_workitem_id 0
		.amdhsa_next_free_vgpr 164
		.amdhsa_next_free_sgpr 16
		.amdhsa_accum_offset 164
		.amdhsa_reserve_vcc 1
		.amdhsa_reserve_flat_scratch 0
		.amdhsa_float_round_mode_32 0
		.amdhsa_float_round_mode_16_64 0
		.amdhsa_float_denorm_mode_32 3
		.amdhsa_float_denorm_mode_16_64 3
		.amdhsa_dx10_clamp 1
		.amdhsa_ieee_mode 1
		.amdhsa_fp16_overflow 0
		.amdhsa_tg_split 0
		.amdhsa_exception_fp_ieee_invalid_op 0
		.amdhsa_exception_fp_denorm_src 0
		.amdhsa_exception_fp_ieee_div_zero 0
		.amdhsa_exception_fp_ieee_overflow 0
		.amdhsa_exception_fp_ieee_underflow 0
		.amdhsa_exception_fp_ieee_inexact 0
		.amdhsa_exception_int_div_zero 0
	.end_amdhsa_kernel
	.section	.text._ZN9rocsolver6v33100L18trti2_kernel_smallILi56EfPKPfEEv13rocblas_fill_17rocblas_diagonal_T1_iil,"axG",@progbits,_ZN9rocsolver6v33100L18trti2_kernel_smallILi56EfPKPfEEv13rocblas_fill_17rocblas_diagonal_T1_iil,comdat
.Lfunc_end119:
	.size	_ZN9rocsolver6v33100L18trti2_kernel_smallILi56EfPKPfEEv13rocblas_fill_17rocblas_diagonal_T1_iil, .Lfunc_end119-_ZN9rocsolver6v33100L18trti2_kernel_smallILi56EfPKPfEEv13rocblas_fill_17rocblas_diagonal_T1_iil
                                        ; -- End function
	.section	.AMDGPU.csdata,"",@progbits
; Kernel info:
; codeLenInByte = 27488
; NumSgprs: 20
; NumVgprs: 164
; NumAgprs: 0
; TotalNumVgprs: 164
; ScratchSize: 240
; MemoryBound: 0
; FloatMode: 240
; IeeeMode: 1
; LDSByteSize: 448 bytes/workgroup (compile time only)
; SGPRBlocks: 2
; VGPRBlocks: 20
; NumSGPRsForWavesPerEU: 20
; NumVGPRsForWavesPerEU: 164
; AccumOffset: 164
; Occupancy: 3
; WaveLimiterHint : 1
; COMPUTE_PGM_RSRC2:SCRATCH_EN: 1
; COMPUTE_PGM_RSRC2:USER_SGPR: 8
; COMPUTE_PGM_RSRC2:TRAP_HANDLER: 0
; COMPUTE_PGM_RSRC2:TGID_X_EN: 1
; COMPUTE_PGM_RSRC2:TGID_Y_EN: 0
; COMPUTE_PGM_RSRC2:TGID_Z_EN: 0
; COMPUTE_PGM_RSRC2:TIDIG_COMP_CNT: 0
; COMPUTE_PGM_RSRC3_GFX90A:ACCUM_OFFSET: 40
; COMPUTE_PGM_RSRC3_GFX90A:TG_SPLIT: 0
	.section	.text._ZN9rocsolver6v33100L18trti2_kernel_smallILi57EfPKPfEEv13rocblas_fill_17rocblas_diagonal_T1_iil,"axG",@progbits,_ZN9rocsolver6v33100L18trti2_kernel_smallILi57EfPKPfEEv13rocblas_fill_17rocblas_diagonal_T1_iil,comdat
	.globl	_ZN9rocsolver6v33100L18trti2_kernel_smallILi57EfPKPfEEv13rocblas_fill_17rocblas_diagonal_T1_iil ; -- Begin function _ZN9rocsolver6v33100L18trti2_kernel_smallILi57EfPKPfEEv13rocblas_fill_17rocblas_diagonal_T1_iil
	.p2align	8
	.type	_ZN9rocsolver6v33100L18trti2_kernel_smallILi57EfPKPfEEv13rocblas_fill_17rocblas_diagonal_T1_iil,@function
_ZN9rocsolver6v33100L18trti2_kernel_smallILi57EfPKPfEEv13rocblas_fill_17rocblas_diagonal_T1_iil: ; @_ZN9rocsolver6v33100L18trti2_kernel_smallILi57EfPKPfEEv13rocblas_fill_17rocblas_diagonal_T1_iil
; %bb.0:
	s_add_u32 s0, s0, s9
	s_addc_u32 s1, s1, 0
	v_cmp_gt_u32_e32 vcc, 57, v0
	s_and_saveexec_b64 s[6:7], vcc
	s_cbranch_execz .LBB120_1112
; %bb.1:
	s_load_dwordx2 s[6:7], s[4:5], 0x10
	s_load_dwordx4 s[12:15], s[4:5], 0x0
	s_ashr_i32 s9, s8, 31
	s_lshl_b64 s[4:5], s[8:9], 3
	s_waitcnt lgkmcnt(0)
	s_ashr_i32 s9, s6, 31
	s_add_u32 s4, s14, s4
	s_addc_u32 s5, s15, s5
	s_load_dwordx2 s[4:5], s[4:5], 0x0
	s_mov_b32 s8, s6
	s_lshl_b64 s[8:9], s[8:9], 2
	s_waitcnt lgkmcnt(0)
	s_add_u32 s4, s4, s8
	s_addc_u32 s5, s5, s9
	s_add_i32 s6, s7, s7
	v_add_u32_e32 v4, s6, v0
	v_ashrrev_i32_e32 v5, 31, v4
	v_lshlrev_b64 v[2:3], 2, v[4:5]
	v_add_u32_e32 v6, s7, v4
	v_mov_b32_e32 v1, s5
	v_add_co_u32_e32 v2, vcc, s4, v2
	v_ashrrev_i32_e32 v7, 31, v6
	v_addc_co_u32_e32 v3, vcc, v1, v3, vcc
	v_lshlrev_b64 v[4:5], 2, v[6:7]
	v_add_u32_e32 v8, s7, v6
	v_add_co_u32_e32 v4, vcc, s4, v4
	v_ashrrev_i32_e32 v9, 31, v8
	v_addc_co_u32_e32 v5, vcc, v1, v5, vcc
	v_lshlrev_b64 v[6:7], 2, v[8:9]
	v_add_u32_e32 v10, s7, v8
	;; [unrolled: 5-line block ×44, first 2 shown]
	v_add_co_u32_e32 v90, vcc, s4, v90
	v_ashrrev_i32_e32 v95, 31, v94
	v_addc_co_u32_e32 v91, vcc, v1, v91, vcc
	v_lshlrev_b64 v[92:93], 2, v[94:95]
	v_add_co_u32_e32 v92, vcc, s4, v92
	v_addc_co_u32_e32 v93, vcc, v1, v93, vcc
	v_lshlrev_b32_e32 v1, 2, v0
	v_add_u32_e32 v96, s7, v94
	v_mov_b32_e32 v94, s5
	v_add_co_u32_e32 v112, vcc, s4, v1
	s_ashr_i32 s9, s7, 31
	s_mov_b32 s8, s7
	v_addc_co_u32_e32 v113, vcc, 0, v94, vcc
	s_lshl_b64 s[8:9], s[8:9], 2
	v_mov_b32_e32 v94, s9
	v_add_co_u32_e32 v114, vcc, s8, v112
	v_addc_co_u32_e32 v115, vcc, v113, v94, vcc
	global_load_dword v116, v1, s[4:5]
	global_load_dword v117, v[114:115], off
	global_load_dword v118, v[2:3], off
	;; [unrolled: 1-line block ×8, first 2 shown]
	v_ashrrev_i32_e32 v97, 31, v96
	v_lshlrev_b64 v[94:95], 2, v[96:97]
	v_mov_b32_e32 v98, s5
	v_add_co_u32_e32 v94, vcc, s4, v94
	v_addc_co_u32_e32 v95, vcc, v98, v95, vcc
	v_add_u32_e32 v98, s7, v96
	v_ashrrev_i32_e32 v99, 31, v98
	v_lshlrev_b64 v[96:97], 2, v[98:99]
	v_mov_b32_e32 v100, s5
	v_add_co_u32_e32 v96, vcc, s4, v96
	v_addc_co_u32_e32 v97, vcc, v100, v97, vcc
	v_add_u32_e32 v100, s7, v98
	;; [unrolled: 6-line block ×7, first 2 shown]
	v_ashrrev_i32_e32 v111, 31, v110
	v_lshlrev_b64 v[108:109], 2, v[110:111]
	v_add_u32_e32 v110, s7, v110
	v_mov_b32_e32 v125, s5
	v_add_co_u32_e32 v108, vcc, s4, v108
	v_ashrrev_i32_e32 v111, 31, v110
	v_addc_co_u32_e32 v109, vcc, v125, v109, vcc
	v_lshlrev_b64 v[110:111], 2, v[110:111]
	v_add_co_u32_e32 v110, vcc, s4, v110
	s_waitcnt vmcnt(8)
	buffer_store_dword v116, off, s[0:3], 0
	s_waitcnt vmcnt(8)
	buffer_store_dword v117, off, s[0:3], 0 offset:4
	s_waitcnt vmcnt(8)
	buffer_store_dword v118, off, s[0:3], 0 offset:8
	;; [unrolled: 2-line block ×5, first 2 shown]
	v_addc_co_u32_e32 v111, vcc, v125, v111, vcc
	global_load_dword v116, v[16:17], off
	global_load_dword v117, v[22:23], off
	;; [unrolled: 1-line block ×40, first 2 shown]
	s_waitcnt vmcnt(48)
	buffer_store_dword v122, off, s[0:3], 0 offset:24
	s_waitcnt vmcnt(48)
	buffer_store_dword v123, off, s[0:3], 0 offset:28
	global_load_dword v122, v[96:97], off
	s_nop 0
	global_load_dword v123, v[110:111], off
	global_load_dword v159, v[106:107], off
	;; [unrolled: 1-line block ×6, first 2 shown]
	s_cmpk_lg_i32 s13, 0x84
	s_waitcnt vmcnt(55)
	buffer_store_dword v124, off, s[0:3], 0 offset:32
	global_load_dword v124, v[108:109], off
	s_waitcnt vmcnt(50)
	buffer_store_dword v116, off, s[0:3], 0 offset:36
	s_waitcnt vmcnt(45)
	buffer_store_dword v125, off, s[0:3], 0 offset:44
	;; [unrolled: 2-line block ×3, first 2 shown]
	buffer_store_dword v117, off, s[0:3], 0 offset:48
	buffer_store_dword v118, off, s[0:3], 0 offset:52
	;; [unrolled: 1-line block ×5, first 2 shown]
	s_waitcnt vmcnt(50)
	buffer_store_dword v127, off, s[0:3], 0 offset:68
	s_waitcnt vmcnt(50)
	buffer_store_dword v128, off, s[0:3], 0 offset:72
	;; [unrolled: 2-line block ×5, first 2 shown]
	buffer_store_dword v131, off, s[0:3], 0 offset:92
	buffer_store_dword v132, off, s[0:3], 0 offset:88
	s_waitcnt vmcnt(49)
	buffer_store_dword v135, off, s[0:3], 0 offset:100
	buffer_store_dword v130, off, s[0:3], 0 offset:96
	s_waitcnt vmcnt(45)
	buffer_store_dword v141, off, s[0:3], 0 offset:108
	s_waitcnt vmcnt(45)
	buffer_store_dword v142, off, s[0:3], 0 offset:104
	buffer_store_dword v139, off, s[0:3], 0 offset:116
	buffer_store_dword v140, off, s[0:3], 0 offset:112
	buffer_store_dword v137, off, s[0:3], 0 offset:124
	buffer_store_dword v138, off, s[0:3], 0 offset:120
	s_waitcnt vmcnt(49)
	buffer_store_dword v143, off, s[0:3], 0 offset:132
	buffer_store_dword v136, off, s[0:3], 0 offset:128
	s_waitcnt vmcnt(45)
	buffer_store_dword v149, off, s[0:3], 0 offset:140
	s_waitcnt vmcnt(45)
	buffer_store_dword v150, off, s[0:3], 0 offset:136
	buffer_store_dword v147, off, s[0:3], 0 offset:148
	buffer_store_dword v148, off, s[0:3], 0 offset:144
	;; [unrolled: 11-line block ×3, first 2 shown]
	buffer_store_dword v153, off, s[0:3], 0 offset:188
	buffer_store_dword v154, off, s[0:3], 0 offset:184
	s_waitcnt vmcnt(47)
	buffer_store_dword v122, off, s[0:3], 0 offset:196
	buffer_store_dword v152, off, s[0:3], 0 offset:192
	s_waitcnt vmcnt(45)
	buffer_store_dword v161, off, s[0:3], 0 offset:204
	s_waitcnt vmcnt(45)
	;; [unrolled: 2-line block ×3, first 2 shown]
	buffer_store_dword v163, off, s[0:3], 0 offset:212
	buffer_store_dword v160, off, s[0:3], 0 offset:208
	s_waitcnt vmcnt(45)
	buffer_store_dword v124, off, s[0:3], 0 offset:220
	buffer_store_dword v159, off, s[0:3], 0 offset:216
	;; [unrolled: 1-line block ×3, first 2 shown]
	s_cselect_b64 s[10:11], -1, 0
	s_cmpk_eq_i32 s13, 0x84
	v_mov_b32_e32 v144, 0
	v_mov_b32_e32 v116, -1.0
	s_cbranch_scc1 .LBB120_3
; %bb.2:
	v_lshl_add_u32 v116, v0, 2, v144
	buffer_load_dword v117, v116, s[0:3], 0 offen
	s_waitcnt vmcnt(0)
	v_div_scale_f32 v118, s[4:5], v117, v117, 1.0
	v_rcp_f32_e32 v119, v118
	v_div_scale_f32 v120, vcc, 1.0, v117, 1.0
	v_fma_f32 v121, -v118, v119, 1.0
	v_fmac_f32_e32 v119, v121, v119
	v_mul_f32_e32 v121, v120, v119
	v_fma_f32 v122, -v118, v121, v120
	v_fmac_f32_e32 v121, v122, v119
	v_fma_f32 v118, -v118, v121, v120
	v_div_fmas_f32 v118, v118, v119, v121
	v_div_fixup_f32 v117, v118, v117, 1.0
	buffer_store_dword v117, v116, s[0:3], 0 offen
	v_xor_b32_e32 v116, 0x80000000, v117
.LBB120_3:
	ds_write_b32 v1, v116
	s_cmpk_eq_i32 s12, 0x79
	v_add_u32_e32 v116, 0xf0, v1
	v_add_u32_e32 v117, 0, v1
	s_mov_b64 s[4:5], -1
	s_cbranch_scc1 .LBB120_557
; %bb.4:
	buffer_load_dword v118, off, s[0:3], 0 offset:220
	v_cmp_eq_u32_e64 s[4:5], 56, v0
	s_waitcnt vmcnt(0)
	ds_write_b32 v116, v118
	s_waitcnt lgkmcnt(0)
	; wave barrier
	s_waitcnt lgkmcnt(0)
	s_and_saveexec_b64 s[6:7], s[4:5]
	s_cbranch_execz .LBB120_10
; %bb.5:
	s_and_b64 vcc, exec, s[10:11]
	s_cbranch_vccz .LBB120_7
; %bb.6:
	buffer_load_dword v118, v117, s[0:3], 0 offen
	ds_read_b32 v119, v116
	s_waitcnt vmcnt(0) lgkmcnt(0)
	v_mul_f32_e32 v118, v118, v119
	s_cbranch_execz .LBB120_8
	s_branch .LBB120_9
.LBB120_7:
                                        ; implicit-def: $vgpr118
.LBB120_8:
	ds_read_b32 v118, v116
.LBB120_9:
	v_mov_b32_e32 v119, 0
	ds_read_b32 v119, v119 offset:220
	s_waitcnt lgkmcnt(0)
	v_mul_f32_e32 v118, v118, v119
	buffer_store_dword v118, off, s[0:3], 0 offset:220
.LBB120_10:
	s_or_b64 exec, exec, s[6:7]
	buffer_load_dword v145, off, s[0:3], 0 offset:216
	v_or_b32_e32 v118, 8, v144
	v_add_u32_e32 v119, 16, v144
	v_add_u32_e32 v120, 24, v144
	;; [unrolled: 1-line block ×26, first 2 shown]
	v_cmp_lt_u32_e64 s[8:9], 54, v0
	s_waitcnt vmcnt(0)
	ds_write_b32 v116, v145
	s_waitcnt lgkmcnt(0)
	; wave barrier
	s_waitcnt lgkmcnt(0)
	s_and_saveexec_b64 s[6:7], s[8:9]
	s_cbranch_execz .LBB120_16
; %bb.11:
	s_andn2_b64 vcc, exec, s[10:11]
	s_cbranch_vccnz .LBB120_13
; %bb.12:
	buffer_load_dword v145, v117, s[0:3], 0 offen
	ds_read_b32 v146, v116
	s_waitcnt vmcnt(0) lgkmcnt(0)
	v_mul_f32_e32 v145, v145, v146
	s_cbranch_execz .LBB120_14
	s_branch .LBB120_15
.LBB120_13:
                                        ; implicit-def: $vgpr145
.LBB120_14:
	ds_read_b32 v145, v116
.LBB120_15:
	buffer_load_dword v148, off, s[0:3], 0 offset:220
	v_mov_b32_e32 v146, 0
	ds_read2_b32 v[146:147], v146 offset0:54 offset1:115
	s_waitcnt vmcnt(0) lgkmcnt(0)
	v_fma_f32 v147, v148, v147, v145
	v_cndmask_b32_e64 v145, v145, v147, s[4:5]
	v_mul_f32_e32 v145, v145, v146
	buffer_store_dword v145, off, s[0:3], 0 offset:216
.LBB120_16:
	s_or_b64 exec, exec, s[6:7]
	buffer_load_dword v145, off, s[0:3], 0 offset:212
	v_cmp_lt_u32_e64 s[6:7], 53, v0
	s_waitcnt vmcnt(0)
	ds_write_b32 v116, v145
	s_waitcnt lgkmcnt(0)
	; wave barrier
	s_waitcnt lgkmcnt(0)
	s_and_saveexec_b64 s[4:5], s[6:7]
	s_cbranch_execz .LBB120_26
; %bb.17:
	s_andn2_b64 vcc, exec, s[10:11]
	s_cbranch_vccnz .LBB120_19
; %bb.18:
	buffer_load_dword v145, v117, s[0:3], 0 offen
	ds_read_b32 v146, v116
	s_waitcnt vmcnt(0) lgkmcnt(0)
	v_mul_f32_e32 v145, v145, v146
	s_cbranch_execz .LBB120_20
	s_branch .LBB120_21
.LBB120_19:
                                        ; implicit-def: $vgpr145
.LBB120_20:
	ds_read_b32 v145, v116
.LBB120_21:
	s_and_saveexec_b64 s[12:13], s[8:9]
	s_cbranch_execz .LBB120_25
; %bb.22:
	v_subrev_u32_e32 v146, 54, v0
	s_movk_i32 s14, 0x1c8
	s_mov_b64 s[8:9], 0
.LBB120_23:                             ; =>This Inner Loop Header: Depth=1
	buffer_load_dword v147, v144, s[0:3], 0 offen
	v_mov_b32_e32 v148, s14
	ds_read_b32 v148, v148
	v_add_u32_e32 v146, -1, v146
	s_add_i32 s14, s14, 4
	v_cmp_eq_u32_e32 vcc, 0, v146
	v_add_u32_e32 v144, 4, v144
	s_or_b64 s[8:9], vcc, s[8:9]
	s_waitcnt vmcnt(0) lgkmcnt(0)
	v_fmac_f32_e32 v145, v147, v148
	s_andn2_b64 exec, exec, s[8:9]
	s_cbranch_execnz .LBB120_23
; %bb.24:
	s_or_b64 exec, exec, s[8:9]
.LBB120_25:
	s_or_b64 exec, exec, s[12:13]
	v_mov_b32_e32 v144, 0
	ds_read_b32 v144, v144 offset:212
	s_waitcnt lgkmcnt(0)
	v_mul_f32_e32 v144, v145, v144
	buffer_store_dword v144, off, s[0:3], 0 offset:212
.LBB120_26:
	s_or_b64 exec, exec, s[4:5]
	buffer_load_dword v144, off, s[0:3], 0 offset:208
	v_cmp_lt_u32_e64 s[4:5], 52, v0
	s_waitcnt vmcnt(0)
	ds_write_b32 v116, v144
	s_waitcnt lgkmcnt(0)
	; wave barrier
	s_waitcnt lgkmcnt(0)
	s_and_saveexec_b64 s[8:9], s[4:5]
	s_cbranch_execz .LBB120_36
; %bb.27:
	s_andn2_b64 vcc, exec, s[10:11]
	s_cbranch_vccnz .LBB120_29
; %bb.28:
	buffer_load_dword v144, v117, s[0:3], 0 offen
	ds_read_b32 v145, v116
	s_waitcnt vmcnt(0) lgkmcnt(0)
	v_mul_f32_e32 v144, v144, v145
	s_cbranch_execz .LBB120_30
	s_branch .LBB120_31
.LBB120_29:
                                        ; implicit-def: $vgpr144
.LBB120_30:
	ds_read_b32 v144, v116
.LBB120_31:
	s_and_saveexec_b64 s[12:13], s[6:7]
	s_cbranch_execz .LBB120_35
; %bb.32:
	v_mov_b32_e32 v145, 0
	v_add_u32_e32 v145, 0xd4, v145
	v_subrev_u32_e32 v146, 53, v0
	s_movk_i32 s14, 0x1c4
	s_mov_b64 s[6:7], 0
.LBB120_33:                             ; =>This Inner Loop Header: Depth=1
	buffer_load_dword v147, v145, s[0:3], 0 offen
	v_mov_b32_e32 v148, s14
	ds_read_b32 v148, v148
	v_add_u32_e32 v146, -1, v146
	s_add_i32 s14, s14, 4
	v_cmp_eq_u32_e32 vcc, 0, v146
	v_add_u32_e32 v145, 4, v145
	s_or_b64 s[6:7], vcc, s[6:7]
	s_waitcnt vmcnt(0) lgkmcnt(0)
	v_fmac_f32_e32 v144, v147, v148
	s_andn2_b64 exec, exec, s[6:7]
	s_cbranch_execnz .LBB120_33
; %bb.34:
	s_or_b64 exec, exec, s[6:7]
.LBB120_35:
	s_or_b64 exec, exec, s[12:13]
	v_mov_b32_e32 v145, 0
	ds_read_b32 v145, v145 offset:208
	s_waitcnt lgkmcnt(0)
	v_mul_f32_e32 v144, v144, v145
	buffer_store_dword v144, off, s[0:3], 0 offset:208
.LBB120_36:
	s_or_b64 exec, exec, s[8:9]
	buffer_load_dword v144, off, s[0:3], 0 offset:204
	v_cmp_lt_u32_e64 s[6:7], 51, v0
	s_waitcnt vmcnt(0)
	ds_write_b32 v116, v144
	s_waitcnt lgkmcnt(0)
	; wave barrier
	s_waitcnt lgkmcnt(0)
	s_and_saveexec_b64 s[8:9], s[6:7]
	s_cbranch_execz .LBB120_46
; %bb.37:
	s_andn2_b64 vcc, exec, s[10:11]
	s_cbranch_vccnz .LBB120_39
; %bb.38:
	buffer_load_dword v144, v117, s[0:3], 0 offen
	ds_read_b32 v145, v116
	s_waitcnt vmcnt(0) lgkmcnt(0)
	v_mul_f32_e32 v144, v144, v145
	s_cbranch_execz .LBB120_40
	s_branch .LBB120_41
.LBB120_39:
                                        ; implicit-def: $vgpr144
.LBB120_40:
	ds_read_b32 v144, v116
.LBB120_41:
	s_and_saveexec_b64 s[12:13], s[4:5]
	s_cbranch_execz .LBB120_45
; %bb.42:
	v_subrev_u32_e32 v145, 52, v0
	s_movk_i32 s14, 0x1c0
	s_mov_b64 s[4:5], 0
.LBB120_43:                             ; =>This Inner Loop Header: Depth=1
	buffer_load_dword v146, v143, s[0:3], 0 offen
	v_mov_b32_e32 v147, s14
	ds_read_b32 v147, v147
	v_add_u32_e32 v145, -1, v145
	s_add_i32 s14, s14, 4
	v_cmp_eq_u32_e32 vcc, 0, v145
	v_add_u32_e32 v143, 4, v143
	s_or_b64 s[4:5], vcc, s[4:5]
	s_waitcnt vmcnt(0) lgkmcnt(0)
	v_fmac_f32_e32 v144, v146, v147
	s_andn2_b64 exec, exec, s[4:5]
	s_cbranch_execnz .LBB120_43
; %bb.44:
	s_or_b64 exec, exec, s[4:5]
.LBB120_45:
	s_or_b64 exec, exec, s[12:13]
	v_mov_b32_e32 v143, 0
	ds_read_b32 v143, v143 offset:204
	s_waitcnt lgkmcnt(0)
	v_mul_f32_e32 v143, v144, v143
	buffer_store_dword v143, off, s[0:3], 0 offset:204
.LBB120_46:
	s_or_b64 exec, exec, s[8:9]
	buffer_load_dword v143, off, s[0:3], 0 offset:200
	v_cmp_lt_u32_e64 s[4:5], 50, v0
	s_waitcnt vmcnt(0)
	ds_write_b32 v116, v143
	s_waitcnt lgkmcnt(0)
	; wave barrier
	s_waitcnt lgkmcnt(0)
	s_and_saveexec_b64 s[8:9], s[4:5]
	s_cbranch_execz .LBB120_56
; %bb.47:
	s_andn2_b64 vcc, exec, s[10:11]
	s_cbranch_vccnz .LBB120_49
; %bb.48:
	buffer_load_dword v143, v117, s[0:3], 0 offen
	ds_read_b32 v144, v116
	s_waitcnt vmcnt(0) lgkmcnt(0)
	v_mul_f32_e32 v143, v143, v144
	s_cbranch_execz .LBB120_50
	s_branch .LBB120_51
.LBB120_49:
                                        ; implicit-def: $vgpr143
.LBB120_50:
	ds_read_b32 v143, v116
.LBB120_51:
	s_and_saveexec_b64 s[12:13], s[6:7]
	s_cbranch_execz .LBB120_55
; %bb.52:
	v_mov_b32_e32 v144, 0
	v_add_u32_e32 v144, 0xcc, v144
	v_subrev_u32_e32 v145, 51, v0
	s_movk_i32 s14, 0x1bc
	s_mov_b64 s[6:7], 0
.LBB120_53:                             ; =>This Inner Loop Header: Depth=1
	buffer_load_dword v146, v144, s[0:3], 0 offen
	v_mov_b32_e32 v147, s14
	ds_read_b32 v147, v147
	v_add_u32_e32 v145, -1, v145
	s_add_i32 s14, s14, 4
	v_cmp_eq_u32_e32 vcc, 0, v145
	v_add_u32_e32 v144, 4, v144
	s_or_b64 s[6:7], vcc, s[6:7]
	s_waitcnt vmcnt(0) lgkmcnt(0)
	v_fmac_f32_e32 v143, v146, v147
	s_andn2_b64 exec, exec, s[6:7]
	s_cbranch_execnz .LBB120_53
; %bb.54:
	s_or_b64 exec, exec, s[6:7]
.LBB120_55:
	s_or_b64 exec, exec, s[12:13]
	v_mov_b32_e32 v144, 0
	ds_read_b32 v144, v144 offset:200
	s_waitcnt lgkmcnt(0)
	v_mul_f32_e32 v143, v143, v144
	buffer_store_dword v143, off, s[0:3], 0 offset:200
.LBB120_56:
	s_or_b64 exec, exec, s[8:9]
	buffer_load_dword v143, off, s[0:3], 0 offset:196
	v_cmp_lt_u32_e64 s[6:7], 49, v0
	s_waitcnt vmcnt(0)
	ds_write_b32 v116, v143
	s_waitcnt lgkmcnt(0)
	; wave barrier
	s_waitcnt lgkmcnt(0)
	s_and_saveexec_b64 s[8:9], s[6:7]
	s_cbranch_execz .LBB120_66
; %bb.57:
	s_andn2_b64 vcc, exec, s[10:11]
	s_cbranch_vccnz .LBB120_59
; %bb.58:
	buffer_load_dword v143, v117, s[0:3], 0 offen
	ds_read_b32 v144, v116
	s_waitcnt vmcnt(0) lgkmcnt(0)
	v_mul_f32_e32 v143, v143, v144
	s_cbranch_execz .LBB120_60
	s_branch .LBB120_61
.LBB120_59:
                                        ; implicit-def: $vgpr143
.LBB120_60:
	ds_read_b32 v143, v116
.LBB120_61:
	s_and_saveexec_b64 s[12:13], s[4:5]
	s_cbranch_execz .LBB120_65
; %bb.62:
	v_subrev_u32_e32 v144, 50, v0
	s_movk_i32 s14, 0x1b8
	s_mov_b64 s[4:5], 0
.LBB120_63:                             ; =>This Inner Loop Header: Depth=1
	buffer_load_dword v145, v142, s[0:3], 0 offen
	v_mov_b32_e32 v146, s14
	ds_read_b32 v146, v146
	v_add_u32_e32 v144, -1, v144
	s_add_i32 s14, s14, 4
	v_cmp_eq_u32_e32 vcc, 0, v144
	v_add_u32_e32 v142, 4, v142
	s_or_b64 s[4:5], vcc, s[4:5]
	s_waitcnt vmcnt(0) lgkmcnt(0)
	v_fmac_f32_e32 v143, v145, v146
	s_andn2_b64 exec, exec, s[4:5]
	s_cbranch_execnz .LBB120_63
; %bb.64:
	s_or_b64 exec, exec, s[4:5]
.LBB120_65:
	s_or_b64 exec, exec, s[12:13]
	v_mov_b32_e32 v142, 0
	ds_read_b32 v142, v142 offset:196
	s_waitcnt lgkmcnt(0)
	v_mul_f32_e32 v142, v143, v142
	buffer_store_dword v142, off, s[0:3], 0 offset:196
.LBB120_66:
	s_or_b64 exec, exec, s[8:9]
	buffer_load_dword v142, off, s[0:3], 0 offset:192
	v_cmp_lt_u32_e64 s[4:5], 48, v0
	s_waitcnt vmcnt(0)
	ds_write_b32 v116, v142
	s_waitcnt lgkmcnt(0)
	; wave barrier
	s_waitcnt lgkmcnt(0)
	s_and_saveexec_b64 s[8:9], s[4:5]
	s_cbranch_execz .LBB120_76
; %bb.67:
	s_andn2_b64 vcc, exec, s[10:11]
	s_cbranch_vccnz .LBB120_69
; %bb.68:
	buffer_load_dword v142, v117, s[0:3], 0 offen
	ds_read_b32 v143, v116
	s_waitcnt vmcnt(0) lgkmcnt(0)
	v_mul_f32_e32 v142, v142, v143
	s_cbranch_execz .LBB120_70
	s_branch .LBB120_71
.LBB120_69:
                                        ; implicit-def: $vgpr142
.LBB120_70:
	ds_read_b32 v142, v116
.LBB120_71:
	s_and_saveexec_b64 s[12:13], s[6:7]
	s_cbranch_execz .LBB120_75
; %bb.72:
	v_mov_b32_e32 v143, 0
	v_add_u32_e32 v143, 0xc4, v143
	v_subrev_u32_e32 v144, 49, v0
	s_movk_i32 s14, 0x1b4
	s_mov_b64 s[6:7], 0
.LBB120_73:                             ; =>This Inner Loop Header: Depth=1
	buffer_load_dword v145, v143, s[0:3], 0 offen
	v_mov_b32_e32 v146, s14
	ds_read_b32 v146, v146
	v_add_u32_e32 v144, -1, v144
	s_add_i32 s14, s14, 4
	v_cmp_eq_u32_e32 vcc, 0, v144
	v_add_u32_e32 v143, 4, v143
	s_or_b64 s[6:7], vcc, s[6:7]
	s_waitcnt vmcnt(0) lgkmcnt(0)
	v_fmac_f32_e32 v142, v145, v146
	s_andn2_b64 exec, exec, s[6:7]
	s_cbranch_execnz .LBB120_73
; %bb.74:
	s_or_b64 exec, exec, s[6:7]
.LBB120_75:
	s_or_b64 exec, exec, s[12:13]
	v_mov_b32_e32 v143, 0
	ds_read_b32 v143, v143 offset:192
	s_waitcnt lgkmcnt(0)
	v_mul_f32_e32 v142, v142, v143
	buffer_store_dword v142, off, s[0:3], 0 offset:192
.LBB120_76:
	s_or_b64 exec, exec, s[8:9]
	buffer_load_dword v142, off, s[0:3], 0 offset:188
	v_cmp_lt_u32_e64 s[6:7], 47, v0
	s_waitcnt vmcnt(0)
	ds_write_b32 v116, v142
	s_waitcnt lgkmcnt(0)
	; wave barrier
	s_waitcnt lgkmcnt(0)
	s_and_saveexec_b64 s[8:9], s[6:7]
	s_cbranch_execz .LBB120_86
; %bb.77:
	s_andn2_b64 vcc, exec, s[10:11]
	s_cbranch_vccnz .LBB120_79
; %bb.78:
	buffer_load_dword v142, v117, s[0:3], 0 offen
	ds_read_b32 v143, v116
	s_waitcnt vmcnt(0) lgkmcnt(0)
	v_mul_f32_e32 v142, v142, v143
	s_cbranch_execz .LBB120_80
	s_branch .LBB120_81
.LBB120_79:
                                        ; implicit-def: $vgpr142
.LBB120_80:
	ds_read_b32 v142, v116
.LBB120_81:
	s_and_saveexec_b64 s[12:13], s[4:5]
	s_cbranch_execz .LBB120_85
; %bb.82:
	v_subrev_u32_e32 v143, 48, v0
	s_movk_i32 s14, 0x1b0
	s_mov_b64 s[4:5], 0
.LBB120_83:                             ; =>This Inner Loop Header: Depth=1
	buffer_load_dword v144, v141, s[0:3], 0 offen
	v_mov_b32_e32 v145, s14
	ds_read_b32 v145, v145
	v_add_u32_e32 v143, -1, v143
	s_add_i32 s14, s14, 4
	v_cmp_eq_u32_e32 vcc, 0, v143
	v_add_u32_e32 v141, 4, v141
	s_or_b64 s[4:5], vcc, s[4:5]
	s_waitcnt vmcnt(0) lgkmcnt(0)
	v_fmac_f32_e32 v142, v144, v145
	s_andn2_b64 exec, exec, s[4:5]
	s_cbranch_execnz .LBB120_83
; %bb.84:
	s_or_b64 exec, exec, s[4:5]
.LBB120_85:
	s_or_b64 exec, exec, s[12:13]
	v_mov_b32_e32 v141, 0
	ds_read_b32 v141, v141 offset:188
	s_waitcnt lgkmcnt(0)
	v_mul_f32_e32 v141, v142, v141
	buffer_store_dword v141, off, s[0:3], 0 offset:188
.LBB120_86:
	s_or_b64 exec, exec, s[8:9]
	buffer_load_dword v141, off, s[0:3], 0 offset:184
	v_cmp_lt_u32_e64 s[4:5], 46, v0
	s_waitcnt vmcnt(0)
	ds_write_b32 v116, v141
	s_waitcnt lgkmcnt(0)
	; wave barrier
	s_waitcnt lgkmcnt(0)
	s_and_saveexec_b64 s[8:9], s[4:5]
	s_cbranch_execz .LBB120_96
; %bb.87:
	s_andn2_b64 vcc, exec, s[10:11]
	s_cbranch_vccnz .LBB120_89
; %bb.88:
	buffer_load_dword v141, v117, s[0:3], 0 offen
	ds_read_b32 v142, v116
	s_waitcnt vmcnt(0) lgkmcnt(0)
	v_mul_f32_e32 v141, v141, v142
	s_cbranch_execz .LBB120_90
	s_branch .LBB120_91
.LBB120_89:
                                        ; implicit-def: $vgpr141
.LBB120_90:
	ds_read_b32 v141, v116
.LBB120_91:
	s_and_saveexec_b64 s[12:13], s[6:7]
	s_cbranch_execz .LBB120_95
; %bb.92:
	v_mov_b32_e32 v142, 0
	v_add_u32_e32 v142, 0xbc, v142
	v_subrev_u32_e32 v143, 47, v0
	s_movk_i32 s14, 0x1ac
	s_mov_b64 s[6:7], 0
.LBB120_93:                             ; =>This Inner Loop Header: Depth=1
	buffer_load_dword v144, v142, s[0:3], 0 offen
	v_mov_b32_e32 v145, s14
	ds_read_b32 v145, v145
	v_add_u32_e32 v143, -1, v143
	s_add_i32 s14, s14, 4
	v_cmp_eq_u32_e32 vcc, 0, v143
	v_add_u32_e32 v142, 4, v142
	s_or_b64 s[6:7], vcc, s[6:7]
	s_waitcnt vmcnt(0) lgkmcnt(0)
	v_fmac_f32_e32 v141, v144, v145
	s_andn2_b64 exec, exec, s[6:7]
	s_cbranch_execnz .LBB120_93
; %bb.94:
	s_or_b64 exec, exec, s[6:7]
.LBB120_95:
	s_or_b64 exec, exec, s[12:13]
	v_mov_b32_e32 v142, 0
	ds_read_b32 v142, v142 offset:184
	s_waitcnt lgkmcnt(0)
	v_mul_f32_e32 v141, v141, v142
	buffer_store_dword v141, off, s[0:3], 0 offset:184
.LBB120_96:
	s_or_b64 exec, exec, s[8:9]
	buffer_load_dword v141, off, s[0:3], 0 offset:180
	v_cmp_lt_u32_e64 s[6:7], 45, v0
	s_waitcnt vmcnt(0)
	ds_write_b32 v116, v141
	s_waitcnt lgkmcnt(0)
	; wave barrier
	s_waitcnt lgkmcnt(0)
	s_and_saveexec_b64 s[8:9], s[6:7]
	s_cbranch_execz .LBB120_106
; %bb.97:
	s_andn2_b64 vcc, exec, s[10:11]
	s_cbranch_vccnz .LBB120_99
; %bb.98:
	buffer_load_dword v141, v117, s[0:3], 0 offen
	ds_read_b32 v142, v116
	s_waitcnt vmcnt(0) lgkmcnt(0)
	v_mul_f32_e32 v141, v141, v142
	s_cbranch_execz .LBB120_100
	s_branch .LBB120_101
.LBB120_99:
                                        ; implicit-def: $vgpr141
.LBB120_100:
	ds_read_b32 v141, v116
.LBB120_101:
	s_and_saveexec_b64 s[12:13], s[4:5]
	s_cbranch_execz .LBB120_105
; %bb.102:
	v_subrev_u32_e32 v142, 46, v0
	s_movk_i32 s14, 0x1a8
	s_mov_b64 s[4:5], 0
.LBB120_103:                            ; =>This Inner Loop Header: Depth=1
	buffer_load_dword v143, v140, s[0:3], 0 offen
	v_mov_b32_e32 v144, s14
	ds_read_b32 v144, v144
	v_add_u32_e32 v142, -1, v142
	s_add_i32 s14, s14, 4
	v_cmp_eq_u32_e32 vcc, 0, v142
	v_add_u32_e32 v140, 4, v140
	s_or_b64 s[4:5], vcc, s[4:5]
	s_waitcnt vmcnt(0) lgkmcnt(0)
	v_fmac_f32_e32 v141, v143, v144
	s_andn2_b64 exec, exec, s[4:5]
	s_cbranch_execnz .LBB120_103
; %bb.104:
	s_or_b64 exec, exec, s[4:5]
.LBB120_105:
	s_or_b64 exec, exec, s[12:13]
	v_mov_b32_e32 v140, 0
	ds_read_b32 v140, v140 offset:180
	s_waitcnt lgkmcnt(0)
	v_mul_f32_e32 v140, v141, v140
	buffer_store_dword v140, off, s[0:3], 0 offset:180
.LBB120_106:
	s_or_b64 exec, exec, s[8:9]
	buffer_load_dword v140, off, s[0:3], 0 offset:176
	v_cmp_lt_u32_e64 s[4:5], 44, v0
	s_waitcnt vmcnt(0)
	ds_write_b32 v116, v140
	s_waitcnt lgkmcnt(0)
	; wave barrier
	s_waitcnt lgkmcnt(0)
	s_and_saveexec_b64 s[8:9], s[4:5]
	s_cbranch_execz .LBB120_116
; %bb.107:
	s_andn2_b64 vcc, exec, s[10:11]
	s_cbranch_vccnz .LBB120_109
; %bb.108:
	buffer_load_dword v140, v117, s[0:3], 0 offen
	ds_read_b32 v141, v116
	s_waitcnt vmcnt(0) lgkmcnt(0)
	v_mul_f32_e32 v140, v140, v141
	s_cbranch_execz .LBB120_110
	s_branch .LBB120_111
.LBB120_109:
                                        ; implicit-def: $vgpr140
.LBB120_110:
	ds_read_b32 v140, v116
.LBB120_111:
	s_and_saveexec_b64 s[12:13], s[6:7]
	s_cbranch_execz .LBB120_115
; %bb.112:
	v_mov_b32_e32 v141, 0
	v_add_u32_e32 v141, 0xb4, v141
	v_subrev_u32_e32 v142, 45, v0
	s_movk_i32 s14, 0x1a4
	s_mov_b64 s[6:7], 0
.LBB120_113:                            ; =>This Inner Loop Header: Depth=1
	buffer_load_dword v143, v141, s[0:3], 0 offen
	v_mov_b32_e32 v144, s14
	ds_read_b32 v144, v144
	v_add_u32_e32 v142, -1, v142
	s_add_i32 s14, s14, 4
	v_cmp_eq_u32_e32 vcc, 0, v142
	v_add_u32_e32 v141, 4, v141
	s_or_b64 s[6:7], vcc, s[6:7]
	s_waitcnt vmcnt(0) lgkmcnt(0)
	v_fmac_f32_e32 v140, v143, v144
	s_andn2_b64 exec, exec, s[6:7]
	s_cbranch_execnz .LBB120_113
; %bb.114:
	s_or_b64 exec, exec, s[6:7]
.LBB120_115:
	s_or_b64 exec, exec, s[12:13]
	v_mov_b32_e32 v141, 0
	ds_read_b32 v141, v141 offset:176
	s_waitcnt lgkmcnt(0)
	v_mul_f32_e32 v140, v140, v141
	buffer_store_dword v140, off, s[0:3], 0 offset:176
.LBB120_116:
	s_or_b64 exec, exec, s[8:9]
	buffer_load_dword v140, off, s[0:3], 0 offset:172
	v_cmp_lt_u32_e64 s[6:7], 43, v0
	s_waitcnt vmcnt(0)
	ds_write_b32 v116, v140
	s_waitcnt lgkmcnt(0)
	; wave barrier
	s_waitcnt lgkmcnt(0)
	s_and_saveexec_b64 s[8:9], s[6:7]
	s_cbranch_execz .LBB120_126
; %bb.117:
	s_andn2_b64 vcc, exec, s[10:11]
	s_cbranch_vccnz .LBB120_119
; %bb.118:
	buffer_load_dword v140, v117, s[0:3], 0 offen
	ds_read_b32 v141, v116
	s_waitcnt vmcnt(0) lgkmcnt(0)
	v_mul_f32_e32 v140, v140, v141
	s_cbranch_execz .LBB120_120
	s_branch .LBB120_121
.LBB120_119:
                                        ; implicit-def: $vgpr140
.LBB120_120:
	ds_read_b32 v140, v116
.LBB120_121:
	s_and_saveexec_b64 s[12:13], s[4:5]
	s_cbranch_execz .LBB120_125
; %bb.122:
	v_subrev_u32_e32 v141, 44, v0
	s_movk_i32 s14, 0x1a0
	s_mov_b64 s[4:5], 0
.LBB120_123:                            ; =>This Inner Loop Header: Depth=1
	buffer_load_dword v142, v139, s[0:3], 0 offen
	v_mov_b32_e32 v143, s14
	ds_read_b32 v143, v143
	v_add_u32_e32 v141, -1, v141
	s_add_i32 s14, s14, 4
	v_cmp_eq_u32_e32 vcc, 0, v141
	v_add_u32_e32 v139, 4, v139
	s_or_b64 s[4:5], vcc, s[4:5]
	s_waitcnt vmcnt(0) lgkmcnt(0)
	v_fmac_f32_e32 v140, v142, v143
	s_andn2_b64 exec, exec, s[4:5]
	s_cbranch_execnz .LBB120_123
; %bb.124:
	s_or_b64 exec, exec, s[4:5]
.LBB120_125:
	s_or_b64 exec, exec, s[12:13]
	v_mov_b32_e32 v139, 0
	ds_read_b32 v139, v139 offset:172
	s_waitcnt lgkmcnt(0)
	v_mul_f32_e32 v139, v140, v139
	buffer_store_dword v139, off, s[0:3], 0 offset:172
.LBB120_126:
	s_or_b64 exec, exec, s[8:9]
	buffer_load_dword v139, off, s[0:3], 0 offset:168
	v_cmp_lt_u32_e64 s[4:5], 42, v0
	s_waitcnt vmcnt(0)
	ds_write_b32 v116, v139
	s_waitcnt lgkmcnt(0)
	; wave barrier
	s_waitcnt lgkmcnt(0)
	s_and_saveexec_b64 s[8:9], s[4:5]
	s_cbranch_execz .LBB120_136
; %bb.127:
	s_andn2_b64 vcc, exec, s[10:11]
	s_cbranch_vccnz .LBB120_129
; %bb.128:
	buffer_load_dword v139, v117, s[0:3], 0 offen
	ds_read_b32 v140, v116
	s_waitcnt vmcnt(0) lgkmcnt(0)
	v_mul_f32_e32 v139, v139, v140
	s_cbranch_execz .LBB120_130
	s_branch .LBB120_131
.LBB120_129:
                                        ; implicit-def: $vgpr139
.LBB120_130:
	ds_read_b32 v139, v116
.LBB120_131:
	s_and_saveexec_b64 s[12:13], s[6:7]
	s_cbranch_execz .LBB120_135
; %bb.132:
	v_mov_b32_e32 v140, 0
	v_add_u32_e32 v140, 0xac, v140
	v_subrev_u32_e32 v141, 43, v0
	s_movk_i32 s14, 0x19c
	s_mov_b64 s[6:7], 0
.LBB120_133:                            ; =>This Inner Loop Header: Depth=1
	buffer_load_dword v142, v140, s[0:3], 0 offen
	v_mov_b32_e32 v143, s14
	ds_read_b32 v143, v143
	v_add_u32_e32 v141, -1, v141
	s_add_i32 s14, s14, 4
	v_cmp_eq_u32_e32 vcc, 0, v141
	v_add_u32_e32 v140, 4, v140
	s_or_b64 s[6:7], vcc, s[6:7]
	s_waitcnt vmcnt(0) lgkmcnt(0)
	v_fmac_f32_e32 v139, v142, v143
	s_andn2_b64 exec, exec, s[6:7]
	s_cbranch_execnz .LBB120_133
; %bb.134:
	s_or_b64 exec, exec, s[6:7]
.LBB120_135:
	s_or_b64 exec, exec, s[12:13]
	v_mov_b32_e32 v140, 0
	ds_read_b32 v140, v140 offset:168
	s_waitcnt lgkmcnt(0)
	v_mul_f32_e32 v139, v139, v140
	buffer_store_dword v139, off, s[0:3], 0 offset:168
.LBB120_136:
	s_or_b64 exec, exec, s[8:9]
	buffer_load_dword v139, off, s[0:3], 0 offset:164
	v_cmp_lt_u32_e64 s[6:7], 41, v0
	s_waitcnt vmcnt(0)
	ds_write_b32 v116, v139
	s_waitcnt lgkmcnt(0)
	; wave barrier
	s_waitcnt lgkmcnt(0)
	s_and_saveexec_b64 s[8:9], s[6:7]
	s_cbranch_execz .LBB120_146
; %bb.137:
	s_andn2_b64 vcc, exec, s[10:11]
	s_cbranch_vccnz .LBB120_139
; %bb.138:
	buffer_load_dword v139, v117, s[0:3], 0 offen
	ds_read_b32 v140, v116
	s_waitcnt vmcnt(0) lgkmcnt(0)
	v_mul_f32_e32 v139, v139, v140
	s_cbranch_execz .LBB120_140
	s_branch .LBB120_141
.LBB120_139:
                                        ; implicit-def: $vgpr139
.LBB120_140:
	ds_read_b32 v139, v116
.LBB120_141:
	s_and_saveexec_b64 s[12:13], s[4:5]
	s_cbranch_execz .LBB120_145
; %bb.142:
	v_subrev_u32_e32 v140, 42, v0
	s_movk_i32 s14, 0x198
	s_mov_b64 s[4:5], 0
.LBB120_143:                            ; =>This Inner Loop Header: Depth=1
	buffer_load_dword v141, v138, s[0:3], 0 offen
	v_mov_b32_e32 v142, s14
	ds_read_b32 v142, v142
	v_add_u32_e32 v140, -1, v140
	s_add_i32 s14, s14, 4
	v_cmp_eq_u32_e32 vcc, 0, v140
	v_add_u32_e32 v138, 4, v138
	s_or_b64 s[4:5], vcc, s[4:5]
	s_waitcnt vmcnt(0) lgkmcnt(0)
	v_fmac_f32_e32 v139, v141, v142
	s_andn2_b64 exec, exec, s[4:5]
	s_cbranch_execnz .LBB120_143
; %bb.144:
	s_or_b64 exec, exec, s[4:5]
.LBB120_145:
	s_or_b64 exec, exec, s[12:13]
	v_mov_b32_e32 v138, 0
	ds_read_b32 v138, v138 offset:164
	s_waitcnt lgkmcnt(0)
	v_mul_f32_e32 v138, v139, v138
	buffer_store_dword v138, off, s[0:3], 0 offset:164
.LBB120_146:
	s_or_b64 exec, exec, s[8:9]
	buffer_load_dword v138, off, s[0:3], 0 offset:160
	v_cmp_lt_u32_e64 s[4:5], 40, v0
	s_waitcnt vmcnt(0)
	ds_write_b32 v116, v138
	s_waitcnt lgkmcnt(0)
	; wave barrier
	s_waitcnt lgkmcnt(0)
	s_and_saveexec_b64 s[8:9], s[4:5]
	s_cbranch_execz .LBB120_156
; %bb.147:
	s_andn2_b64 vcc, exec, s[10:11]
	s_cbranch_vccnz .LBB120_149
; %bb.148:
	buffer_load_dword v138, v117, s[0:3], 0 offen
	ds_read_b32 v139, v116
	s_waitcnt vmcnt(0) lgkmcnt(0)
	v_mul_f32_e32 v138, v138, v139
	s_cbranch_execz .LBB120_150
	s_branch .LBB120_151
.LBB120_149:
                                        ; implicit-def: $vgpr138
.LBB120_150:
	ds_read_b32 v138, v116
.LBB120_151:
	s_and_saveexec_b64 s[12:13], s[6:7]
	s_cbranch_execz .LBB120_155
; %bb.152:
	v_mov_b32_e32 v139, 0
	v_add_u32_e32 v139, 0xa4, v139
	v_subrev_u32_e32 v140, 41, v0
	s_movk_i32 s14, 0x194
	s_mov_b64 s[6:7], 0
.LBB120_153:                            ; =>This Inner Loop Header: Depth=1
	buffer_load_dword v141, v139, s[0:3], 0 offen
	v_mov_b32_e32 v142, s14
	ds_read_b32 v142, v142
	v_add_u32_e32 v140, -1, v140
	s_add_i32 s14, s14, 4
	v_cmp_eq_u32_e32 vcc, 0, v140
	v_add_u32_e32 v139, 4, v139
	s_or_b64 s[6:7], vcc, s[6:7]
	s_waitcnt vmcnt(0) lgkmcnt(0)
	v_fmac_f32_e32 v138, v141, v142
	s_andn2_b64 exec, exec, s[6:7]
	s_cbranch_execnz .LBB120_153
; %bb.154:
	s_or_b64 exec, exec, s[6:7]
.LBB120_155:
	s_or_b64 exec, exec, s[12:13]
	v_mov_b32_e32 v139, 0
	ds_read_b32 v139, v139 offset:160
	s_waitcnt lgkmcnt(0)
	v_mul_f32_e32 v138, v138, v139
	buffer_store_dword v138, off, s[0:3], 0 offset:160
.LBB120_156:
	s_or_b64 exec, exec, s[8:9]
	buffer_load_dword v138, off, s[0:3], 0 offset:156
	v_cmp_lt_u32_e64 s[6:7], 39, v0
	s_waitcnt vmcnt(0)
	ds_write_b32 v116, v138
	s_waitcnt lgkmcnt(0)
	; wave barrier
	s_waitcnt lgkmcnt(0)
	s_and_saveexec_b64 s[8:9], s[6:7]
	s_cbranch_execz .LBB120_166
; %bb.157:
	s_andn2_b64 vcc, exec, s[10:11]
	s_cbranch_vccnz .LBB120_159
; %bb.158:
	buffer_load_dword v138, v117, s[0:3], 0 offen
	ds_read_b32 v139, v116
	s_waitcnt vmcnt(0) lgkmcnt(0)
	v_mul_f32_e32 v138, v138, v139
	s_cbranch_execz .LBB120_160
	s_branch .LBB120_161
.LBB120_159:
                                        ; implicit-def: $vgpr138
.LBB120_160:
	ds_read_b32 v138, v116
.LBB120_161:
	s_and_saveexec_b64 s[12:13], s[4:5]
	s_cbranch_execz .LBB120_165
; %bb.162:
	v_subrev_u32_e32 v139, 40, v0
	s_movk_i32 s14, 0x190
	s_mov_b64 s[4:5], 0
.LBB120_163:                            ; =>This Inner Loop Header: Depth=1
	buffer_load_dword v140, v137, s[0:3], 0 offen
	v_mov_b32_e32 v141, s14
	ds_read_b32 v141, v141
	v_add_u32_e32 v139, -1, v139
	s_add_i32 s14, s14, 4
	v_cmp_eq_u32_e32 vcc, 0, v139
	v_add_u32_e32 v137, 4, v137
	s_or_b64 s[4:5], vcc, s[4:5]
	s_waitcnt vmcnt(0) lgkmcnt(0)
	v_fmac_f32_e32 v138, v140, v141
	s_andn2_b64 exec, exec, s[4:5]
	s_cbranch_execnz .LBB120_163
; %bb.164:
	s_or_b64 exec, exec, s[4:5]
.LBB120_165:
	s_or_b64 exec, exec, s[12:13]
	v_mov_b32_e32 v137, 0
	ds_read_b32 v137, v137 offset:156
	s_waitcnt lgkmcnt(0)
	v_mul_f32_e32 v137, v138, v137
	buffer_store_dword v137, off, s[0:3], 0 offset:156
.LBB120_166:
	s_or_b64 exec, exec, s[8:9]
	buffer_load_dword v137, off, s[0:3], 0 offset:152
	v_cmp_lt_u32_e64 s[4:5], 38, v0
	s_waitcnt vmcnt(0)
	ds_write_b32 v116, v137
	s_waitcnt lgkmcnt(0)
	; wave barrier
	s_waitcnt lgkmcnt(0)
	s_and_saveexec_b64 s[8:9], s[4:5]
	s_cbranch_execz .LBB120_176
; %bb.167:
	s_andn2_b64 vcc, exec, s[10:11]
	s_cbranch_vccnz .LBB120_169
; %bb.168:
	buffer_load_dword v137, v117, s[0:3], 0 offen
	ds_read_b32 v138, v116
	s_waitcnt vmcnt(0) lgkmcnt(0)
	v_mul_f32_e32 v137, v137, v138
	s_cbranch_execz .LBB120_170
	s_branch .LBB120_171
.LBB120_169:
                                        ; implicit-def: $vgpr137
.LBB120_170:
	ds_read_b32 v137, v116
.LBB120_171:
	s_and_saveexec_b64 s[12:13], s[6:7]
	s_cbranch_execz .LBB120_175
; %bb.172:
	v_mov_b32_e32 v138, 0
	v_add_u32_e32 v138, 0x9c, v138
	v_subrev_u32_e32 v139, 39, v0
	s_movk_i32 s14, 0x18c
	s_mov_b64 s[6:7], 0
.LBB120_173:                            ; =>This Inner Loop Header: Depth=1
	buffer_load_dword v140, v138, s[0:3], 0 offen
	v_mov_b32_e32 v141, s14
	ds_read_b32 v141, v141
	v_add_u32_e32 v139, -1, v139
	s_add_i32 s14, s14, 4
	v_cmp_eq_u32_e32 vcc, 0, v139
	v_add_u32_e32 v138, 4, v138
	s_or_b64 s[6:7], vcc, s[6:7]
	s_waitcnt vmcnt(0) lgkmcnt(0)
	v_fmac_f32_e32 v137, v140, v141
	s_andn2_b64 exec, exec, s[6:7]
	s_cbranch_execnz .LBB120_173
; %bb.174:
	s_or_b64 exec, exec, s[6:7]
.LBB120_175:
	s_or_b64 exec, exec, s[12:13]
	v_mov_b32_e32 v138, 0
	ds_read_b32 v138, v138 offset:152
	s_waitcnt lgkmcnt(0)
	v_mul_f32_e32 v137, v137, v138
	buffer_store_dword v137, off, s[0:3], 0 offset:152
.LBB120_176:
	s_or_b64 exec, exec, s[8:9]
	buffer_load_dword v137, off, s[0:3], 0 offset:148
	v_cmp_lt_u32_e64 s[6:7], 37, v0
	s_waitcnt vmcnt(0)
	ds_write_b32 v116, v137
	s_waitcnt lgkmcnt(0)
	; wave barrier
	s_waitcnt lgkmcnt(0)
	s_and_saveexec_b64 s[8:9], s[6:7]
	s_cbranch_execz .LBB120_186
; %bb.177:
	s_andn2_b64 vcc, exec, s[10:11]
	s_cbranch_vccnz .LBB120_179
; %bb.178:
	buffer_load_dword v137, v117, s[0:3], 0 offen
	ds_read_b32 v138, v116
	s_waitcnt vmcnt(0) lgkmcnt(0)
	v_mul_f32_e32 v137, v137, v138
	s_cbranch_execz .LBB120_180
	s_branch .LBB120_181
.LBB120_179:
                                        ; implicit-def: $vgpr137
.LBB120_180:
	ds_read_b32 v137, v116
.LBB120_181:
	s_and_saveexec_b64 s[12:13], s[4:5]
	s_cbranch_execz .LBB120_185
; %bb.182:
	v_subrev_u32_e32 v138, 38, v0
	s_movk_i32 s14, 0x188
	s_mov_b64 s[4:5], 0
.LBB120_183:                            ; =>This Inner Loop Header: Depth=1
	buffer_load_dword v139, v136, s[0:3], 0 offen
	v_mov_b32_e32 v140, s14
	ds_read_b32 v140, v140
	v_add_u32_e32 v138, -1, v138
	s_add_i32 s14, s14, 4
	v_cmp_eq_u32_e32 vcc, 0, v138
	v_add_u32_e32 v136, 4, v136
	s_or_b64 s[4:5], vcc, s[4:5]
	s_waitcnt vmcnt(0) lgkmcnt(0)
	v_fmac_f32_e32 v137, v139, v140
	s_andn2_b64 exec, exec, s[4:5]
	s_cbranch_execnz .LBB120_183
; %bb.184:
	s_or_b64 exec, exec, s[4:5]
.LBB120_185:
	s_or_b64 exec, exec, s[12:13]
	v_mov_b32_e32 v136, 0
	ds_read_b32 v136, v136 offset:148
	s_waitcnt lgkmcnt(0)
	v_mul_f32_e32 v136, v137, v136
	buffer_store_dword v136, off, s[0:3], 0 offset:148
.LBB120_186:
	s_or_b64 exec, exec, s[8:9]
	buffer_load_dword v136, off, s[0:3], 0 offset:144
	v_cmp_lt_u32_e64 s[4:5], 36, v0
	s_waitcnt vmcnt(0)
	ds_write_b32 v116, v136
	s_waitcnt lgkmcnt(0)
	; wave barrier
	s_waitcnt lgkmcnt(0)
	s_and_saveexec_b64 s[8:9], s[4:5]
	s_cbranch_execz .LBB120_196
; %bb.187:
	s_andn2_b64 vcc, exec, s[10:11]
	s_cbranch_vccnz .LBB120_189
; %bb.188:
	buffer_load_dword v136, v117, s[0:3], 0 offen
	ds_read_b32 v137, v116
	s_waitcnt vmcnt(0) lgkmcnt(0)
	v_mul_f32_e32 v136, v136, v137
	s_cbranch_execz .LBB120_190
	s_branch .LBB120_191
.LBB120_189:
                                        ; implicit-def: $vgpr136
.LBB120_190:
	ds_read_b32 v136, v116
.LBB120_191:
	s_and_saveexec_b64 s[12:13], s[6:7]
	s_cbranch_execz .LBB120_195
; %bb.192:
	v_mov_b32_e32 v137, 0
	v_add_u32_e32 v137, 0x94, v137
	v_subrev_u32_e32 v138, 37, v0
	s_movk_i32 s14, 0x184
	s_mov_b64 s[6:7], 0
.LBB120_193:                            ; =>This Inner Loop Header: Depth=1
	buffer_load_dword v139, v137, s[0:3], 0 offen
	v_mov_b32_e32 v140, s14
	ds_read_b32 v140, v140
	v_add_u32_e32 v138, -1, v138
	s_add_i32 s14, s14, 4
	v_cmp_eq_u32_e32 vcc, 0, v138
	v_add_u32_e32 v137, 4, v137
	s_or_b64 s[6:7], vcc, s[6:7]
	s_waitcnt vmcnt(0) lgkmcnt(0)
	v_fmac_f32_e32 v136, v139, v140
	s_andn2_b64 exec, exec, s[6:7]
	s_cbranch_execnz .LBB120_193
; %bb.194:
	s_or_b64 exec, exec, s[6:7]
.LBB120_195:
	s_or_b64 exec, exec, s[12:13]
	v_mov_b32_e32 v137, 0
	ds_read_b32 v137, v137 offset:144
	s_waitcnt lgkmcnt(0)
	v_mul_f32_e32 v136, v136, v137
	buffer_store_dword v136, off, s[0:3], 0 offset:144
.LBB120_196:
	s_or_b64 exec, exec, s[8:9]
	buffer_load_dword v136, off, s[0:3], 0 offset:140
	v_cmp_lt_u32_e64 s[6:7], 35, v0
	s_waitcnt vmcnt(0)
	ds_write_b32 v116, v136
	s_waitcnt lgkmcnt(0)
	; wave barrier
	s_waitcnt lgkmcnt(0)
	s_and_saveexec_b64 s[8:9], s[6:7]
	s_cbranch_execz .LBB120_206
; %bb.197:
	s_andn2_b64 vcc, exec, s[10:11]
	s_cbranch_vccnz .LBB120_199
; %bb.198:
	buffer_load_dword v136, v117, s[0:3], 0 offen
	ds_read_b32 v137, v116
	s_waitcnt vmcnt(0) lgkmcnt(0)
	v_mul_f32_e32 v136, v136, v137
	s_cbranch_execz .LBB120_200
	s_branch .LBB120_201
.LBB120_199:
                                        ; implicit-def: $vgpr136
.LBB120_200:
	ds_read_b32 v136, v116
.LBB120_201:
	s_and_saveexec_b64 s[12:13], s[4:5]
	s_cbranch_execz .LBB120_205
; %bb.202:
	v_subrev_u32_e32 v137, 36, v0
	s_movk_i32 s14, 0x180
	s_mov_b64 s[4:5], 0
.LBB120_203:                            ; =>This Inner Loop Header: Depth=1
	buffer_load_dword v138, v135, s[0:3], 0 offen
	v_mov_b32_e32 v139, s14
	ds_read_b32 v139, v139
	v_add_u32_e32 v137, -1, v137
	s_add_i32 s14, s14, 4
	v_cmp_eq_u32_e32 vcc, 0, v137
	v_add_u32_e32 v135, 4, v135
	s_or_b64 s[4:5], vcc, s[4:5]
	s_waitcnt vmcnt(0) lgkmcnt(0)
	v_fmac_f32_e32 v136, v138, v139
	s_andn2_b64 exec, exec, s[4:5]
	s_cbranch_execnz .LBB120_203
; %bb.204:
	s_or_b64 exec, exec, s[4:5]
.LBB120_205:
	s_or_b64 exec, exec, s[12:13]
	v_mov_b32_e32 v135, 0
	ds_read_b32 v135, v135 offset:140
	s_waitcnt lgkmcnt(0)
	v_mul_f32_e32 v135, v136, v135
	buffer_store_dword v135, off, s[0:3], 0 offset:140
.LBB120_206:
	s_or_b64 exec, exec, s[8:9]
	buffer_load_dword v135, off, s[0:3], 0 offset:136
	v_cmp_lt_u32_e64 s[4:5], 34, v0
	s_waitcnt vmcnt(0)
	ds_write_b32 v116, v135
	s_waitcnt lgkmcnt(0)
	; wave barrier
	s_waitcnt lgkmcnt(0)
	s_and_saveexec_b64 s[8:9], s[4:5]
	s_cbranch_execz .LBB120_216
; %bb.207:
	s_andn2_b64 vcc, exec, s[10:11]
	s_cbranch_vccnz .LBB120_209
; %bb.208:
	buffer_load_dword v135, v117, s[0:3], 0 offen
	ds_read_b32 v136, v116
	s_waitcnt vmcnt(0) lgkmcnt(0)
	v_mul_f32_e32 v135, v135, v136
	s_cbranch_execz .LBB120_210
	s_branch .LBB120_211
.LBB120_209:
                                        ; implicit-def: $vgpr135
.LBB120_210:
	ds_read_b32 v135, v116
.LBB120_211:
	s_and_saveexec_b64 s[12:13], s[6:7]
	s_cbranch_execz .LBB120_215
; %bb.212:
	v_mov_b32_e32 v136, 0
	v_add_u32_e32 v136, 0x8c, v136
	v_subrev_u32_e32 v137, 35, v0
	s_movk_i32 s14, 0x17c
	s_mov_b64 s[6:7], 0
.LBB120_213:                            ; =>This Inner Loop Header: Depth=1
	buffer_load_dword v138, v136, s[0:3], 0 offen
	v_mov_b32_e32 v139, s14
	ds_read_b32 v139, v139
	v_add_u32_e32 v137, -1, v137
	s_add_i32 s14, s14, 4
	v_cmp_eq_u32_e32 vcc, 0, v137
	v_add_u32_e32 v136, 4, v136
	s_or_b64 s[6:7], vcc, s[6:7]
	s_waitcnt vmcnt(0) lgkmcnt(0)
	v_fmac_f32_e32 v135, v138, v139
	s_andn2_b64 exec, exec, s[6:7]
	s_cbranch_execnz .LBB120_213
; %bb.214:
	s_or_b64 exec, exec, s[6:7]
.LBB120_215:
	s_or_b64 exec, exec, s[12:13]
	v_mov_b32_e32 v136, 0
	ds_read_b32 v136, v136 offset:136
	s_waitcnt lgkmcnt(0)
	v_mul_f32_e32 v135, v135, v136
	buffer_store_dword v135, off, s[0:3], 0 offset:136
.LBB120_216:
	s_or_b64 exec, exec, s[8:9]
	buffer_load_dword v135, off, s[0:3], 0 offset:132
	v_cmp_lt_u32_e64 s[6:7], 33, v0
	s_waitcnt vmcnt(0)
	ds_write_b32 v116, v135
	s_waitcnt lgkmcnt(0)
	; wave barrier
	s_waitcnt lgkmcnt(0)
	s_and_saveexec_b64 s[8:9], s[6:7]
	s_cbranch_execz .LBB120_226
; %bb.217:
	s_andn2_b64 vcc, exec, s[10:11]
	s_cbranch_vccnz .LBB120_219
; %bb.218:
	buffer_load_dword v135, v117, s[0:3], 0 offen
	ds_read_b32 v136, v116
	s_waitcnt vmcnt(0) lgkmcnt(0)
	v_mul_f32_e32 v135, v135, v136
	s_cbranch_execz .LBB120_220
	s_branch .LBB120_221
.LBB120_219:
                                        ; implicit-def: $vgpr135
.LBB120_220:
	ds_read_b32 v135, v116
.LBB120_221:
	s_and_saveexec_b64 s[12:13], s[4:5]
	s_cbranch_execz .LBB120_225
; %bb.222:
	v_subrev_u32_e32 v136, 34, v0
	s_movk_i32 s14, 0x178
	s_mov_b64 s[4:5], 0
.LBB120_223:                            ; =>This Inner Loop Header: Depth=1
	buffer_load_dword v137, v134, s[0:3], 0 offen
	v_mov_b32_e32 v138, s14
	ds_read_b32 v138, v138
	v_add_u32_e32 v136, -1, v136
	s_add_i32 s14, s14, 4
	v_cmp_eq_u32_e32 vcc, 0, v136
	v_add_u32_e32 v134, 4, v134
	s_or_b64 s[4:5], vcc, s[4:5]
	s_waitcnt vmcnt(0) lgkmcnt(0)
	v_fmac_f32_e32 v135, v137, v138
	s_andn2_b64 exec, exec, s[4:5]
	s_cbranch_execnz .LBB120_223
; %bb.224:
	s_or_b64 exec, exec, s[4:5]
.LBB120_225:
	s_or_b64 exec, exec, s[12:13]
	v_mov_b32_e32 v134, 0
	ds_read_b32 v134, v134 offset:132
	s_waitcnt lgkmcnt(0)
	v_mul_f32_e32 v134, v135, v134
	buffer_store_dword v134, off, s[0:3], 0 offset:132
.LBB120_226:
	s_or_b64 exec, exec, s[8:9]
	buffer_load_dword v134, off, s[0:3], 0 offset:128
	v_cmp_lt_u32_e64 s[4:5], 32, v0
	s_waitcnt vmcnt(0)
	ds_write_b32 v116, v134
	s_waitcnt lgkmcnt(0)
	; wave barrier
	s_waitcnt lgkmcnt(0)
	s_and_saveexec_b64 s[8:9], s[4:5]
	s_cbranch_execz .LBB120_236
; %bb.227:
	s_andn2_b64 vcc, exec, s[10:11]
	s_cbranch_vccnz .LBB120_229
; %bb.228:
	buffer_load_dword v134, v117, s[0:3], 0 offen
	ds_read_b32 v135, v116
	s_waitcnt vmcnt(0) lgkmcnt(0)
	v_mul_f32_e32 v134, v134, v135
	s_cbranch_execz .LBB120_230
	s_branch .LBB120_231
.LBB120_229:
                                        ; implicit-def: $vgpr134
.LBB120_230:
	ds_read_b32 v134, v116
.LBB120_231:
	s_and_saveexec_b64 s[12:13], s[6:7]
	s_cbranch_execz .LBB120_235
; %bb.232:
	v_mov_b32_e32 v135, 0
	v_add_u32_e32 v135, 0x84, v135
	v_subrev_u32_e32 v136, 33, v0
	s_movk_i32 s14, 0x174
	s_mov_b64 s[6:7], 0
.LBB120_233:                            ; =>This Inner Loop Header: Depth=1
	buffer_load_dword v137, v135, s[0:3], 0 offen
	v_mov_b32_e32 v138, s14
	ds_read_b32 v138, v138
	v_add_u32_e32 v136, -1, v136
	s_add_i32 s14, s14, 4
	v_cmp_eq_u32_e32 vcc, 0, v136
	v_add_u32_e32 v135, 4, v135
	s_or_b64 s[6:7], vcc, s[6:7]
	s_waitcnt vmcnt(0) lgkmcnt(0)
	v_fmac_f32_e32 v134, v137, v138
	s_andn2_b64 exec, exec, s[6:7]
	s_cbranch_execnz .LBB120_233
; %bb.234:
	s_or_b64 exec, exec, s[6:7]
.LBB120_235:
	s_or_b64 exec, exec, s[12:13]
	v_mov_b32_e32 v135, 0
	ds_read_b32 v135, v135 offset:128
	s_waitcnt lgkmcnt(0)
	v_mul_f32_e32 v134, v134, v135
	buffer_store_dword v134, off, s[0:3], 0 offset:128
.LBB120_236:
	s_or_b64 exec, exec, s[8:9]
	buffer_load_dword v134, off, s[0:3], 0 offset:124
	v_cmp_lt_u32_e64 s[6:7], 31, v0
	s_waitcnt vmcnt(0)
	ds_write_b32 v116, v134
	s_waitcnt lgkmcnt(0)
	; wave barrier
	s_waitcnt lgkmcnt(0)
	s_and_saveexec_b64 s[8:9], s[6:7]
	s_cbranch_execz .LBB120_246
; %bb.237:
	s_andn2_b64 vcc, exec, s[10:11]
	s_cbranch_vccnz .LBB120_239
; %bb.238:
	buffer_load_dword v134, v117, s[0:3], 0 offen
	ds_read_b32 v135, v116
	s_waitcnt vmcnt(0) lgkmcnt(0)
	v_mul_f32_e32 v134, v134, v135
	s_cbranch_execz .LBB120_240
	s_branch .LBB120_241
.LBB120_239:
                                        ; implicit-def: $vgpr134
.LBB120_240:
	ds_read_b32 v134, v116
.LBB120_241:
	s_and_saveexec_b64 s[12:13], s[4:5]
	s_cbranch_execz .LBB120_245
; %bb.242:
	v_subrev_u32_e32 v135, 32, v0
	s_movk_i32 s14, 0x170
	s_mov_b64 s[4:5], 0
.LBB120_243:                            ; =>This Inner Loop Header: Depth=1
	buffer_load_dword v136, v133, s[0:3], 0 offen
	v_mov_b32_e32 v137, s14
	ds_read_b32 v137, v137
	v_add_u32_e32 v135, -1, v135
	s_add_i32 s14, s14, 4
	v_cmp_eq_u32_e32 vcc, 0, v135
	v_add_u32_e32 v133, 4, v133
	s_or_b64 s[4:5], vcc, s[4:5]
	s_waitcnt vmcnt(0) lgkmcnt(0)
	v_fmac_f32_e32 v134, v136, v137
	s_andn2_b64 exec, exec, s[4:5]
	s_cbranch_execnz .LBB120_243
; %bb.244:
	s_or_b64 exec, exec, s[4:5]
.LBB120_245:
	s_or_b64 exec, exec, s[12:13]
	v_mov_b32_e32 v133, 0
	ds_read_b32 v133, v133 offset:124
	s_waitcnt lgkmcnt(0)
	v_mul_f32_e32 v133, v134, v133
	buffer_store_dword v133, off, s[0:3], 0 offset:124
.LBB120_246:
	s_or_b64 exec, exec, s[8:9]
	buffer_load_dword v133, off, s[0:3], 0 offset:120
	v_cmp_lt_u32_e64 s[4:5], 30, v0
	s_waitcnt vmcnt(0)
	ds_write_b32 v116, v133
	s_waitcnt lgkmcnt(0)
	; wave barrier
	s_waitcnt lgkmcnt(0)
	s_and_saveexec_b64 s[8:9], s[4:5]
	s_cbranch_execz .LBB120_256
; %bb.247:
	s_andn2_b64 vcc, exec, s[10:11]
	s_cbranch_vccnz .LBB120_249
; %bb.248:
	buffer_load_dword v133, v117, s[0:3], 0 offen
	ds_read_b32 v134, v116
	s_waitcnt vmcnt(0) lgkmcnt(0)
	v_mul_f32_e32 v133, v133, v134
	s_cbranch_execz .LBB120_250
	s_branch .LBB120_251
.LBB120_249:
                                        ; implicit-def: $vgpr133
.LBB120_250:
	ds_read_b32 v133, v116
.LBB120_251:
	s_and_saveexec_b64 s[12:13], s[6:7]
	s_cbranch_execz .LBB120_255
; %bb.252:
	v_mov_b32_e32 v134, 0
	v_add_u32_e32 v134, 0x7c, v134
	v_subrev_u32_e32 v135, 31, v0
	s_movk_i32 s14, 0x16c
	s_mov_b64 s[6:7], 0
.LBB120_253:                            ; =>This Inner Loop Header: Depth=1
	buffer_load_dword v136, v134, s[0:3], 0 offen
	v_mov_b32_e32 v137, s14
	ds_read_b32 v137, v137
	v_add_u32_e32 v135, -1, v135
	s_add_i32 s14, s14, 4
	v_cmp_eq_u32_e32 vcc, 0, v135
	v_add_u32_e32 v134, 4, v134
	s_or_b64 s[6:7], vcc, s[6:7]
	s_waitcnt vmcnt(0) lgkmcnt(0)
	v_fmac_f32_e32 v133, v136, v137
	s_andn2_b64 exec, exec, s[6:7]
	s_cbranch_execnz .LBB120_253
; %bb.254:
	s_or_b64 exec, exec, s[6:7]
.LBB120_255:
	s_or_b64 exec, exec, s[12:13]
	v_mov_b32_e32 v134, 0
	ds_read_b32 v134, v134 offset:120
	s_waitcnt lgkmcnt(0)
	v_mul_f32_e32 v133, v133, v134
	buffer_store_dword v133, off, s[0:3], 0 offset:120
.LBB120_256:
	s_or_b64 exec, exec, s[8:9]
	buffer_load_dword v133, off, s[0:3], 0 offset:116
	v_cmp_lt_u32_e64 s[6:7], 29, v0
	s_waitcnt vmcnt(0)
	ds_write_b32 v116, v133
	s_waitcnt lgkmcnt(0)
	; wave barrier
	s_waitcnt lgkmcnt(0)
	s_and_saveexec_b64 s[8:9], s[6:7]
	s_cbranch_execz .LBB120_266
; %bb.257:
	s_andn2_b64 vcc, exec, s[10:11]
	s_cbranch_vccnz .LBB120_259
; %bb.258:
	buffer_load_dword v133, v117, s[0:3], 0 offen
	ds_read_b32 v134, v116
	s_waitcnt vmcnt(0) lgkmcnt(0)
	v_mul_f32_e32 v133, v133, v134
	s_cbranch_execz .LBB120_260
	s_branch .LBB120_261
.LBB120_259:
                                        ; implicit-def: $vgpr133
.LBB120_260:
	ds_read_b32 v133, v116
.LBB120_261:
	s_and_saveexec_b64 s[12:13], s[4:5]
	s_cbranch_execz .LBB120_265
; %bb.262:
	v_subrev_u32_e32 v134, 30, v0
	s_movk_i32 s14, 0x168
	s_mov_b64 s[4:5], 0
.LBB120_263:                            ; =>This Inner Loop Header: Depth=1
	buffer_load_dword v135, v132, s[0:3], 0 offen
	v_mov_b32_e32 v136, s14
	ds_read_b32 v136, v136
	v_add_u32_e32 v134, -1, v134
	s_add_i32 s14, s14, 4
	v_cmp_eq_u32_e32 vcc, 0, v134
	v_add_u32_e32 v132, 4, v132
	s_or_b64 s[4:5], vcc, s[4:5]
	s_waitcnt vmcnt(0) lgkmcnt(0)
	v_fmac_f32_e32 v133, v135, v136
	s_andn2_b64 exec, exec, s[4:5]
	s_cbranch_execnz .LBB120_263
; %bb.264:
	s_or_b64 exec, exec, s[4:5]
.LBB120_265:
	s_or_b64 exec, exec, s[12:13]
	v_mov_b32_e32 v132, 0
	ds_read_b32 v132, v132 offset:116
	s_waitcnt lgkmcnt(0)
	v_mul_f32_e32 v132, v133, v132
	buffer_store_dword v132, off, s[0:3], 0 offset:116
.LBB120_266:
	s_or_b64 exec, exec, s[8:9]
	buffer_load_dword v132, off, s[0:3], 0 offset:112
	v_cmp_lt_u32_e64 s[4:5], 28, v0
	s_waitcnt vmcnt(0)
	ds_write_b32 v116, v132
	s_waitcnt lgkmcnt(0)
	; wave barrier
	s_waitcnt lgkmcnt(0)
	s_and_saveexec_b64 s[8:9], s[4:5]
	s_cbranch_execz .LBB120_276
; %bb.267:
	s_andn2_b64 vcc, exec, s[10:11]
	s_cbranch_vccnz .LBB120_269
; %bb.268:
	buffer_load_dword v132, v117, s[0:3], 0 offen
	ds_read_b32 v133, v116
	s_waitcnt vmcnt(0) lgkmcnt(0)
	v_mul_f32_e32 v132, v132, v133
	s_cbranch_execz .LBB120_270
	s_branch .LBB120_271
.LBB120_269:
                                        ; implicit-def: $vgpr132
.LBB120_270:
	ds_read_b32 v132, v116
.LBB120_271:
	s_and_saveexec_b64 s[12:13], s[6:7]
	s_cbranch_execz .LBB120_275
; %bb.272:
	v_mov_b32_e32 v133, 0
	v_add_u32_e32 v133, 0x74, v133
	v_subrev_u32_e32 v134, 29, v0
	s_movk_i32 s14, 0x164
	s_mov_b64 s[6:7], 0
.LBB120_273:                            ; =>This Inner Loop Header: Depth=1
	buffer_load_dword v135, v133, s[0:3], 0 offen
	v_mov_b32_e32 v136, s14
	ds_read_b32 v136, v136
	v_add_u32_e32 v134, -1, v134
	s_add_i32 s14, s14, 4
	v_cmp_eq_u32_e32 vcc, 0, v134
	v_add_u32_e32 v133, 4, v133
	s_or_b64 s[6:7], vcc, s[6:7]
	s_waitcnt vmcnt(0) lgkmcnt(0)
	v_fmac_f32_e32 v132, v135, v136
	s_andn2_b64 exec, exec, s[6:7]
	s_cbranch_execnz .LBB120_273
; %bb.274:
	s_or_b64 exec, exec, s[6:7]
.LBB120_275:
	s_or_b64 exec, exec, s[12:13]
	v_mov_b32_e32 v133, 0
	ds_read_b32 v133, v133 offset:112
	s_waitcnt lgkmcnt(0)
	v_mul_f32_e32 v132, v132, v133
	buffer_store_dword v132, off, s[0:3], 0 offset:112
.LBB120_276:
	s_or_b64 exec, exec, s[8:9]
	buffer_load_dword v132, off, s[0:3], 0 offset:108
	v_cmp_lt_u32_e64 s[6:7], 27, v0
	s_waitcnt vmcnt(0)
	ds_write_b32 v116, v132
	s_waitcnt lgkmcnt(0)
	; wave barrier
	s_waitcnt lgkmcnt(0)
	s_and_saveexec_b64 s[8:9], s[6:7]
	s_cbranch_execz .LBB120_286
; %bb.277:
	s_andn2_b64 vcc, exec, s[10:11]
	s_cbranch_vccnz .LBB120_279
; %bb.278:
	buffer_load_dword v132, v117, s[0:3], 0 offen
	ds_read_b32 v133, v116
	s_waitcnt vmcnt(0) lgkmcnt(0)
	v_mul_f32_e32 v132, v132, v133
	s_cbranch_execz .LBB120_280
	s_branch .LBB120_281
.LBB120_279:
                                        ; implicit-def: $vgpr132
.LBB120_280:
	ds_read_b32 v132, v116
.LBB120_281:
	s_and_saveexec_b64 s[12:13], s[4:5]
	s_cbranch_execz .LBB120_285
; %bb.282:
	v_subrev_u32_e32 v133, 28, v0
	s_movk_i32 s14, 0x160
	s_mov_b64 s[4:5], 0
.LBB120_283:                            ; =>This Inner Loop Header: Depth=1
	buffer_load_dword v134, v131, s[0:3], 0 offen
	v_mov_b32_e32 v135, s14
	ds_read_b32 v135, v135
	v_add_u32_e32 v133, -1, v133
	s_add_i32 s14, s14, 4
	v_cmp_eq_u32_e32 vcc, 0, v133
	v_add_u32_e32 v131, 4, v131
	s_or_b64 s[4:5], vcc, s[4:5]
	s_waitcnt vmcnt(0) lgkmcnt(0)
	v_fmac_f32_e32 v132, v134, v135
	s_andn2_b64 exec, exec, s[4:5]
	s_cbranch_execnz .LBB120_283
; %bb.284:
	s_or_b64 exec, exec, s[4:5]
.LBB120_285:
	s_or_b64 exec, exec, s[12:13]
	v_mov_b32_e32 v131, 0
	ds_read_b32 v131, v131 offset:108
	s_waitcnt lgkmcnt(0)
	v_mul_f32_e32 v131, v132, v131
	buffer_store_dword v131, off, s[0:3], 0 offset:108
.LBB120_286:
	s_or_b64 exec, exec, s[8:9]
	buffer_load_dword v131, off, s[0:3], 0 offset:104
	v_cmp_lt_u32_e64 s[4:5], 26, v0
	s_waitcnt vmcnt(0)
	ds_write_b32 v116, v131
	s_waitcnt lgkmcnt(0)
	; wave barrier
	s_waitcnt lgkmcnt(0)
	s_and_saveexec_b64 s[8:9], s[4:5]
	s_cbranch_execz .LBB120_296
; %bb.287:
	s_andn2_b64 vcc, exec, s[10:11]
	s_cbranch_vccnz .LBB120_289
; %bb.288:
	buffer_load_dword v131, v117, s[0:3], 0 offen
	ds_read_b32 v132, v116
	s_waitcnt vmcnt(0) lgkmcnt(0)
	v_mul_f32_e32 v131, v131, v132
	s_cbranch_execz .LBB120_290
	s_branch .LBB120_291
.LBB120_289:
                                        ; implicit-def: $vgpr131
.LBB120_290:
	ds_read_b32 v131, v116
.LBB120_291:
	s_and_saveexec_b64 s[12:13], s[6:7]
	s_cbranch_execz .LBB120_295
; %bb.292:
	v_mov_b32_e32 v132, 0
	v_add_u32_e32 v132, 0x6c, v132
	v_subrev_u32_e32 v133, 27, v0
	s_movk_i32 s14, 0x15c
	s_mov_b64 s[6:7], 0
.LBB120_293:                            ; =>This Inner Loop Header: Depth=1
	buffer_load_dword v134, v132, s[0:3], 0 offen
	v_mov_b32_e32 v135, s14
	ds_read_b32 v135, v135
	v_add_u32_e32 v133, -1, v133
	s_add_i32 s14, s14, 4
	v_cmp_eq_u32_e32 vcc, 0, v133
	v_add_u32_e32 v132, 4, v132
	s_or_b64 s[6:7], vcc, s[6:7]
	s_waitcnt vmcnt(0) lgkmcnt(0)
	v_fmac_f32_e32 v131, v134, v135
	s_andn2_b64 exec, exec, s[6:7]
	s_cbranch_execnz .LBB120_293
; %bb.294:
	s_or_b64 exec, exec, s[6:7]
.LBB120_295:
	s_or_b64 exec, exec, s[12:13]
	v_mov_b32_e32 v132, 0
	ds_read_b32 v132, v132 offset:104
	s_waitcnt lgkmcnt(0)
	v_mul_f32_e32 v131, v131, v132
	buffer_store_dword v131, off, s[0:3], 0 offset:104
.LBB120_296:
	s_or_b64 exec, exec, s[8:9]
	buffer_load_dword v131, off, s[0:3], 0 offset:100
	v_cmp_lt_u32_e64 s[6:7], 25, v0
	s_waitcnt vmcnt(0)
	ds_write_b32 v116, v131
	s_waitcnt lgkmcnt(0)
	; wave barrier
	s_waitcnt lgkmcnt(0)
	s_and_saveexec_b64 s[8:9], s[6:7]
	s_cbranch_execz .LBB120_306
; %bb.297:
	s_andn2_b64 vcc, exec, s[10:11]
	s_cbranch_vccnz .LBB120_299
; %bb.298:
	buffer_load_dword v131, v117, s[0:3], 0 offen
	ds_read_b32 v132, v116
	s_waitcnt vmcnt(0) lgkmcnt(0)
	v_mul_f32_e32 v131, v131, v132
	s_cbranch_execz .LBB120_300
	s_branch .LBB120_301
.LBB120_299:
                                        ; implicit-def: $vgpr131
.LBB120_300:
	ds_read_b32 v131, v116
.LBB120_301:
	s_and_saveexec_b64 s[12:13], s[4:5]
	s_cbranch_execz .LBB120_305
; %bb.302:
	v_subrev_u32_e32 v132, 26, v0
	s_movk_i32 s14, 0x158
	s_mov_b64 s[4:5], 0
.LBB120_303:                            ; =>This Inner Loop Header: Depth=1
	buffer_load_dword v133, v130, s[0:3], 0 offen
	v_mov_b32_e32 v134, s14
	ds_read_b32 v134, v134
	v_add_u32_e32 v132, -1, v132
	s_add_i32 s14, s14, 4
	v_cmp_eq_u32_e32 vcc, 0, v132
	v_add_u32_e32 v130, 4, v130
	s_or_b64 s[4:5], vcc, s[4:5]
	s_waitcnt vmcnt(0) lgkmcnt(0)
	v_fmac_f32_e32 v131, v133, v134
	s_andn2_b64 exec, exec, s[4:5]
	s_cbranch_execnz .LBB120_303
; %bb.304:
	s_or_b64 exec, exec, s[4:5]
.LBB120_305:
	s_or_b64 exec, exec, s[12:13]
	v_mov_b32_e32 v130, 0
	ds_read_b32 v130, v130 offset:100
	s_waitcnt lgkmcnt(0)
	v_mul_f32_e32 v130, v131, v130
	buffer_store_dword v130, off, s[0:3], 0 offset:100
.LBB120_306:
	s_or_b64 exec, exec, s[8:9]
	buffer_load_dword v130, off, s[0:3], 0 offset:96
	v_cmp_lt_u32_e64 s[4:5], 24, v0
	s_waitcnt vmcnt(0)
	ds_write_b32 v116, v130
	s_waitcnt lgkmcnt(0)
	; wave barrier
	s_waitcnt lgkmcnt(0)
	s_and_saveexec_b64 s[8:9], s[4:5]
	s_cbranch_execz .LBB120_316
; %bb.307:
	s_andn2_b64 vcc, exec, s[10:11]
	s_cbranch_vccnz .LBB120_309
; %bb.308:
	buffer_load_dword v130, v117, s[0:3], 0 offen
	ds_read_b32 v131, v116
	s_waitcnt vmcnt(0) lgkmcnt(0)
	v_mul_f32_e32 v130, v130, v131
	s_cbranch_execz .LBB120_310
	s_branch .LBB120_311
.LBB120_309:
                                        ; implicit-def: $vgpr130
.LBB120_310:
	ds_read_b32 v130, v116
.LBB120_311:
	s_and_saveexec_b64 s[12:13], s[6:7]
	s_cbranch_execz .LBB120_315
; %bb.312:
	v_mov_b32_e32 v131, 0
	v_add_u32_e32 v131, 0x64, v131
	v_subrev_u32_e32 v132, 25, v0
	s_movk_i32 s14, 0x154
	s_mov_b64 s[6:7], 0
.LBB120_313:                            ; =>This Inner Loop Header: Depth=1
	buffer_load_dword v133, v131, s[0:3], 0 offen
	v_mov_b32_e32 v134, s14
	ds_read_b32 v134, v134
	v_add_u32_e32 v132, -1, v132
	s_add_i32 s14, s14, 4
	v_cmp_eq_u32_e32 vcc, 0, v132
	v_add_u32_e32 v131, 4, v131
	s_or_b64 s[6:7], vcc, s[6:7]
	s_waitcnt vmcnt(0) lgkmcnt(0)
	v_fmac_f32_e32 v130, v133, v134
	s_andn2_b64 exec, exec, s[6:7]
	s_cbranch_execnz .LBB120_313
; %bb.314:
	s_or_b64 exec, exec, s[6:7]
.LBB120_315:
	s_or_b64 exec, exec, s[12:13]
	v_mov_b32_e32 v131, 0
	ds_read_b32 v131, v131 offset:96
	s_waitcnt lgkmcnt(0)
	v_mul_f32_e32 v130, v130, v131
	buffer_store_dword v130, off, s[0:3], 0 offset:96
.LBB120_316:
	s_or_b64 exec, exec, s[8:9]
	buffer_load_dword v130, off, s[0:3], 0 offset:92
	v_cmp_lt_u32_e64 s[6:7], 23, v0
	s_waitcnt vmcnt(0)
	ds_write_b32 v116, v130
	s_waitcnt lgkmcnt(0)
	; wave barrier
	s_waitcnt lgkmcnt(0)
	s_and_saveexec_b64 s[8:9], s[6:7]
	s_cbranch_execz .LBB120_326
; %bb.317:
	s_andn2_b64 vcc, exec, s[10:11]
	s_cbranch_vccnz .LBB120_319
; %bb.318:
	buffer_load_dword v130, v117, s[0:3], 0 offen
	ds_read_b32 v131, v116
	s_waitcnt vmcnt(0) lgkmcnt(0)
	v_mul_f32_e32 v130, v130, v131
	s_cbranch_execz .LBB120_320
	s_branch .LBB120_321
.LBB120_319:
                                        ; implicit-def: $vgpr130
.LBB120_320:
	ds_read_b32 v130, v116
.LBB120_321:
	s_and_saveexec_b64 s[12:13], s[4:5]
	s_cbranch_execz .LBB120_325
; %bb.322:
	v_subrev_u32_e32 v131, 24, v0
	s_movk_i32 s14, 0x150
	s_mov_b64 s[4:5], 0
.LBB120_323:                            ; =>This Inner Loop Header: Depth=1
	buffer_load_dword v132, v129, s[0:3], 0 offen
	v_mov_b32_e32 v133, s14
	ds_read_b32 v133, v133
	v_add_u32_e32 v131, -1, v131
	s_add_i32 s14, s14, 4
	v_cmp_eq_u32_e32 vcc, 0, v131
	v_add_u32_e32 v129, 4, v129
	s_or_b64 s[4:5], vcc, s[4:5]
	s_waitcnt vmcnt(0) lgkmcnt(0)
	v_fmac_f32_e32 v130, v132, v133
	s_andn2_b64 exec, exec, s[4:5]
	s_cbranch_execnz .LBB120_323
; %bb.324:
	s_or_b64 exec, exec, s[4:5]
.LBB120_325:
	s_or_b64 exec, exec, s[12:13]
	v_mov_b32_e32 v129, 0
	ds_read_b32 v129, v129 offset:92
	s_waitcnt lgkmcnt(0)
	v_mul_f32_e32 v129, v130, v129
	buffer_store_dword v129, off, s[0:3], 0 offset:92
.LBB120_326:
	s_or_b64 exec, exec, s[8:9]
	buffer_load_dword v129, off, s[0:3], 0 offset:88
	v_cmp_lt_u32_e64 s[4:5], 22, v0
	s_waitcnt vmcnt(0)
	ds_write_b32 v116, v129
	s_waitcnt lgkmcnt(0)
	; wave barrier
	s_waitcnt lgkmcnt(0)
	s_and_saveexec_b64 s[8:9], s[4:5]
	s_cbranch_execz .LBB120_336
; %bb.327:
	s_andn2_b64 vcc, exec, s[10:11]
	s_cbranch_vccnz .LBB120_329
; %bb.328:
	buffer_load_dword v129, v117, s[0:3], 0 offen
	ds_read_b32 v130, v116
	s_waitcnt vmcnt(0) lgkmcnt(0)
	v_mul_f32_e32 v129, v129, v130
	s_cbranch_execz .LBB120_330
	s_branch .LBB120_331
.LBB120_329:
                                        ; implicit-def: $vgpr129
.LBB120_330:
	ds_read_b32 v129, v116
.LBB120_331:
	s_and_saveexec_b64 s[12:13], s[6:7]
	s_cbranch_execz .LBB120_335
; %bb.332:
	v_mov_b32_e32 v130, 0
	v_add_u32_e32 v130, 0x5c, v130
	v_subrev_u32_e32 v131, 23, v0
	s_movk_i32 s14, 0x14c
	s_mov_b64 s[6:7], 0
.LBB120_333:                            ; =>This Inner Loop Header: Depth=1
	buffer_load_dword v132, v130, s[0:3], 0 offen
	v_mov_b32_e32 v133, s14
	ds_read_b32 v133, v133
	v_add_u32_e32 v131, -1, v131
	s_add_i32 s14, s14, 4
	v_cmp_eq_u32_e32 vcc, 0, v131
	v_add_u32_e32 v130, 4, v130
	s_or_b64 s[6:7], vcc, s[6:7]
	s_waitcnt vmcnt(0) lgkmcnt(0)
	v_fmac_f32_e32 v129, v132, v133
	s_andn2_b64 exec, exec, s[6:7]
	s_cbranch_execnz .LBB120_333
; %bb.334:
	s_or_b64 exec, exec, s[6:7]
.LBB120_335:
	s_or_b64 exec, exec, s[12:13]
	v_mov_b32_e32 v130, 0
	ds_read_b32 v130, v130 offset:88
	s_waitcnt lgkmcnt(0)
	v_mul_f32_e32 v129, v129, v130
	buffer_store_dword v129, off, s[0:3], 0 offset:88
.LBB120_336:
	s_or_b64 exec, exec, s[8:9]
	buffer_load_dword v129, off, s[0:3], 0 offset:84
	v_cmp_lt_u32_e64 s[6:7], 21, v0
	s_waitcnt vmcnt(0)
	ds_write_b32 v116, v129
	s_waitcnt lgkmcnt(0)
	; wave barrier
	s_waitcnt lgkmcnt(0)
	s_and_saveexec_b64 s[8:9], s[6:7]
	s_cbranch_execz .LBB120_346
; %bb.337:
	s_andn2_b64 vcc, exec, s[10:11]
	s_cbranch_vccnz .LBB120_339
; %bb.338:
	buffer_load_dword v129, v117, s[0:3], 0 offen
	ds_read_b32 v130, v116
	s_waitcnt vmcnt(0) lgkmcnt(0)
	v_mul_f32_e32 v129, v129, v130
	s_cbranch_execz .LBB120_340
	s_branch .LBB120_341
.LBB120_339:
                                        ; implicit-def: $vgpr129
.LBB120_340:
	ds_read_b32 v129, v116
.LBB120_341:
	s_and_saveexec_b64 s[12:13], s[4:5]
	s_cbranch_execz .LBB120_345
; %bb.342:
	v_subrev_u32_e32 v130, 22, v0
	s_movk_i32 s14, 0x148
	s_mov_b64 s[4:5], 0
.LBB120_343:                            ; =>This Inner Loop Header: Depth=1
	buffer_load_dword v131, v128, s[0:3], 0 offen
	v_mov_b32_e32 v132, s14
	ds_read_b32 v132, v132
	v_add_u32_e32 v130, -1, v130
	s_add_i32 s14, s14, 4
	v_cmp_eq_u32_e32 vcc, 0, v130
	v_add_u32_e32 v128, 4, v128
	s_or_b64 s[4:5], vcc, s[4:5]
	s_waitcnt vmcnt(0) lgkmcnt(0)
	v_fmac_f32_e32 v129, v131, v132
	s_andn2_b64 exec, exec, s[4:5]
	s_cbranch_execnz .LBB120_343
; %bb.344:
	s_or_b64 exec, exec, s[4:5]
.LBB120_345:
	s_or_b64 exec, exec, s[12:13]
	v_mov_b32_e32 v128, 0
	ds_read_b32 v128, v128 offset:84
	s_waitcnt lgkmcnt(0)
	v_mul_f32_e32 v128, v129, v128
	buffer_store_dword v128, off, s[0:3], 0 offset:84
.LBB120_346:
	s_or_b64 exec, exec, s[8:9]
	buffer_load_dword v128, off, s[0:3], 0 offset:80
	v_cmp_lt_u32_e64 s[4:5], 20, v0
	s_waitcnt vmcnt(0)
	ds_write_b32 v116, v128
	s_waitcnt lgkmcnt(0)
	; wave barrier
	s_waitcnt lgkmcnt(0)
	s_and_saveexec_b64 s[8:9], s[4:5]
	s_cbranch_execz .LBB120_356
; %bb.347:
	s_andn2_b64 vcc, exec, s[10:11]
	s_cbranch_vccnz .LBB120_349
; %bb.348:
	buffer_load_dword v128, v117, s[0:3], 0 offen
	ds_read_b32 v129, v116
	s_waitcnt vmcnt(0) lgkmcnt(0)
	v_mul_f32_e32 v128, v128, v129
	s_cbranch_execz .LBB120_350
	s_branch .LBB120_351
.LBB120_349:
                                        ; implicit-def: $vgpr128
.LBB120_350:
	ds_read_b32 v128, v116
.LBB120_351:
	s_and_saveexec_b64 s[12:13], s[6:7]
	s_cbranch_execz .LBB120_355
; %bb.352:
	v_mov_b32_e32 v129, 0
	v_add_u32_e32 v129, 0x54, v129
	v_subrev_u32_e32 v130, 21, v0
	s_movk_i32 s14, 0x144
	s_mov_b64 s[6:7], 0
.LBB120_353:                            ; =>This Inner Loop Header: Depth=1
	buffer_load_dword v131, v129, s[0:3], 0 offen
	v_mov_b32_e32 v132, s14
	ds_read_b32 v132, v132
	v_add_u32_e32 v130, -1, v130
	s_add_i32 s14, s14, 4
	v_cmp_eq_u32_e32 vcc, 0, v130
	v_add_u32_e32 v129, 4, v129
	s_or_b64 s[6:7], vcc, s[6:7]
	s_waitcnt vmcnt(0) lgkmcnt(0)
	v_fmac_f32_e32 v128, v131, v132
	s_andn2_b64 exec, exec, s[6:7]
	s_cbranch_execnz .LBB120_353
; %bb.354:
	s_or_b64 exec, exec, s[6:7]
.LBB120_355:
	s_or_b64 exec, exec, s[12:13]
	v_mov_b32_e32 v129, 0
	ds_read_b32 v129, v129 offset:80
	s_waitcnt lgkmcnt(0)
	v_mul_f32_e32 v128, v128, v129
	buffer_store_dword v128, off, s[0:3], 0 offset:80
.LBB120_356:
	s_or_b64 exec, exec, s[8:9]
	buffer_load_dword v128, off, s[0:3], 0 offset:76
	v_cmp_lt_u32_e64 s[6:7], 19, v0
	s_waitcnt vmcnt(0)
	ds_write_b32 v116, v128
	s_waitcnt lgkmcnt(0)
	; wave barrier
	s_waitcnt lgkmcnt(0)
	s_and_saveexec_b64 s[8:9], s[6:7]
	s_cbranch_execz .LBB120_366
; %bb.357:
	s_andn2_b64 vcc, exec, s[10:11]
	s_cbranch_vccnz .LBB120_359
; %bb.358:
	buffer_load_dword v128, v117, s[0:3], 0 offen
	ds_read_b32 v129, v116
	s_waitcnt vmcnt(0) lgkmcnt(0)
	v_mul_f32_e32 v128, v128, v129
	s_cbranch_execz .LBB120_360
	s_branch .LBB120_361
.LBB120_359:
                                        ; implicit-def: $vgpr128
.LBB120_360:
	ds_read_b32 v128, v116
.LBB120_361:
	s_and_saveexec_b64 s[12:13], s[4:5]
	s_cbranch_execz .LBB120_365
; %bb.362:
	v_subrev_u32_e32 v129, 20, v0
	s_movk_i32 s14, 0x140
	s_mov_b64 s[4:5], 0
.LBB120_363:                            ; =>This Inner Loop Header: Depth=1
	buffer_load_dword v130, v127, s[0:3], 0 offen
	v_mov_b32_e32 v131, s14
	ds_read_b32 v131, v131
	v_add_u32_e32 v129, -1, v129
	s_add_i32 s14, s14, 4
	v_cmp_eq_u32_e32 vcc, 0, v129
	v_add_u32_e32 v127, 4, v127
	s_or_b64 s[4:5], vcc, s[4:5]
	s_waitcnt vmcnt(0) lgkmcnt(0)
	v_fmac_f32_e32 v128, v130, v131
	s_andn2_b64 exec, exec, s[4:5]
	s_cbranch_execnz .LBB120_363
; %bb.364:
	s_or_b64 exec, exec, s[4:5]
.LBB120_365:
	s_or_b64 exec, exec, s[12:13]
	v_mov_b32_e32 v127, 0
	ds_read_b32 v127, v127 offset:76
	s_waitcnt lgkmcnt(0)
	v_mul_f32_e32 v127, v128, v127
	buffer_store_dword v127, off, s[0:3], 0 offset:76
.LBB120_366:
	s_or_b64 exec, exec, s[8:9]
	buffer_load_dword v127, off, s[0:3], 0 offset:72
	v_cmp_lt_u32_e64 s[4:5], 18, v0
	s_waitcnt vmcnt(0)
	ds_write_b32 v116, v127
	s_waitcnt lgkmcnt(0)
	; wave barrier
	s_waitcnt lgkmcnt(0)
	s_and_saveexec_b64 s[8:9], s[4:5]
	s_cbranch_execz .LBB120_376
; %bb.367:
	s_andn2_b64 vcc, exec, s[10:11]
	s_cbranch_vccnz .LBB120_369
; %bb.368:
	buffer_load_dword v127, v117, s[0:3], 0 offen
	ds_read_b32 v128, v116
	s_waitcnt vmcnt(0) lgkmcnt(0)
	v_mul_f32_e32 v127, v127, v128
	s_cbranch_execz .LBB120_370
	s_branch .LBB120_371
.LBB120_369:
                                        ; implicit-def: $vgpr127
.LBB120_370:
	ds_read_b32 v127, v116
.LBB120_371:
	s_and_saveexec_b64 s[12:13], s[6:7]
	s_cbranch_execz .LBB120_375
; %bb.372:
	v_mov_b32_e32 v128, 0
	v_add_u32_e32 v128, 0x4c, v128
	v_subrev_u32_e32 v129, 19, v0
	s_movk_i32 s14, 0x13c
	s_mov_b64 s[6:7], 0
.LBB120_373:                            ; =>This Inner Loop Header: Depth=1
	buffer_load_dword v130, v128, s[0:3], 0 offen
	v_mov_b32_e32 v131, s14
	ds_read_b32 v131, v131
	v_add_u32_e32 v129, -1, v129
	s_add_i32 s14, s14, 4
	v_cmp_eq_u32_e32 vcc, 0, v129
	v_add_u32_e32 v128, 4, v128
	s_or_b64 s[6:7], vcc, s[6:7]
	s_waitcnt vmcnt(0) lgkmcnt(0)
	v_fmac_f32_e32 v127, v130, v131
	s_andn2_b64 exec, exec, s[6:7]
	s_cbranch_execnz .LBB120_373
; %bb.374:
	s_or_b64 exec, exec, s[6:7]
.LBB120_375:
	s_or_b64 exec, exec, s[12:13]
	v_mov_b32_e32 v128, 0
	ds_read_b32 v128, v128 offset:72
	s_waitcnt lgkmcnt(0)
	v_mul_f32_e32 v127, v127, v128
	buffer_store_dword v127, off, s[0:3], 0 offset:72
.LBB120_376:
	s_or_b64 exec, exec, s[8:9]
	buffer_load_dword v127, off, s[0:3], 0 offset:68
	v_cmp_lt_u32_e64 s[6:7], 17, v0
	s_waitcnt vmcnt(0)
	ds_write_b32 v116, v127
	s_waitcnt lgkmcnt(0)
	; wave barrier
	s_waitcnt lgkmcnt(0)
	s_and_saveexec_b64 s[8:9], s[6:7]
	s_cbranch_execz .LBB120_386
; %bb.377:
	s_andn2_b64 vcc, exec, s[10:11]
	s_cbranch_vccnz .LBB120_379
; %bb.378:
	buffer_load_dword v127, v117, s[0:3], 0 offen
	ds_read_b32 v128, v116
	s_waitcnt vmcnt(0) lgkmcnt(0)
	v_mul_f32_e32 v127, v127, v128
	s_cbranch_execz .LBB120_380
	s_branch .LBB120_381
.LBB120_379:
                                        ; implicit-def: $vgpr127
.LBB120_380:
	ds_read_b32 v127, v116
.LBB120_381:
	s_and_saveexec_b64 s[12:13], s[4:5]
	s_cbranch_execz .LBB120_385
; %bb.382:
	v_subrev_u32_e32 v128, 18, v0
	s_movk_i32 s14, 0x138
	s_mov_b64 s[4:5], 0
.LBB120_383:                            ; =>This Inner Loop Header: Depth=1
	buffer_load_dword v129, v126, s[0:3], 0 offen
	v_mov_b32_e32 v130, s14
	ds_read_b32 v130, v130
	v_add_u32_e32 v128, -1, v128
	s_add_i32 s14, s14, 4
	v_cmp_eq_u32_e32 vcc, 0, v128
	v_add_u32_e32 v126, 4, v126
	s_or_b64 s[4:5], vcc, s[4:5]
	s_waitcnt vmcnt(0) lgkmcnt(0)
	v_fmac_f32_e32 v127, v129, v130
	s_andn2_b64 exec, exec, s[4:5]
	s_cbranch_execnz .LBB120_383
; %bb.384:
	s_or_b64 exec, exec, s[4:5]
.LBB120_385:
	s_or_b64 exec, exec, s[12:13]
	v_mov_b32_e32 v126, 0
	ds_read_b32 v126, v126 offset:68
	s_waitcnt lgkmcnt(0)
	v_mul_f32_e32 v126, v127, v126
	buffer_store_dword v126, off, s[0:3], 0 offset:68
.LBB120_386:
	s_or_b64 exec, exec, s[8:9]
	buffer_load_dword v126, off, s[0:3], 0 offset:64
	v_cmp_lt_u32_e64 s[4:5], 16, v0
	s_waitcnt vmcnt(0)
	ds_write_b32 v116, v126
	s_waitcnt lgkmcnt(0)
	; wave barrier
	s_waitcnt lgkmcnt(0)
	s_and_saveexec_b64 s[8:9], s[4:5]
	s_cbranch_execz .LBB120_396
; %bb.387:
	s_andn2_b64 vcc, exec, s[10:11]
	s_cbranch_vccnz .LBB120_389
; %bb.388:
	buffer_load_dword v126, v117, s[0:3], 0 offen
	ds_read_b32 v127, v116
	s_waitcnt vmcnt(0) lgkmcnt(0)
	v_mul_f32_e32 v126, v126, v127
	s_cbranch_execz .LBB120_390
	s_branch .LBB120_391
.LBB120_389:
                                        ; implicit-def: $vgpr126
.LBB120_390:
	ds_read_b32 v126, v116
.LBB120_391:
	s_and_saveexec_b64 s[12:13], s[6:7]
	s_cbranch_execz .LBB120_395
; %bb.392:
	v_mov_b32_e32 v127, 0
	v_add_u32_e32 v127, 0x44, v127
	v_subrev_u32_e32 v128, 17, v0
	s_movk_i32 s14, 0x134
	s_mov_b64 s[6:7], 0
.LBB120_393:                            ; =>This Inner Loop Header: Depth=1
	buffer_load_dword v129, v127, s[0:3], 0 offen
	v_mov_b32_e32 v130, s14
	ds_read_b32 v130, v130
	v_add_u32_e32 v128, -1, v128
	s_add_i32 s14, s14, 4
	v_cmp_eq_u32_e32 vcc, 0, v128
	v_add_u32_e32 v127, 4, v127
	s_or_b64 s[6:7], vcc, s[6:7]
	s_waitcnt vmcnt(0) lgkmcnt(0)
	v_fmac_f32_e32 v126, v129, v130
	s_andn2_b64 exec, exec, s[6:7]
	s_cbranch_execnz .LBB120_393
; %bb.394:
	s_or_b64 exec, exec, s[6:7]
.LBB120_395:
	s_or_b64 exec, exec, s[12:13]
	v_mov_b32_e32 v127, 0
	ds_read_b32 v127, v127 offset:64
	s_waitcnt lgkmcnt(0)
	v_mul_f32_e32 v126, v126, v127
	buffer_store_dword v126, off, s[0:3], 0 offset:64
.LBB120_396:
	s_or_b64 exec, exec, s[8:9]
	buffer_load_dword v126, off, s[0:3], 0 offset:60
	v_cmp_lt_u32_e64 s[6:7], 15, v0
	s_waitcnt vmcnt(0)
	ds_write_b32 v116, v126
	s_waitcnt lgkmcnt(0)
	; wave barrier
	s_waitcnt lgkmcnt(0)
	s_and_saveexec_b64 s[8:9], s[6:7]
	s_cbranch_execz .LBB120_406
; %bb.397:
	s_andn2_b64 vcc, exec, s[10:11]
	s_cbranch_vccnz .LBB120_399
; %bb.398:
	buffer_load_dword v126, v117, s[0:3], 0 offen
	ds_read_b32 v127, v116
	s_waitcnt vmcnt(0) lgkmcnt(0)
	v_mul_f32_e32 v126, v126, v127
	s_cbranch_execz .LBB120_400
	s_branch .LBB120_401
.LBB120_399:
                                        ; implicit-def: $vgpr126
.LBB120_400:
	ds_read_b32 v126, v116
.LBB120_401:
	s_and_saveexec_b64 s[12:13], s[4:5]
	s_cbranch_execz .LBB120_405
; %bb.402:
	v_add_u32_e32 v127, -16, v0
	s_movk_i32 s14, 0x130
	s_mov_b64 s[4:5], 0
.LBB120_403:                            ; =>This Inner Loop Header: Depth=1
	buffer_load_dword v128, v125, s[0:3], 0 offen
	v_mov_b32_e32 v129, s14
	ds_read_b32 v129, v129
	v_add_u32_e32 v127, -1, v127
	s_add_i32 s14, s14, 4
	v_cmp_eq_u32_e32 vcc, 0, v127
	v_add_u32_e32 v125, 4, v125
	s_or_b64 s[4:5], vcc, s[4:5]
	s_waitcnt vmcnt(0) lgkmcnt(0)
	v_fmac_f32_e32 v126, v128, v129
	s_andn2_b64 exec, exec, s[4:5]
	s_cbranch_execnz .LBB120_403
; %bb.404:
	s_or_b64 exec, exec, s[4:5]
.LBB120_405:
	s_or_b64 exec, exec, s[12:13]
	v_mov_b32_e32 v125, 0
	ds_read_b32 v125, v125 offset:60
	s_waitcnt lgkmcnt(0)
	v_mul_f32_e32 v125, v126, v125
	buffer_store_dword v125, off, s[0:3], 0 offset:60
.LBB120_406:
	s_or_b64 exec, exec, s[8:9]
	buffer_load_dword v125, off, s[0:3], 0 offset:56
	v_cmp_lt_u32_e64 s[4:5], 14, v0
	s_waitcnt vmcnt(0)
	ds_write_b32 v116, v125
	s_waitcnt lgkmcnt(0)
	; wave barrier
	s_waitcnt lgkmcnt(0)
	s_and_saveexec_b64 s[8:9], s[4:5]
	s_cbranch_execz .LBB120_416
; %bb.407:
	s_andn2_b64 vcc, exec, s[10:11]
	s_cbranch_vccnz .LBB120_409
; %bb.408:
	buffer_load_dword v125, v117, s[0:3], 0 offen
	ds_read_b32 v126, v116
	s_waitcnt vmcnt(0) lgkmcnt(0)
	v_mul_f32_e32 v125, v125, v126
	s_cbranch_execz .LBB120_410
	s_branch .LBB120_411
.LBB120_409:
                                        ; implicit-def: $vgpr125
.LBB120_410:
	ds_read_b32 v125, v116
.LBB120_411:
	s_and_saveexec_b64 s[12:13], s[6:7]
	s_cbranch_execz .LBB120_415
; %bb.412:
	v_mov_b32_e32 v126, 0
	v_add_u32_e32 v126, 60, v126
	v_add_u32_e32 v127, -15, v0
	s_movk_i32 s14, 0x12c
	s_mov_b64 s[6:7], 0
.LBB120_413:                            ; =>This Inner Loop Header: Depth=1
	buffer_load_dword v128, v126, s[0:3], 0 offen
	v_mov_b32_e32 v129, s14
	ds_read_b32 v129, v129
	v_add_u32_e32 v127, -1, v127
	s_add_i32 s14, s14, 4
	v_cmp_eq_u32_e32 vcc, 0, v127
	v_add_u32_e32 v126, 4, v126
	s_or_b64 s[6:7], vcc, s[6:7]
	s_waitcnt vmcnt(0) lgkmcnt(0)
	v_fmac_f32_e32 v125, v128, v129
	s_andn2_b64 exec, exec, s[6:7]
	s_cbranch_execnz .LBB120_413
; %bb.414:
	s_or_b64 exec, exec, s[6:7]
.LBB120_415:
	s_or_b64 exec, exec, s[12:13]
	v_mov_b32_e32 v126, 0
	ds_read_b32 v126, v126 offset:56
	s_waitcnt lgkmcnt(0)
	v_mul_f32_e32 v125, v125, v126
	buffer_store_dword v125, off, s[0:3], 0 offset:56
.LBB120_416:
	s_or_b64 exec, exec, s[8:9]
	buffer_load_dword v125, off, s[0:3], 0 offset:52
	v_cmp_lt_u32_e64 s[6:7], 13, v0
	s_waitcnt vmcnt(0)
	ds_write_b32 v116, v125
	s_waitcnt lgkmcnt(0)
	; wave barrier
	s_waitcnt lgkmcnt(0)
	s_and_saveexec_b64 s[8:9], s[6:7]
	s_cbranch_execz .LBB120_426
; %bb.417:
	s_andn2_b64 vcc, exec, s[10:11]
	s_cbranch_vccnz .LBB120_419
; %bb.418:
	buffer_load_dword v125, v117, s[0:3], 0 offen
	ds_read_b32 v126, v116
	s_waitcnt vmcnt(0) lgkmcnt(0)
	v_mul_f32_e32 v125, v125, v126
	s_cbranch_execz .LBB120_420
	s_branch .LBB120_421
.LBB120_419:
                                        ; implicit-def: $vgpr125
.LBB120_420:
	ds_read_b32 v125, v116
.LBB120_421:
	s_and_saveexec_b64 s[12:13], s[4:5]
	s_cbranch_execz .LBB120_425
; %bb.422:
	v_add_u32_e32 v126, -14, v0
	s_movk_i32 s14, 0x128
	s_mov_b64 s[4:5], 0
.LBB120_423:                            ; =>This Inner Loop Header: Depth=1
	buffer_load_dword v127, v124, s[0:3], 0 offen
	v_mov_b32_e32 v128, s14
	ds_read_b32 v128, v128
	v_add_u32_e32 v126, -1, v126
	s_add_i32 s14, s14, 4
	v_cmp_eq_u32_e32 vcc, 0, v126
	v_add_u32_e32 v124, 4, v124
	s_or_b64 s[4:5], vcc, s[4:5]
	s_waitcnt vmcnt(0) lgkmcnt(0)
	v_fmac_f32_e32 v125, v127, v128
	s_andn2_b64 exec, exec, s[4:5]
	s_cbranch_execnz .LBB120_423
; %bb.424:
	s_or_b64 exec, exec, s[4:5]
.LBB120_425:
	s_or_b64 exec, exec, s[12:13]
	v_mov_b32_e32 v124, 0
	ds_read_b32 v124, v124 offset:52
	s_waitcnt lgkmcnt(0)
	v_mul_f32_e32 v124, v125, v124
	buffer_store_dword v124, off, s[0:3], 0 offset:52
.LBB120_426:
	s_or_b64 exec, exec, s[8:9]
	buffer_load_dword v124, off, s[0:3], 0 offset:48
	v_cmp_lt_u32_e64 s[4:5], 12, v0
	s_waitcnt vmcnt(0)
	ds_write_b32 v116, v124
	s_waitcnt lgkmcnt(0)
	; wave barrier
	s_waitcnt lgkmcnt(0)
	s_and_saveexec_b64 s[8:9], s[4:5]
	s_cbranch_execz .LBB120_436
; %bb.427:
	s_andn2_b64 vcc, exec, s[10:11]
	s_cbranch_vccnz .LBB120_429
; %bb.428:
	buffer_load_dword v124, v117, s[0:3], 0 offen
	ds_read_b32 v125, v116
	s_waitcnt vmcnt(0) lgkmcnt(0)
	v_mul_f32_e32 v124, v124, v125
	s_cbranch_execz .LBB120_430
	s_branch .LBB120_431
.LBB120_429:
                                        ; implicit-def: $vgpr124
.LBB120_430:
	ds_read_b32 v124, v116
.LBB120_431:
	s_and_saveexec_b64 s[12:13], s[6:7]
	s_cbranch_execz .LBB120_435
; %bb.432:
	v_mov_b32_e32 v125, 0
	v_add_u32_e32 v125, 52, v125
	v_add_u32_e32 v126, -13, v0
	s_movk_i32 s14, 0x124
	s_mov_b64 s[6:7], 0
.LBB120_433:                            ; =>This Inner Loop Header: Depth=1
	buffer_load_dword v127, v125, s[0:3], 0 offen
	v_mov_b32_e32 v128, s14
	ds_read_b32 v128, v128
	v_add_u32_e32 v126, -1, v126
	s_add_i32 s14, s14, 4
	v_cmp_eq_u32_e32 vcc, 0, v126
	v_add_u32_e32 v125, 4, v125
	s_or_b64 s[6:7], vcc, s[6:7]
	s_waitcnt vmcnt(0) lgkmcnt(0)
	v_fmac_f32_e32 v124, v127, v128
	s_andn2_b64 exec, exec, s[6:7]
	s_cbranch_execnz .LBB120_433
; %bb.434:
	s_or_b64 exec, exec, s[6:7]
.LBB120_435:
	s_or_b64 exec, exec, s[12:13]
	v_mov_b32_e32 v125, 0
	ds_read_b32 v125, v125 offset:48
	s_waitcnt lgkmcnt(0)
	v_mul_f32_e32 v124, v124, v125
	buffer_store_dword v124, off, s[0:3], 0 offset:48
.LBB120_436:
	s_or_b64 exec, exec, s[8:9]
	buffer_load_dword v124, off, s[0:3], 0 offset:44
	v_cmp_lt_u32_e64 s[6:7], 11, v0
	s_waitcnt vmcnt(0)
	ds_write_b32 v116, v124
	s_waitcnt lgkmcnt(0)
	; wave barrier
	s_waitcnt lgkmcnt(0)
	s_and_saveexec_b64 s[8:9], s[6:7]
	s_cbranch_execz .LBB120_446
; %bb.437:
	s_andn2_b64 vcc, exec, s[10:11]
	s_cbranch_vccnz .LBB120_439
; %bb.438:
	buffer_load_dword v124, v117, s[0:3], 0 offen
	ds_read_b32 v125, v116
	s_waitcnt vmcnt(0) lgkmcnt(0)
	v_mul_f32_e32 v124, v124, v125
	s_cbranch_execz .LBB120_440
	s_branch .LBB120_441
.LBB120_439:
                                        ; implicit-def: $vgpr124
.LBB120_440:
	ds_read_b32 v124, v116
.LBB120_441:
	s_and_saveexec_b64 s[12:13], s[4:5]
	s_cbranch_execz .LBB120_445
; %bb.442:
	v_add_u32_e32 v125, -12, v0
	s_movk_i32 s14, 0x120
	s_mov_b64 s[4:5], 0
.LBB120_443:                            ; =>This Inner Loop Header: Depth=1
	buffer_load_dword v126, v123, s[0:3], 0 offen
	v_mov_b32_e32 v127, s14
	ds_read_b32 v127, v127
	v_add_u32_e32 v125, -1, v125
	s_add_i32 s14, s14, 4
	v_cmp_eq_u32_e32 vcc, 0, v125
	v_add_u32_e32 v123, 4, v123
	s_or_b64 s[4:5], vcc, s[4:5]
	s_waitcnt vmcnt(0) lgkmcnt(0)
	v_fmac_f32_e32 v124, v126, v127
	s_andn2_b64 exec, exec, s[4:5]
	s_cbranch_execnz .LBB120_443
; %bb.444:
	s_or_b64 exec, exec, s[4:5]
.LBB120_445:
	s_or_b64 exec, exec, s[12:13]
	v_mov_b32_e32 v123, 0
	ds_read_b32 v123, v123 offset:44
	s_waitcnt lgkmcnt(0)
	v_mul_f32_e32 v123, v124, v123
	buffer_store_dword v123, off, s[0:3], 0 offset:44
.LBB120_446:
	s_or_b64 exec, exec, s[8:9]
	buffer_load_dword v123, off, s[0:3], 0 offset:40
	v_cmp_lt_u32_e64 s[4:5], 10, v0
	s_waitcnt vmcnt(0)
	ds_write_b32 v116, v123
	s_waitcnt lgkmcnt(0)
	; wave barrier
	s_waitcnt lgkmcnt(0)
	s_and_saveexec_b64 s[8:9], s[4:5]
	s_cbranch_execz .LBB120_456
; %bb.447:
	s_andn2_b64 vcc, exec, s[10:11]
	s_cbranch_vccnz .LBB120_449
; %bb.448:
	buffer_load_dword v123, v117, s[0:3], 0 offen
	ds_read_b32 v124, v116
	s_waitcnt vmcnt(0) lgkmcnt(0)
	v_mul_f32_e32 v123, v123, v124
	s_cbranch_execz .LBB120_450
	s_branch .LBB120_451
.LBB120_449:
                                        ; implicit-def: $vgpr123
.LBB120_450:
	ds_read_b32 v123, v116
.LBB120_451:
	s_and_saveexec_b64 s[12:13], s[6:7]
	s_cbranch_execz .LBB120_455
; %bb.452:
	v_mov_b32_e32 v124, 0
	v_add_u32_e32 v124, 44, v124
	v_add_u32_e32 v125, -11, v0
	s_movk_i32 s14, 0x11c
	s_mov_b64 s[6:7], 0
.LBB120_453:                            ; =>This Inner Loop Header: Depth=1
	buffer_load_dword v126, v124, s[0:3], 0 offen
	v_mov_b32_e32 v127, s14
	ds_read_b32 v127, v127
	v_add_u32_e32 v125, -1, v125
	s_add_i32 s14, s14, 4
	v_cmp_eq_u32_e32 vcc, 0, v125
	v_add_u32_e32 v124, 4, v124
	s_or_b64 s[6:7], vcc, s[6:7]
	s_waitcnt vmcnt(0) lgkmcnt(0)
	v_fmac_f32_e32 v123, v126, v127
	s_andn2_b64 exec, exec, s[6:7]
	s_cbranch_execnz .LBB120_453
; %bb.454:
	s_or_b64 exec, exec, s[6:7]
.LBB120_455:
	s_or_b64 exec, exec, s[12:13]
	v_mov_b32_e32 v124, 0
	ds_read_b32 v124, v124 offset:40
	s_waitcnt lgkmcnt(0)
	v_mul_f32_e32 v123, v123, v124
	buffer_store_dword v123, off, s[0:3], 0 offset:40
.LBB120_456:
	s_or_b64 exec, exec, s[8:9]
	buffer_load_dword v123, off, s[0:3], 0 offset:36
	v_cmp_lt_u32_e64 s[6:7], 9, v0
	s_waitcnt vmcnt(0)
	ds_write_b32 v116, v123
	s_waitcnt lgkmcnt(0)
	; wave barrier
	s_waitcnt lgkmcnt(0)
	s_and_saveexec_b64 s[8:9], s[6:7]
	s_cbranch_execz .LBB120_466
; %bb.457:
	s_andn2_b64 vcc, exec, s[10:11]
	s_cbranch_vccnz .LBB120_459
; %bb.458:
	buffer_load_dword v123, v117, s[0:3], 0 offen
	ds_read_b32 v124, v116
	s_waitcnt vmcnt(0) lgkmcnt(0)
	v_mul_f32_e32 v123, v123, v124
	s_cbranch_execz .LBB120_460
	s_branch .LBB120_461
.LBB120_459:
                                        ; implicit-def: $vgpr123
.LBB120_460:
	ds_read_b32 v123, v116
.LBB120_461:
	s_and_saveexec_b64 s[12:13], s[4:5]
	s_cbranch_execz .LBB120_465
; %bb.462:
	v_add_u32_e32 v124, -10, v0
	s_movk_i32 s14, 0x118
	s_mov_b64 s[4:5], 0
.LBB120_463:                            ; =>This Inner Loop Header: Depth=1
	buffer_load_dword v125, v122, s[0:3], 0 offen
	v_mov_b32_e32 v126, s14
	ds_read_b32 v126, v126
	v_add_u32_e32 v124, -1, v124
	s_add_i32 s14, s14, 4
	v_cmp_eq_u32_e32 vcc, 0, v124
	v_add_u32_e32 v122, 4, v122
	s_or_b64 s[4:5], vcc, s[4:5]
	s_waitcnt vmcnt(0) lgkmcnt(0)
	v_fmac_f32_e32 v123, v125, v126
	s_andn2_b64 exec, exec, s[4:5]
	s_cbranch_execnz .LBB120_463
; %bb.464:
	s_or_b64 exec, exec, s[4:5]
.LBB120_465:
	s_or_b64 exec, exec, s[12:13]
	v_mov_b32_e32 v122, 0
	ds_read_b32 v122, v122 offset:36
	s_waitcnt lgkmcnt(0)
	v_mul_f32_e32 v122, v123, v122
	buffer_store_dword v122, off, s[0:3], 0 offset:36
.LBB120_466:
	s_or_b64 exec, exec, s[8:9]
	buffer_load_dword v122, off, s[0:3], 0 offset:32
	v_cmp_lt_u32_e64 s[4:5], 8, v0
	s_waitcnt vmcnt(0)
	ds_write_b32 v116, v122
	s_waitcnt lgkmcnt(0)
	; wave barrier
	s_waitcnt lgkmcnt(0)
	s_and_saveexec_b64 s[8:9], s[4:5]
	s_cbranch_execz .LBB120_476
; %bb.467:
	s_andn2_b64 vcc, exec, s[10:11]
	s_cbranch_vccnz .LBB120_469
; %bb.468:
	buffer_load_dword v122, v117, s[0:3], 0 offen
	ds_read_b32 v123, v116
	s_waitcnt vmcnt(0) lgkmcnt(0)
	v_mul_f32_e32 v122, v122, v123
	s_cbranch_execz .LBB120_470
	s_branch .LBB120_471
.LBB120_469:
                                        ; implicit-def: $vgpr122
.LBB120_470:
	ds_read_b32 v122, v116
.LBB120_471:
	s_and_saveexec_b64 s[12:13], s[6:7]
	s_cbranch_execz .LBB120_475
; %bb.472:
	v_mov_b32_e32 v123, 0
	v_add_u32_e32 v123, 36, v123
	v_add_u32_e32 v124, -9, v0
	s_movk_i32 s14, 0x114
	s_mov_b64 s[6:7], 0
.LBB120_473:                            ; =>This Inner Loop Header: Depth=1
	buffer_load_dword v125, v123, s[0:3], 0 offen
	v_mov_b32_e32 v126, s14
	ds_read_b32 v126, v126
	v_add_u32_e32 v124, -1, v124
	s_add_i32 s14, s14, 4
	v_cmp_eq_u32_e32 vcc, 0, v124
	v_add_u32_e32 v123, 4, v123
	s_or_b64 s[6:7], vcc, s[6:7]
	s_waitcnt vmcnt(0) lgkmcnt(0)
	v_fmac_f32_e32 v122, v125, v126
	s_andn2_b64 exec, exec, s[6:7]
	s_cbranch_execnz .LBB120_473
; %bb.474:
	s_or_b64 exec, exec, s[6:7]
.LBB120_475:
	s_or_b64 exec, exec, s[12:13]
	v_mov_b32_e32 v123, 0
	ds_read_b32 v123, v123 offset:32
	s_waitcnt lgkmcnt(0)
	v_mul_f32_e32 v122, v122, v123
	buffer_store_dword v122, off, s[0:3], 0 offset:32
.LBB120_476:
	s_or_b64 exec, exec, s[8:9]
	buffer_load_dword v122, off, s[0:3], 0 offset:28
	v_cmp_lt_u32_e64 s[6:7], 7, v0
	s_waitcnt vmcnt(0)
	ds_write_b32 v116, v122
	s_waitcnt lgkmcnt(0)
	; wave barrier
	s_waitcnt lgkmcnt(0)
	s_and_saveexec_b64 s[8:9], s[6:7]
	s_cbranch_execz .LBB120_486
; %bb.477:
	s_andn2_b64 vcc, exec, s[10:11]
	s_cbranch_vccnz .LBB120_479
; %bb.478:
	buffer_load_dword v122, v117, s[0:3], 0 offen
	ds_read_b32 v123, v116
	s_waitcnt vmcnt(0) lgkmcnt(0)
	v_mul_f32_e32 v122, v122, v123
	s_cbranch_execz .LBB120_480
	s_branch .LBB120_481
.LBB120_479:
                                        ; implicit-def: $vgpr122
.LBB120_480:
	ds_read_b32 v122, v116
.LBB120_481:
	s_and_saveexec_b64 s[12:13], s[4:5]
	s_cbranch_execz .LBB120_485
; %bb.482:
	v_add_u32_e32 v123, -8, v0
	s_movk_i32 s14, 0x110
	s_mov_b64 s[4:5], 0
.LBB120_483:                            ; =>This Inner Loop Header: Depth=1
	buffer_load_dword v124, v121, s[0:3], 0 offen
	v_mov_b32_e32 v125, s14
	ds_read_b32 v125, v125
	v_add_u32_e32 v123, -1, v123
	s_add_i32 s14, s14, 4
	v_cmp_eq_u32_e32 vcc, 0, v123
	v_add_u32_e32 v121, 4, v121
	s_or_b64 s[4:5], vcc, s[4:5]
	s_waitcnt vmcnt(0) lgkmcnt(0)
	v_fmac_f32_e32 v122, v124, v125
	s_andn2_b64 exec, exec, s[4:5]
	s_cbranch_execnz .LBB120_483
; %bb.484:
	s_or_b64 exec, exec, s[4:5]
.LBB120_485:
	s_or_b64 exec, exec, s[12:13]
	v_mov_b32_e32 v121, 0
	ds_read_b32 v121, v121 offset:28
	s_waitcnt lgkmcnt(0)
	v_mul_f32_e32 v121, v122, v121
	buffer_store_dword v121, off, s[0:3], 0 offset:28
.LBB120_486:
	s_or_b64 exec, exec, s[8:9]
	buffer_load_dword v121, off, s[0:3], 0 offset:24
	v_cmp_lt_u32_e64 s[4:5], 6, v0
	s_waitcnt vmcnt(0)
	ds_write_b32 v116, v121
	s_waitcnt lgkmcnt(0)
	; wave barrier
	s_waitcnt lgkmcnt(0)
	s_and_saveexec_b64 s[8:9], s[4:5]
	s_cbranch_execz .LBB120_496
; %bb.487:
	s_andn2_b64 vcc, exec, s[10:11]
	s_cbranch_vccnz .LBB120_489
; %bb.488:
	buffer_load_dword v121, v117, s[0:3], 0 offen
	ds_read_b32 v122, v116
	s_waitcnt vmcnt(0) lgkmcnt(0)
	v_mul_f32_e32 v121, v121, v122
	s_cbranch_execz .LBB120_490
	s_branch .LBB120_491
.LBB120_489:
                                        ; implicit-def: $vgpr121
.LBB120_490:
	ds_read_b32 v121, v116
.LBB120_491:
	s_and_saveexec_b64 s[12:13], s[6:7]
	s_cbranch_execz .LBB120_495
; %bb.492:
	v_mov_b32_e32 v122, 0
	v_add_u32_e32 v122, 28, v122
	v_add_u32_e32 v123, -7, v0
	s_movk_i32 s14, 0x10c
	s_mov_b64 s[6:7], 0
.LBB120_493:                            ; =>This Inner Loop Header: Depth=1
	buffer_load_dword v124, v122, s[0:3], 0 offen
	v_mov_b32_e32 v125, s14
	ds_read_b32 v125, v125
	v_add_u32_e32 v123, -1, v123
	s_add_i32 s14, s14, 4
	v_cmp_eq_u32_e32 vcc, 0, v123
	v_add_u32_e32 v122, 4, v122
	s_or_b64 s[6:7], vcc, s[6:7]
	s_waitcnt vmcnt(0) lgkmcnt(0)
	v_fmac_f32_e32 v121, v124, v125
	s_andn2_b64 exec, exec, s[6:7]
	s_cbranch_execnz .LBB120_493
; %bb.494:
	s_or_b64 exec, exec, s[6:7]
.LBB120_495:
	s_or_b64 exec, exec, s[12:13]
	v_mov_b32_e32 v122, 0
	ds_read_b32 v122, v122 offset:24
	s_waitcnt lgkmcnt(0)
	v_mul_f32_e32 v121, v121, v122
	buffer_store_dword v121, off, s[0:3], 0 offset:24
.LBB120_496:
	s_or_b64 exec, exec, s[8:9]
	buffer_load_dword v121, off, s[0:3], 0 offset:20
	v_cmp_lt_u32_e64 s[6:7], 5, v0
	s_waitcnt vmcnt(0)
	ds_write_b32 v116, v121
	s_waitcnt lgkmcnt(0)
	; wave barrier
	s_waitcnt lgkmcnt(0)
	s_and_saveexec_b64 s[8:9], s[6:7]
	s_cbranch_execz .LBB120_506
; %bb.497:
	s_andn2_b64 vcc, exec, s[10:11]
	s_cbranch_vccnz .LBB120_499
; %bb.498:
	buffer_load_dword v121, v117, s[0:3], 0 offen
	ds_read_b32 v122, v116
	s_waitcnt vmcnt(0) lgkmcnt(0)
	v_mul_f32_e32 v121, v121, v122
	s_cbranch_execz .LBB120_500
	s_branch .LBB120_501
.LBB120_499:
                                        ; implicit-def: $vgpr121
.LBB120_500:
	ds_read_b32 v121, v116
.LBB120_501:
	s_and_saveexec_b64 s[12:13], s[4:5]
	s_cbranch_execz .LBB120_505
; %bb.502:
	v_add_u32_e32 v122, -6, v0
	s_movk_i32 s14, 0x108
	s_mov_b64 s[4:5], 0
.LBB120_503:                            ; =>This Inner Loop Header: Depth=1
	buffer_load_dword v123, v120, s[0:3], 0 offen
	v_mov_b32_e32 v124, s14
	ds_read_b32 v124, v124
	v_add_u32_e32 v122, -1, v122
	s_add_i32 s14, s14, 4
	v_cmp_eq_u32_e32 vcc, 0, v122
	v_add_u32_e32 v120, 4, v120
	s_or_b64 s[4:5], vcc, s[4:5]
	s_waitcnt vmcnt(0) lgkmcnt(0)
	v_fmac_f32_e32 v121, v123, v124
	s_andn2_b64 exec, exec, s[4:5]
	s_cbranch_execnz .LBB120_503
; %bb.504:
	s_or_b64 exec, exec, s[4:5]
.LBB120_505:
	s_or_b64 exec, exec, s[12:13]
	v_mov_b32_e32 v120, 0
	ds_read_b32 v120, v120 offset:20
	s_waitcnt lgkmcnt(0)
	v_mul_f32_e32 v120, v121, v120
	buffer_store_dword v120, off, s[0:3], 0 offset:20
.LBB120_506:
	s_or_b64 exec, exec, s[8:9]
	buffer_load_dword v120, off, s[0:3], 0 offset:16
	v_cmp_lt_u32_e64 s[4:5], 4, v0
	s_waitcnt vmcnt(0)
	ds_write_b32 v116, v120
	s_waitcnt lgkmcnt(0)
	; wave barrier
	s_waitcnt lgkmcnt(0)
	s_and_saveexec_b64 s[8:9], s[4:5]
	s_cbranch_execz .LBB120_516
; %bb.507:
	s_andn2_b64 vcc, exec, s[10:11]
	s_cbranch_vccnz .LBB120_509
; %bb.508:
	buffer_load_dword v120, v117, s[0:3], 0 offen
	ds_read_b32 v121, v116
	s_waitcnt vmcnt(0) lgkmcnt(0)
	v_mul_f32_e32 v120, v120, v121
	s_cbranch_execz .LBB120_510
	s_branch .LBB120_511
.LBB120_509:
                                        ; implicit-def: $vgpr120
.LBB120_510:
	ds_read_b32 v120, v116
.LBB120_511:
	s_and_saveexec_b64 s[12:13], s[6:7]
	s_cbranch_execz .LBB120_515
; %bb.512:
	v_mov_b32_e32 v121, 0
	v_add_u32_e32 v121, 20, v121
	v_add_u32_e32 v122, -5, v0
	s_movk_i32 s14, 0x104
	s_mov_b64 s[6:7], 0
.LBB120_513:                            ; =>This Inner Loop Header: Depth=1
	buffer_load_dword v123, v121, s[0:3], 0 offen
	v_mov_b32_e32 v124, s14
	ds_read_b32 v124, v124
	v_add_u32_e32 v122, -1, v122
	s_add_i32 s14, s14, 4
	v_cmp_eq_u32_e32 vcc, 0, v122
	v_add_u32_e32 v121, 4, v121
	s_or_b64 s[6:7], vcc, s[6:7]
	s_waitcnt vmcnt(0) lgkmcnt(0)
	v_fmac_f32_e32 v120, v123, v124
	s_andn2_b64 exec, exec, s[6:7]
	s_cbranch_execnz .LBB120_513
; %bb.514:
	s_or_b64 exec, exec, s[6:7]
.LBB120_515:
	s_or_b64 exec, exec, s[12:13]
	v_mov_b32_e32 v121, 0
	ds_read_b32 v121, v121 offset:16
	s_waitcnt lgkmcnt(0)
	v_mul_f32_e32 v120, v120, v121
	buffer_store_dword v120, off, s[0:3], 0 offset:16
.LBB120_516:
	s_or_b64 exec, exec, s[8:9]
	buffer_load_dword v120, off, s[0:3], 0 offset:12
	v_cmp_lt_u32_e64 s[6:7], 3, v0
	s_waitcnt vmcnt(0)
	ds_write_b32 v116, v120
	s_waitcnt lgkmcnt(0)
	; wave barrier
	s_waitcnt lgkmcnt(0)
	s_and_saveexec_b64 s[8:9], s[6:7]
	s_cbranch_execz .LBB120_526
; %bb.517:
	s_andn2_b64 vcc, exec, s[10:11]
	s_cbranch_vccnz .LBB120_519
; %bb.518:
	buffer_load_dword v120, v117, s[0:3], 0 offen
	ds_read_b32 v121, v116
	s_waitcnt vmcnt(0) lgkmcnt(0)
	v_mul_f32_e32 v120, v120, v121
	s_cbranch_execz .LBB120_520
	s_branch .LBB120_521
.LBB120_519:
                                        ; implicit-def: $vgpr120
.LBB120_520:
	ds_read_b32 v120, v116
.LBB120_521:
	s_and_saveexec_b64 s[12:13], s[4:5]
	s_cbranch_execz .LBB120_525
; %bb.522:
	v_add_u32_e32 v121, -4, v0
	s_movk_i32 s14, 0x100
	s_mov_b64 s[4:5], 0
.LBB120_523:                            ; =>This Inner Loop Header: Depth=1
	buffer_load_dword v122, v119, s[0:3], 0 offen
	v_mov_b32_e32 v123, s14
	ds_read_b32 v123, v123
	v_add_u32_e32 v121, -1, v121
	s_add_i32 s14, s14, 4
	v_cmp_eq_u32_e32 vcc, 0, v121
	v_add_u32_e32 v119, 4, v119
	s_or_b64 s[4:5], vcc, s[4:5]
	s_waitcnt vmcnt(0) lgkmcnt(0)
	v_fmac_f32_e32 v120, v122, v123
	s_andn2_b64 exec, exec, s[4:5]
	s_cbranch_execnz .LBB120_523
; %bb.524:
	s_or_b64 exec, exec, s[4:5]
.LBB120_525:
	s_or_b64 exec, exec, s[12:13]
	v_mov_b32_e32 v119, 0
	ds_read_b32 v119, v119 offset:12
	s_waitcnt lgkmcnt(0)
	v_mul_f32_e32 v119, v120, v119
	buffer_store_dword v119, off, s[0:3], 0 offset:12
.LBB120_526:
	s_or_b64 exec, exec, s[8:9]
	buffer_load_dword v119, off, s[0:3], 0 offset:8
	v_cmp_lt_u32_e64 s[4:5], 2, v0
	s_waitcnt vmcnt(0)
	ds_write_b32 v116, v119
	s_waitcnt lgkmcnt(0)
	; wave barrier
	s_waitcnt lgkmcnt(0)
	s_and_saveexec_b64 s[8:9], s[4:5]
	s_cbranch_execz .LBB120_536
; %bb.527:
	s_andn2_b64 vcc, exec, s[10:11]
	s_cbranch_vccnz .LBB120_529
; %bb.528:
	buffer_load_dword v119, v117, s[0:3], 0 offen
	ds_read_b32 v120, v116
	s_waitcnt vmcnt(0) lgkmcnt(0)
	v_mul_f32_e32 v119, v119, v120
	s_cbranch_execz .LBB120_530
	s_branch .LBB120_531
.LBB120_529:
                                        ; implicit-def: $vgpr119
.LBB120_530:
	ds_read_b32 v119, v116
.LBB120_531:
	s_and_saveexec_b64 s[12:13], s[6:7]
	s_cbranch_execz .LBB120_535
; %bb.532:
	v_mov_b32_e32 v120, 0
	v_or_b32_e32 v120, 12, v120
	v_add_u32_e32 v121, -3, v0
	s_movk_i32 s14, 0xfc
	s_mov_b64 s[6:7], 0
.LBB120_533:                            ; =>This Inner Loop Header: Depth=1
	buffer_load_dword v122, v120, s[0:3], 0 offen
	v_mov_b32_e32 v123, s14
	ds_read_b32 v123, v123
	v_add_u32_e32 v121, -1, v121
	s_add_i32 s14, s14, 4
	v_cmp_eq_u32_e32 vcc, 0, v121
	v_add_u32_e32 v120, 4, v120
	s_or_b64 s[6:7], vcc, s[6:7]
	s_waitcnt vmcnt(0) lgkmcnt(0)
	v_fmac_f32_e32 v119, v122, v123
	s_andn2_b64 exec, exec, s[6:7]
	s_cbranch_execnz .LBB120_533
; %bb.534:
	s_or_b64 exec, exec, s[6:7]
.LBB120_535:
	s_or_b64 exec, exec, s[12:13]
	v_mov_b32_e32 v120, 0
	ds_read_b32 v120, v120 offset:8
	s_waitcnt lgkmcnt(0)
	v_mul_f32_e32 v119, v119, v120
	buffer_store_dword v119, off, s[0:3], 0 offset:8
.LBB120_536:
	s_or_b64 exec, exec, s[8:9]
	buffer_load_dword v119, off, s[0:3], 0 offset:4
	v_cmp_lt_u32_e64 s[6:7], 1, v0
	s_waitcnt vmcnt(0)
	ds_write_b32 v116, v119
	s_waitcnt lgkmcnt(0)
	; wave barrier
	s_waitcnt lgkmcnt(0)
	s_and_saveexec_b64 s[8:9], s[6:7]
	s_cbranch_execz .LBB120_546
; %bb.537:
	s_andn2_b64 vcc, exec, s[10:11]
	s_cbranch_vccnz .LBB120_539
; %bb.538:
	buffer_load_dword v119, v117, s[0:3], 0 offen
	ds_read_b32 v120, v116
	s_waitcnt vmcnt(0) lgkmcnt(0)
	v_mul_f32_e32 v119, v119, v120
	s_cbranch_execz .LBB120_540
	s_branch .LBB120_541
.LBB120_539:
                                        ; implicit-def: $vgpr119
.LBB120_540:
	ds_read_b32 v119, v116
.LBB120_541:
	s_and_saveexec_b64 s[12:13], s[4:5]
	s_cbranch_execz .LBB120_545
; %bb.542:
	v_add_u32_e32 v120, -2, v0
	s_movk_i32 s14, 0xf8
	s_mov_b64 s[4:5], 0
.LBB120_543:                            ; =>This Inner Loop Header: Depth=1
	buffer_load_dword v121, v118, s[0:3], 0 offen
	v_mov_b32_e32 v122, s14
	ds_read_b32 v122, v122
	v_add_u32_e32 v120, -1, v120
	s_add_i32 s14, s14, 4
	v_cmp_eq_u32_e32 vcc, 0, v120
	v_add_u32_e32 v118, 4, v118
	s_or_b64 s[4:5], vcc, s[4:5]
	s_waitcnt vmcnt(0) lgkmcnt(0)
	v_fmac_f32_e32 v119, v121, v122
	s_andn2_b64 exec, exec, s[4:5]
	s_cbranch_execnz .LBB120_543
; %bb.544:
	s_or_b64 exec, exec, s[4:5]
.LBB120_545:
	s_or_b64 exec, exec, s[12:13]
	v_mov_b32_e32 v118, 0
	ds_read_b32 v118, v118 offset:4
	s_waitcnt lgkmcnt(0)
	v_mul_f32_e32 v118, v119, v118
	buffer_store_dword v118, off, s[0:3], 0 offset:4
.LBB120_546:
	s_or_b64 exec, exec, s[8:9]
	buffer_load_dword v118, off, s[0:3], 0
	v_cmp_ne_u32_e32 vcc, 0, v0
	s_waitcnt vmcnt(0)
	ds_write_b32 v116, v118
	s_waitcnt lgkmcnt(0)
	; wave barrier
	s_waitcnt lgkmcnt(0)
	s_and_saveexec_b64 s[4:5], vcc
	s_cbranch_execz .LBB120_556
; %bb.547:
	s_andn2_b64 vcc, exec, s[10:11]
	s_cbranch_vccnz .LBB120_549
; %bb.548:
	buffer_load_dword v118, v117, s[0:3], 0 offen
	ds_read_b32 v119, v116
	s_waitcnt vmcnt(0) lgkmcnt(0)
	v_mul_f32_e32 v118, v118, v119
	s_cbranch_execz .LBB120_550
	s_branch .LBB120_551
.LBB120_549:
                                        ; implicit-def: $vgpr118
.LBB120_550:
	ds_read_b32 v118, v116
.LBB120_551:
	s_and_saveexec_b64 s[8:9], s[6:7]
	s_cbranch_execz .LBB120_555
; %bb.552:
	v_mov_b32_e32 v119, 0
	v_or_b32_e32 v119, 4, v119
	v_add_u32_e32 v120, -1, v0
	s_movk_i32 s12, 0xf4
	s_mov_b64 s[6:7], 0
.LBB120_553:                            ; =>This Inner Loop Header: Depth=1
	buffer_load_dword v121, v119, s[0:3], 0 offen
	v_mov_b32_e32 v122, s12
	ds_read_b32 v122, v122
	v_add_u32_e32 v120, -1, v120
	s_add_i32 s12, s12, 4
	v_cmp_eq_u32_e32 vcc, 0, v120
	v_add_u32_e32 v119, 4, v119
	s_or_b64 s[6:7], vcc, s[6:7]
	s_waitcnt vmcnt(0) lgkmcnt(0)
	v_fmac_f32_e32 v118, v121, v122
	s_andn2_b64 exec, exec, s[6:7]
	s_cbranch_execnz .LBB120_553
; %bb.554:
	s_or_b64 exec, exec, s[6:7]
.LBB120_555:
	s_or_b64 exec, exec, s[8:9]
	v_mov_b32_e32 v119, 0
	ds_read_b32 v119, v119
	s_waitcnt lgkmcnt(0)
	v_mul_f32_e32 v118, v118, v119
	buffer_store_dword v118, off, s[0:3], 0
.LBB120_556:
	s_or_b64 exec, exec, s[4:5]
	s_mov_b64 s[4:5], 0
.LBB120_557:
	s_and_b64 vcc, exec, s[4:5]
	s_cbranch_vccz .LBB120_1111
; %bb.558:
	buffer_load_dword v118, off, s[0:3], 0 offset:4
	v_cmp_eq_u32_e64 s[6:7], 0, v0
	s_waitcnt vmcnt(0)
	ds_write_b32 v116, v118
	s_waitcnt lgkmcnt(0)
	; wave barrier
	s_waitcnt lgkmcnt(0)
	s_and_saveexec_b64 s[4:5], s[6:7]
	s_cbranch_execz .LBB120_564
; %bb.559:
	s_and_b64 vcc, exec, s[10:11]
	s_cbranch_vccz .LBB120_561
; %bb.560:
	buffer_load_dword v118, v117, s[0:3], 0 offen
	ds_read_b32 v119, v116
	s_waitcnt vmcnt(0) lgkmcnt(0)
	v_mul_f32_e32 v118, v118, v119
	s_cbranch_execz .LBB120_562
	s_branch .LBB120_563
.LBB120_561:
                                        ; implicit-def: $vgpr118
.LBB120_562:
	ds_read_b32 v118, v116
.LBB120_563:
	v_mov_b32_e32 v119, 0
	ds_read_b32 v119, v119 offset:4
	s_waitcnt lgkmcnt(0)
	v_mul_f32_e32 v118, v118, v119
	buffer_store_dword v118, off, s[0:3], 0 offset:4
.LBB120_564:
	s_or_b64 exec, exec, s[4:5]
	buffer_load_dword v118, off, s[0:3], 0 offset:8
	v_cndmask_b32_e64 v119, 0, 1, s[10:11]
	v_cmp_gt_u32_e32 vcc, 2, v0
	v_cmp_ne_u32_e64 s[4:5], 1, v119
	s_waitcnt vmcnt(0)
	ds_write_b32 v116, v118
	s_waitcnt lgkmcnt(0)
	; wave barrier
	s_waitcnt lgkmcnt(0)
	s_and_saveexec_b64 s[8:9], vcc
	s_cbranch_execz .LBB120_572
; %bb.565:
	s_and_b64 vcc, exec, s[4:5]
	s_cbranch_vccnz .LBB120_567
; %bb.566:
	buffer_load_dword v118, v117, s[0:3], 0 offen
	ds_read_b32 v119, v116
	s_waitcnt vmcnt(0) lgkmcnt(0)
	v_mul_f32_e32 v118, v118, v119
	s_cbranch_execz .LBB120_568
	s_branch .LBB120_569
.LBB120_567:
                                        ; implicit-def: $vgpr118
.LBB120_568:
	ds_read_b32 v118, v116
.LBB120_569:
	s_and_saveexec_b64 s[10:11], s[6:7]
	s_cbranch_execz .LBB120_571
; %bb.570:
	buffer_load_dword v119, v117, s[0:3], 0 offen offset:4
	ds_read_b32 v120, v116 offset:4
	s_waitcnt vmcnt(0) lgkmcnt(0)
	v_fmac_f32_e32 v118, v119, v120
.LBB120_571:
	s_or_b64 exec, exec, s[10:11]
	v_mov_b32_e32 v119, 0
	ds_read_b32 v119, v119 offset:8
	s_waitcnt lgkmcnt(0)
	v_mul_f32_e32 v118, v118, v119
	buffer_store_dword v118, off, s[0:3], 0 offset:8
.LBB120_572:
	s_or_b64 exec, exec, s[8:9]
	buffer_load_dword v118, off, s[0:3], 0 offset:12
	v_cmp_gt_u32_e32 vcc, 3, v0
	s_waitcnt vmcnt(0)
	ds_write_b32 v116, v118
	s_waitcnt lgkmcnt(0)
	; wave barrier
	s_waitcnt lgkmcnt(0)
	s_and_saveexec_b64 s[8:9], vcc
	s_cbranch_execz .LBB120_580
; %bb.573:
	s_and_b64 vcc, exec, s[4:5]
	s_cbranch_vccnz .LBB120_575
; %bb.574:
	buffer_load_dword v118, v117, s[0:3], 0 offen
	ds_read_b32 v119, v116
	s_waitcnt vmcnt(0) lgkmcnt(0)
	v_mul_f32_e32 v118, v118, v119
	s_cbranch_execz .LBB120_576
	s_branch .LBB120_577
.LBB120_575:
                                        ; implicit-def: $vgpr118
.LBB120_576:
	ds_read_b32 v118, v116
.LBB120_577:
	v_cmp_ne_u32_e32 vcc, 2, v0
	s_and_saveexec_b64 s[10:11], vcc
	s_cbranch_execz .LBB120_579
; %bb.578:
	buffer_load_dword v119, v117, s[0:3], 0 offen offset:4
	buffer_load_dword v120, off, s[0:3], 0 offset:8
	v_mov_b32_e32 v121, 0
	ds_read_b32 v122, v116 offset:4
	ds_read_b32 v121, v121 offset:248
	s_waitcnt vmcnt(1) lgkmcnt(1)
	v_fmac_f32_e32 v118, v119, v122
	s_waitcnt vmcnt(0) lgkmcnt(0)
	v_fma_f32 v119, v120, v121, v118
	v_cndmask_b32_e64 v118, v118, v119, s[6:7]
.LBB120_579:
	s_or_b64 exec, exec, s[10:11]
	v_mov_b32_e32 v119, 0
	ds_read_b32 v119, v119 offset:12
	s_waitcnt lgkmcnt(0)
	v_mul_f32_e32 v118, v118, v119
	buffer_store_dword v118, off, s[0:3], 0 offset:12
.LBB120_580:
	s_or_b64 exec, exec, s[8:9]
	buffer_load_dword v118, off, s[0:3], 0 offset:16
	v_cmp_gt_u32_e32 vcc, 4, v0
	s_waitcnt vmcnt(0)
	ds_write_b32 v116, v118
	s_waitcnt lgkmcnt(0)
	; wave barrier
	s_waitcnt lgkmcnt(0)
	s_and_saveexec_b64 s[6:7], vcc
	s_cbranch_execz .LBB120_590
; %bb.581:
	s_and_b64 vcc, exec, s[4:5]
	s_cbranch_vccnz .LBB120_583
; %bb.582:
	buffer_load_dword v118, v117, s[0:3], 0 offen
	ds_read_b32 v119, v116
	s_waitcnt vmcnt(0) lgkmcnt(0)
	v_mul_f32_e32 v118, v118, v119
	s_cbranch_execz .LBB120_584
	s_branch .LBB120_585
.LBB120_583:
                                        ; implicit-def: $vgpr118
.LBB120_584:
	ds_read_b32 v118, v116
.LBB120_585:
	v_cmp_ne_u32_e32 vcc, 3, v0
	s_and_saveexec_b64 s[8:9], vcc
	s_cbranch_execz .LBB120_589
; %bb.586:
	v_mov_b32_e32 v120, 0
	v_add_u32_e32 v119, 0xf4, v1
	v_add3_u32 v120, v1, v120, 4
	s_mov_b64 s[10:11], 0
	v_mov_b32_e32 v121, v0
.LBB120_587:                            ; =>This Inner Loop Header: Depth=1
	buffer_load_dword v122, v120, s[0:3], 0 offen
	ds_read_b32 v123, v119
	v_add_u32_e32 v121, 1, v121
	v_cmp_lt_u32_e32 vcc, 2, v121
	v_add_u32_e32 v119, 4, v119
	v_add_u32_e32 v120, 4, v120
	s_or_b64 s[10:11], vcc, s[10:11]
	s_waitcnt vmcnt(0) lgkmcnt(0)
	v_fmac_f32_e32 v118, v122, v123
	s_andn2_b64 exec, exec, s[10:11]
	s_cbranch_execnz .LBB120_587
; %bb.588:
	s_or_b64 exec, exec, s[10:11]
.LBB120_589:
	s_or_b64 exec, exec, s[8:9]
	v_mov_b32_e32 v119, 0
	ds_read_b32 v119, v119 offset:16
	s_waitcnt lgkmcnt(0)
	v_mul_f32_e32 v118, v118, v119
	buffer_store_dword v118, off, s[0:3], 0 offset:16
.LBB120_590:
	s_or_b64 exec, exec, s[6:7]
	buffer_load_dword v118, off, s[0:3], 0 offset:20
	v_cmp_gt_u32_e32 vcc, 5, v0
	s_waitcnt vmcnt(0)
	ds_write_b32 v116, v118
	s_waitcnt lgkmcnt(0)
	; wave barrier
	s_waitcnt lgkmcnt(0)
	s_and_saveexec_b64 s[6:7], vcc
	s_cbranch_execz .LBB120_600
; %bb.591:
	s_and_b64 vcc, exec, s[4:5]
	s_cbranch_vccnz .LBB120_593
; %bb.592:
	buffer_load_dword v118, v117, s[0:3], 0 offen
	ds_read_b32 v119, v116
	s_waitcnt vmcnt(0) lgkmcnt(0)
	v_mul_f32_e32 v118, v118, v119
	s_cbranch_execz .LBB120_594
	s_branch .LBB120_595
.LBB120_593:
                                        ; implicit-def: $vgpr118
.LBB120_594:
	ds_read_b32 v118, v116
.LBB120_595:
	v_cmp_ne_u32_e32 vcc, 4, v0
	s_and_saveexec_b64 s[8:9], vcc
	s_cbranch_execz .LBB120_599
; %bb.596:
	v_mov_b32_e32 v120, 0
	v_add_u32_e32 v119, 0xf4, v1
	v_add3_u32 v120, v1, v120, 4
	s_mov_b64 s[10:11], 0
	v_mov_b32_e32 v121, v0
.LBB120_597:                            ; =>This Inner Loop Header: Depth=1
	buffer_load_dword v122, v120, s[0:3], 0 offen
	ds_read_b32 v123, v119
	v_add_u32_e32 v121, 1, v121
	v_cmp_lt_u32_e32 vcc, 3, v121
	v_add_u32_e32 v119, 4, v119
	v_add_u32_e32 v120, 4, v120
	s_or_b64 s[10:11], vcc, s[10:11]
	s_waitcnt vmcnt(0) lgkmcnt(0)
	v_fmac_f32_e32 v118, v122, v123
	s_andn2_b64 exec, exec, s[10:11]
	s_cbranch_execnz .LBB120_597
; %bb.598:
	s_or_b64 exec, exec, s[10:11]
.LBB120_599:
	s_or_b64 exec, exec, s[8:9]
	v_mov_b32_e32 v119, 0
	ds_read_b32 v119, v119 offset:20
	s_waitcnt lgkmcnt(0)
	v_mul_f32_e32 v118, v118, v119
	buffer_store_dword v118, off, s[0:3], 0 offset:20
.LBB120_600:
	;; [unrolled: 56-line block ×42, first 2 shown]
	s_or_b64 exec, exec, s[6:7]
	buffer_load_dword v118, off, s[0:3], 0 offset:184
	v_cmp_gt_u32_e32 vcc, 46, v0
	s_waitcnt vmcnt(0)
	ds_write_b32 v116, v118
	s_waitcnt lgkmcnt(0)
	; wave barrier
	s_waitcnt lgkmcnt(0)
	s_and_saveexec_b64 s[6:7], vcc
	s_cbranch_execz .LBB120_1010
; %bb.1001:
	s_and_b64 vcc, exec, s[4:5]
	s_cbranch_vccnz .LBB120_1003
; %bb.1002:
	buffer_load_dword v118, v117, s[0:3], 0 offen
	ds_read_b32 v119, v116
	s_waitcnt vmcnt(0) lgkmcnt(0)
	v_mul_f32_e32 v118, v118, v119
	s_cbranch_execz .LBB120_1004
	s_branch .LBB120_1005
.LBB120_1003:
                                        ; implicit-def: $vgpr118
.LBB120_1004:
	ds_read_b32 v118, v116
.LBB120_1005:
	v_cmp_ne_u32_e32 vcc, 45, v0
	s_and_saveexec_b64 s[8:9], vcc
	s_cbranch_execz .LBB120_1009
; %bb.1006:
	v_mov_b32_e32 v120, 0
	v_add_u32_e32 v119, 0xf4, v1
	v_add3_u32 v120, v1, v120, 4
	s_mov_b64 s[10:11], 0
	v_mov_b32_e32 v121, v0
.LBB120_1007:                           ; =>This Inner Loop Header: Depth=1
	buffer_load_dword v122, v120, s[0:3], 0 offen
	ds_read_b32 v123, v119
	v_add_u32_e32 v121, 1, v121
	v_cmp_lt_u32_e32 vcc, 44, v121
	v_add_u32_e32 v119, 4, v119
	v_add_u32_e32 v120, 4, v120
	s_or_b64 s[10:11], vcc, s[10:11]
	s_waitcnt vmcnt(0) lgkmcnt(0)
	v_fmac_f32_e32 v118, v122, v123
	s_andn2_b64 exec, exec, s[10:11]
	s_cbranch_execnz .LBB120_1007
; %bb.1008:
	s_or_b64 exec, exec, s[10:11]
.LBB120_1009:
	s_or_b64 exec, exec, s[8:9]
	v_mov_b32_e32 v119, 0
	ds_read_b32 v119, v119 offset:184
	s_waitcnt lgkmcnt(0)
	v_mul_f32_e32 v118, v118, v119
	buffer_store_dword v118, off, s[0:3], 0 offset:184
.LBB120_1010:
	s_or_b64 exec, exec, s[6:7]
	buffer_load_dword v118, off, s[0:3], 0 offset:188
	v_cmp_gt_u32_e32 vcc, 47, v0
	s_waitcnt vmcnt(0)
	ds_write_b32 v116, v118
	s_waitcnt lgkmcnt(0)
	; wave barrier
	s_waitcnt lgkmcnt(0)
	s_and_saveexec_b64 s[6:7], vcc
	s_cbranch_execz .LBB120_1020
; %bb.1011:
	s_and_b64 vcc, exec, s[4:5]
	s_cbranch_vccnz .LBB120_1013
; %bb.1012:
	buffer_load_dword v118, v117, s[0:3], 0 offen
	ds_read_b32 v119, v116
	s_waitcnt vmcnt(0) lgkmcnt(0)
	v_mul_f32_e32 v118, v118, v119
	s_cbranch_execz .LBB120_1014
	s_branch .LBB120_1015
.LBB120_1013:
                                        ; implicit-def: $vgpr118
.LBB120_1014:
	ds_read_b32 v118, v116
.LBB120_1015:
	v_cmp_ne_u32_e32 vcc, 46, v0
	s_and_saveexec_b64 s[8:9], vcc
	s_cbranch_execz .LBB120_1019
; %bb.1016:
	v_mov_b32_e32 v120, 0
	v_add_u32_e32 v119, 0xf4, v1
	v_add3_u32 v120, v1, v120, 4
	s_mov_b64 s[10:11], 0
	v_mov_b32_e32 v121, v0
.LBB120_1017:                           ; =>This Inner Loop Header: Depth=1
	buffer_load_dword v122, v120, s[0:3], 0 offen
	ds_read_b32 v123, v119
	v_add_u32_e32 v121, 1, v121
	v_cmp_lt_u32_e32 vcc, 45, v121
	v_add_u32_e32 v119, 4, v119
	v_add_u32_e32 v120, 4, v120
	s_or_b64 s[10:11], vcc, s[10:11]
	s_waitcnt vmcnt(0) lgkmcnt(0)
	v_fmac_f32_e32 v118, v122, v123
	s_andn2_b64 exec, exec, s[10:11]
	s_cbranch_execnz .LBB120_1017
; %bb.1018:
	s_or_b64 exec, exec, s[10:11]
.LBB120_1019:
	s_or_b64 exec, exec, s[8:9]
	v_mov_b32_e32 v119, 0
	ds_read_b32 v119, v119 offset:188
	s_waitcnt lgkmcnt(0)
	v_mul_f32_e32 v118, v118, v119
	buffer_store_dword v118, off, s[0:3], 0 offset:188
.LBB120_1020:
	;; [unrolled: 56-line block ×9, first 2 shown]
	s_or_b64 exec, exec, s[6:7]
	buffer_load_dword v118, off, s[0:3], 0 offset:220
	v_cmp_gt_u32_e64 s[6:7], 55, v0
	s_waitcnt vmcnt(0)
	ds_write_b32 v116, v118
	s_waitcnt lgkmcnt(0)
	; wave barrier
	s_waitcnt lgkmcnt(0)
	s_and_saveexec_b64 s[8:9], s[6:7]
	s_cbranch_execz .LBB120_1100
; %bb.1091:
	s_and_b64 vcc, exec, s[4:5]
	s_cbranch_vccnz .LBB120_1093
; %bb.1092:
	buffer_load_dword v118, v117, s[0:3], 0 offen
	ds_read_b32 v119, v116
	s_waitcnt vmcnt(0) lgkmcnt(0)
	v_mul_f32_e32 v118, v118, v119
	s_cbranch_execz .LBB120_1094
	s_branch .LBB120_1095
.LBB120_1093:
                                        ; implicit-def: $vgpr118
.LBB120_1094:
	ds_read_b32 v118, v116
.LBB120_1095:
	v_cmp_ne_u32_e32 vcc, 54, v0
	s_and_saveexec_b64 s[10:11], vcc
	s_cbranch_execz .LBB120_1099
; %bb.1096:
	v_mov_b32_e32 v120, 0
	v_add_u32_e32 v119, 0xf4, v1
	v_add3_u32 v120, v1, v120, 4
	s_mov_b64 s[12:13], 0
	v_mov_b32_e32 v121, v0
.LBB120_1097:                           ; =>This Inner Loop Header: Depth=1
	buffer_load_dword v122, v120, s[0:3], 0 offen
	ds_read_b32 v123, v119
	v_add_u32_e32 v121, 1, v121
	v_cmp_lt_u32_e32 vcc, 53, v121
	v_add_u32_e32 v119, 4, v119
	v_add_u32_e32 v120, 4, v120
	s_or_b64 s[12:13], vcc, s[12:13]
	s_waitcnt vmcnt(0) lgkmcnt(0)
	v_fmac_f32_e32 v118, v122, v123
	s_andn2_b64 exec, exec, s[12:13]
	s_cbranch_execnz .LBB120_1097
; %bb.1098:
	s_or_b64 exec, exec, s[12:13]
.LBB120_1099:
	s_or_b64 exec, exec, s[10:11]
	v_mov_b32_e32 v119, 0
	ds_read_b32 v119, v119 offset:220
	s_waitcnt lgkmcnt(0)
	v_mul_f32_e32 v118, v118, v119
	buffer_store_dword v118, off, s[0:3], 0 offset:220
.LBB120_1100:
	s_or_b64 exec, exec, s[8:9]
	buffer_load_dword v118, off, s[0:3], 0 offset:224
	v_cmp_ne_u32_e32 vcc, 56, v0
	s_waitcnt vmcnt(0)
	ds_write_b32 v116, v118
	s_waitcnt lgkmcnt(0)
	; wave barrier
	s_waitcnt lgkmcnt(0)
	s_and_saveexec_b64 s[8:9], vcc
	s_cbranch_execz .LBB120_1110
; %bb.1101:
	s_and_b64 vcc, exec, s[4:5]
	s_cbranch_vccnz .LBB120_1103
; %bb.1102:
	buffer_load_dword v117, v117, s[0:3], 0 offen
	ds_read_b32 v118, v116
	s_waitcnt vmcnt(0) lgkmcnt(0)
	v_mul_f32_e32 v117, v117, v118
	s_cbranch_execz .LBB120_1104
	s_branch .LBB120_1105
.LBB120_1103:
                                        ; implicit-def: $vgpr117
.LBB120_1104:
	ds_read_b32 v117, v116
.LBB120_1105:
	s_and_saveexec_b64 s[4:5], s[6:7]
	s_cbranch_execz .LBB120_1109
; %bb.1106:
	v_mov_b32_e32 v118, 0
	v_add_u32_e32 v116, 0xf4, v1
	v_add3_u32 v1, v1, v118, 4
	s_mov_b64 s[6:7], 0
.LBB120_1107:                           ; =>This Inner Loop Header: Depth=1
	buffer_load_dword v118, v1, s[0:3], 0 offen
	ds_read_b32 v119, v116
	v_add_u32_e32 v0, 1, v0
	v_cmp_lt_u32_e32 vcc, 54, v0
	v_add_u32_e32 v116, 4, v116
	v_add_u32_e32 v1, 4, v1
	s_or_b64 s[6:7], vcc, s[6:7]
	s_waitcnt vmcnt(0) lgkmcnt(0)
	v_fmac_f32_e32 v117, v118, v119
	s_andn2_b64 exec, exec, s[6:7]
	s_cbranch_execnz .LBB120_1107
; %bb.1108:
	s_or_b64 exec, exec, s[6:7]
.LBB120_1109:
	s_or_b64 exec, exec, s[4:5]
	v_mov_b32_e32 v0, 0
	ds_read_b32 v0, v0 offset:224
	s_waitcnt lgkmcnt(0)
	v_mul_f32_e32 v0, v117, v0
	buffer_store_dword v0, off, s[0:3], 0 offset:224
.LBB120_1110:
	s_or_b64 exec, exec, s[8:9]
.LBB120_1111:
	buffer_load_dword v0, off, s[0:3], 0
	buffer_load_dword v1, off, s[0:3], 0 offset:4
	buffer_load_dword v116, off, s[0:3], 0 offset:8
	;; [unrolled: 1-line block ×47, first 2 shown]
	s_waitcnt vmcnt(47)
	global_store_dword v[112:113], v0, off
	s_waitcnt vmcnt(47)
	global_store_dword v[114:115], v1, off
	buffer_load_dword v0, off, s[0:3], 0 offset:192
	s_nop 0
	buffer_load_dword v1, off, s[0:3], 0 offset:196
	buffer_load_dword v112, off, s[0:3], 0 offset:200
	;; [unrolled: 1-line block ×7, first 2 shown]
	s_waitcnt vmcnt(55)
	global_store_dword v[2:3], v116, off
	buffer_load_dword v2, off, s[0:3], 0 offset:224
	s_waitcnt vmcnt(56)
	global_store_dword v[4:5], v117, off
	s_waitcnt vmcnt(56)
	global_store_dword v[6:7], v118, off
	;; [unrolled: 2-line block ×54, first 2 shown]
.LBB120_1112:
	s_endpgm
	.section	.rodata,"a",@progbits
	.p2align	6, 0x0
	.amdhsa_kernel _ZN9rocsolver6v33100L18trti2_kernel_smallILi57EfPKPfEEv13rocblas_fill_17rocblas_diagonal_T1_iil
		.amdhsa_group_segment_fixed_size 468
		.amdhsa_private_segment_fixed_size 240
		.amdhsa_kernarg_size 32
		.amdhsa_user_sgpr_count 8
		.amdhsa_user_sgpr_private_segment_buffer 1
		.amdhsa_user_sgpr_dispatch_ptr 0
		.amdhsa_user_sgpr_queue_ptr 0
		.amdhsa_user_sgpr_kernarg_segment_ptr 1
		.amdhsa_user_sgpr_dispatch_id 0
		.amdhsa_user_sgpr_flat_scratch_init 1
		.amdhsa_user_sgpr_kernarg_preload_length 0
		.amdhsa_user_sgpr_kernarg_preload_offset 0
		.amdhsa_user_sgpr_private_segment_size 0
		.amdhsa_uses_dynamic_stack 0
		.amdhsa_system_sgpr_private_segment_wavefront_offset 1
		.amdhsa_system_sgpr_workgroup_id_x 1
		.amdhsa_system_sgpr_workgroup_id_y 0
		.amdhsa_system_sgpr_workgroup_id_z 0
		.amdhsa_system_sgpr_workgroup_info 0
		.amdhsa_system_vgpr_workitem_id 0
		.amdhsa_next_free_vgpr 164
		.amdhsa_next_free_sgpr 16
		.amdhsa_accum_offset 164
		.amdhsa_reserve_vcc 1
		.amdhsa_reserve_flat_scratch 0
		.amdhsa_float_round_mode_32 0
		.amdhsa_float_round_mode_16_64 0
		.amdhsa_float_denorm_mode_32 3
		.amdhsa_float_denorm_mode_16_64 3
		.amdhsa_dx10_clamp 1
		.amdhsa_ieee_mode 1
		.amdhsa_fp16_overflow 0
		.amdhsa_tg_split 0
		.amdhsa_exception_fp_ieee_invalid_op 0
		.amdhsa_exception_fp_denorm_src 0
		.amdhsa_exception_fp_ieee_div_zero 0
		.amdhsa_exception_fp_ieee_overflow 0
		.amdhsa_exception_fp_ieee_underflow 0
		.amdhsa_exception_fp_ieee_inexact 0
		.amdhsa_exception_int_div_zero 0
	.end_amdhsa_kernel
	.section	.text._ZN9rocsolver6v33100L18trti2_kernel_smallILi57EfPKPfEEv13rocblas_fill_17rocblas_diagonal_T1_iil,"axG",@progbits,_ZN9rocsolver6v33100L18trti2_kernel_smallILi57EfPKPfEEv13rocblas_fill_17rocblas_diagonal_T1_iil,comdat
.Lfunc_end120:
	.size	_ZN9rocsolver6v33100L18trti2_kernel_smallILi57EfPKPfEEv13rocblas_fill_17rocblas_diagonal_T1_iil, .Lfunc_end120-_ZN9rocsolver6v33100L18trti2_kernel_smallILi57EfPKPfEEv13rocblas_fill_17rocblas_diagonal_T1_iil
                                        ; -- End function
	.section	.AMDGPU.csdata,"",@progbits
; Kernel info:
; codeLenInByte = 27980
; NumSgprs: 20
; NumVgprs: 164
; NumAgprs: 0
; TotalNumVgprs: 164
; ScratchSize: 240
; MemoryBound: 0
; FloatMode: 240
; IeeeMode: 1
; LDSByteSize: 468 bytes/workgroup (compile time only)
; SGPRBlocks: 2
; VGPRBlocks: 20
; NumSGPRsForWavesPerEU: 20
; NumVGPRsForWavesPerEU: 164
; AccumOffset: 164
; Occupancy: 3
; WaveLimiterHint : 1
; COMPUTE_PGM_RSRC2:SCRATCH_EN: 1
; COMPUTE_PGM_RSRC2:USER_SGPR: 8
; COMPUTE_PGM_RSRC2:TRAP_HANDLER: 0
; COMPUTE_PGM_RSRC2:TGID_X_EN: 1
; COMPUTE_PGM_RSRC2:TGID_Y_EN: 0
; COMPUTE_PGM_RSRC2:TGID_Z_EN: 0
; COMPUTE_PGM_RSRC2:TIDIG_COMP_CNT: 0
; COMPUTE_PGM_RSRC3_GFX90A:ACCUM_OFFSET: 40
; COMPUTE_PGM_RSRC3_GFX90A:TG_SPLIT: 0
	.section	.text._ZN9rocsolver6v33100L18trti2_kernel_smallILi58EfPKPfEEv13rocblas_fill_17rocblas_diagonal_T1_iil,"axG",@progbits,_ZN9rocsolver6v33100L18trti2_kernel_smallILi58EfPKPfEEv13rocblas_fill_17rocblas_diagonal_T1_iil,comdat
	.globl	_ZN9rocsolver6v33100L18trti2_kernel_smallILi58EfPKPfEEv13rocblas_fill_17rocblas_diagonal_T1_iil ; -- Begin function _ZN9rocsolver6v33100L18trti2_kernel_smallILi58EfPKPfEEv13rocblas_fill_17rocblas_diagonal_T1_iil
	.p2align	8
	.type	_ZN9rocsolver6v33100L18trti2_kernel_smallILi58EfPKPfEEv13rocblas_fill_17rocblas_diagonal_T1_iil,@function
_ZN9rocsolver6v33100L18trti2_kernel_smallILi58EfPKPfEEv13rocblas_fill_17rocblas_diagonal_T1_iil: ; @_ZN9rocsolver6v33100L18trti2_kernel_smallILi58EfPKPfEEv13rocblas_fill_17rocblas_diagonal_T1_iil
; %bb.0:
	s_add_u32 s0, s0, s9
	s_addc_u32 s1, s1, 0
	v_cmp_gt_u32_e32 vcc, 58, v0
	s_and_saveexec_b64 s[6:7], vcc
	s_cbranch_execz .LBB121_1132
; %bb.1:
	s_load_dwordx2 s[6:7], s[4:5], 0x10
	s_load_dwordx4 s[12:15], s[4:5], 0x0
	s_ashr_i32 s9, s8, 31
	s_lshl_b64 s[4:5], s[8:9], 3
	s_waitcnt lgkmcnt(0)
	s_ashr_i32 s9, s6, 31
	s_add_u32 s4, s14, s4
	s_addc_u32 s5, s15, s5
	s_load_dwordx2 s[4:5], s[4:5], 0x0
	s_mov_b32 s8, s6
	s_lshl_b64 s[8:9], s[8:9], 2
	s_waitcnt lgkmcnt(0)
	s_add_u32 s4, s4, s8
	s_addc_u32 s5, s5, s9
	s_add_i32 s6, s7, s7
	v_add_u32_e32 v2, s6, v0
	v_ashrrev_i32_e32 v3, 31, v2
	v_lshlrev_b64 v[4:5], 2, v[2:3]
	v_add_u32_e32 v6, s7, v2
	v_mov_b32_e32 v1, s5
	v_add_co_u32_e32 v4, vcc, s4, v4
	v_ashrrev_i32_e32 v7, 31, v6
	v_addc_co_u32_e32 v5, vcc, v1, v5, vcc
	v_lshlrev_b64 v[2:3], 2, v[6:7]
	v_add_u32_e32 v8, s7, v6
	v_add_co_u32_e32 v2, vcc, s4, v2
	v_ashrrev_i32_e32 v9, 31, v8
	v_addc_co_u32_e32 v3, vcc, v1, v3, vcc
	v_lshlrev_b64 v[6:7], 2, v[8:9]
	v_add_u32_e32 v10, s7, v8
	;; [unrolled: 5-line block ×46, first 2 shown]
	v_add_co_u32_e32 v94, vcc, s4, v94
	v_ashrrev_i32_e32 v99, 31, v98
	v_addc_co_u32_e32 v95, vcc, v1, v95, vcc
	v_lshlrev_b64 v[96:97], 2, v[98:99]
	v_add_co_u32_e32 v96, vcc, s4, v96
	v_addc_co_u32_e32 v97, vcc, v1, v97, vcc
	v_lshlrev_b32_e32 v1, 2, v0
	v_add_u32_e32 v100, s7, v98
	v_mov_b32_e32 v98, s5
	v_add_co_u32_e32 v110, vcc, s4, v1
	s_ashr_i32 s9, s7, 31
	s_mov_b32 s8, s7
	v_addc_co_u32_e32 v111, vcc, 0, v98, vcc
	s_lshl_b64 s[8:9], s[8:9], 2
	v_mov_b32_e32 v98, s9
	v_add_co_u32_e32 v114, vcc, s8, v110
	v_addc_co_u32_e32 v115, vcc, v111, v98, vcc
	global_load_dword v118, v1, s[4:5]
	global_load_dword v119, v[114:115], off
	global_load_dword v120, v[4:5], off
	;; [unrolled: 1-line block ×16, first 2 shown]
	v_ashrrev_i32_e32 v101, 31, v100
	v_lshlrev_b64 v[98:99], 2, v[100:101]
	v_mov_b32_e32 v102, s5
	v_add_co_u32_e32 v98, vcc, s4, v98
	v_addc_co_u32_e32 v99, vcc, v102, v99, vcc
	v_add_u32_e32 v102, s7, v100
	v_ashrrev_i32_e32 v103, 31, v102
	v_lshlrev_b64 v[100:101], 2, v[102:103]
	v_mov_b32_e32 v104, s5
	v_add_co_u32_e32 v100, vcc, s4, v100
	v_addc_co_u32_e32 v101, vcc, v104, v101, vcc
	v_add_u32_e32 v104, s7, v102
	;; [unrolled: 6-line block ×6, first 2 shown]
	v_ashrrev_i32_e32 v117, 31, v116
	v_lshlrev_b64 v[112:113], 2, v[116:117]
	v_add_u32_e32 v116, s7, v116
	v_mov_b32_e32 v135, s5
	v_add_co_u32_e32 v112, vcc, s4, v112
	v_ashrrev_i32_e32 v117, 31, v116
	v_addc_co_u32_e32 v113, vcc, v135, v113, vcc
	v_lshlrev_b64 v[116:117], 2, v[116:117]
	v_add_co_u32_e32 v116, vcc, s4, v116
	v_addc_co_u32_e32 v117, vcc, v135, v117, vcc
	global_load_dword v135, v[116:117], off
	s_waitcnt vmcnt(17)
	buffer_store_dword v118, off, s[0:3], 0
	s_waitcnt vmcnt(17)
	buffer_store_dword v119, off, s[0:3], 0 offset:4
	s_waitcnt vmcnt(17)
	buffer_store_dword v120, off, s[0:3], 0 offset:8
	;; [unrolled: 2-line block ×8, first 2 shown]
	global_load_dword v118, v[32:33], off
	global_load_dword v119, v[34:35], off
	;; [unrolled: 1-line block ×32, first 2 shown]
	s_waitcnt vmcnt(49)
	buffer_store_dword v127, off, s[0:3], 0 offset:36
	s_waitcnt vmcnt(49)
	buffer_store_dword v128, off, s[0:3], 0 offset:44
	global_load_dword v127, v[96:97], off
	s_nop 0
	global_load_dword v128, v[112:113], off
	global_load_dword v159, v[106:107], off
	;; [unrolled: 1-line block ×6, first 2 shown]
	s_cmpk_lg_i32 s13, 0x84
	s_waitcnt vmcnt(51)
	buffer_store_dword v134, off, s[0:3], 0 offset:40
	global_load_dword v134, v[108:109], off
	s_nop 0
	buffer_store_dword v129, off, s[0:3], 0 offset:48
	buffer_store_dword v130, off, s[0:3], 0 offset:52
	;; [unrolled: 1-line block ×5, first 2 shown]
	s_waitcnt vmcnt(47)
	buffer_store_dword v118, off, s[0:3], 0 offset:68
	s_waitcnt vmcnt(47)
	buffer_store_dword v119, off, s[0:3], 0 offset:72
	s_waitcnt vmcnt(47)
	buffer_store_dword v120, off, s[0:3], 0 offset:76
	s_waitcnt vmcnt(44)
	buffer_store_dword v124, off, s[0:3], 0 offset:84
	s_waitcnt vmcnt(44)
	buffer_store_dword v125, off, s[0:3], 0 offset:80
	buffer_store_dword v122, off, s[0:3], 0 offset:92
	buffer_store_dword v123, off, s[0:3], 0 offset:88
	s_waitcnt vmcnt(46)
	buffer_store_dword v126, off, s[0:3], 0 offset:100
	buffer_store_dword v121, off, s[0:3], 0 offset:96
	s_waitcnt vmcnt(42)
	buffer_store_dword v141, off, s[0:3], 0 offset:108
	s_waitcnt vmcnt(42)
	buffer_store_dword v142, off, s[0:3], 0 offset:104
	buffer_store_dword v139, off, s[0:3], 0 offset:116
	buffer_store_dword v140, off, s[0:3], 0 offset:112
	buffer_store_dword v137, off, s[0:3], 0 offset:124
	buffer_store_dword v138, off, s[0:3], 0 offset:120
	s_waitcnt vmcnt(46)
	buffer_store_dword v143, off, s[0:3], 0 offset:132
	buffer_store_dword v136, off, s[0:3], 0 offset:128
	s_waitcnt vmcnt(42)
	buffer_store_dword v149, off, s[0:3], 0 offset:140
	s_waitcnt vmcnt(42)
	buffer_store_dword v150, off, s[0:3], 0 offset:136
	buffer_store_dword v147, off, s[0:3], 0 offset:148
	buffer_store_dword v148, off, s[0:3], 0 offset:144
	;; [unrolled: 11-line block ×3, first 2 shown]
	buffer_store_dword v153, off, s[0:3], 0 offset:188
	buffer_store_dword v154, off, s[0:3], 0 offset:184
	s_waitcnt vmcnt(44)
	buffer_store_dword v127, off, s[0:3], 0 offset:196
	buffer_store_dword v152, off, s[0:3], 0 offset:192
	s_waitcnt vmcnt(42)
	buffer_store_dword v161, off, s[0:3], 0 offset:204
	s_waitcnt vmcnt(42)
	buffer_store_dword v162, off, s[0:3], 0 offset:200
	s_waitcnt vmcnt(42)
	buffer_store_dword v163, off, s[0:3], 0 offset:212
	buffer_store_dword v160, off, s[0:3], 0 offset:208
	s_waitcnt vmcnt(42)
	buffer_store_dword v134, off, s[0:3], 0 offset:220
	buffer_store_dword v159, off, s[0:3], 0 offset:216
	;; [unrolled: 1-line block ×4, first 2 shown]
	s_cselect_b64 s[8:9], -1, 0
	s_cmpk_eq_i32 s13, 0x84
	v_mov_b32_e32 v146, 0
	v_mov_b32_e32 v118, -1.0
	s_cbranch_scc1 .LBB121_3
; %bb.2:
	v_lshl_add_u32 v118, v0, 2, v146
	buffer_load_dword v119, v118, s[0:3], 0 offen
	s_waitcnt vmcnt(0)
	v_div_scale_f32 v120, s[4:5], v119, v119, 1.0
	v_rcp_f32_e32 v121, v120
	v_div_scale_f32 v122, vcc, 1.0, v119, 1.0
	v_fma_f32 v123, -v120, v121, 1.0
	v_fmac_f32_e32 v121, v123, v121
	v_mul_f32_e32 v123, v122, v121
	v_fma_f32 v124, -v120, v123, v122
	v_fmac_f32_e32 v123, v124, v121
	v_fma_f32 v120, -v120, v123, v122
	v_div_fmas_f32 v120, v120, v121, v123
	v_div_fixup_f32 v119, v120, v119, 1.0
	buffer_store_dword v119, v118, s[0:3], 0 offen
	v_xor_b32_e32 v118, 0x80000000, v119
.LBB121_3:
	ds_write_b32 v1, v118
	s_cmpk_eq_i32 s12, 0x79
	v_add_u32_e32 v118, 0xf0, v1
	v_add_u32_e32 v119, 0, v1
	s_mov_b64 s[4:5], -1
	s_cbranch_scc1 .LBB121_567
; %bb.4:
	buffer_load_dword v120, off, s[0:3], 0 offset:224
	v_cmp_eq_u32_e64 s[4:5], 57, v0
	s_waitcnt vmcnt(0)
	ds_write_b32 v118, v120
	s_waitcnt lgkmcnt(0)
	; wave barrier
	s_waitcnt lgkmcnt(0)
	s_and_saveexec_b64 s[6:7], s[4:5]
	s_cbranch_execz .LBB121_10
; %bb.5:
	s_and_b64 vcc, exec, s[8:9]
	s_cbranch_vccz .LBB121_7
; %bb.6:
	buffer_load_dword v120, v119, s[0:3], 0 offen
	ds_read_b32 v121, v118
	s_waitcnt vmcnt(0) lgkmcnt(0)
	v_mul_f32_e32 v120, v120, v121
	s_cbranch_execz .LBB121_8
	s_branch .LBB121_9
.LBB121_7:
                                        ; implicit-def: $vgpr120
.LBB121_8:
	ds_read_b32 v120, v118
.LBB121_9:
	v_mov_b32_e32 v121, 0
	ds_read_b32 v121, v121 offset:224
	s_waitcnt lgkmcnt(0)
	v_mul_f32_e32 v120, v120, v121
	buffer_store_dword v120, off, s[0:3], 0 offset:224
.LBB121_10:
	s_or_b64 exec, exec, s[6:7]
	buffer_load_dword v147, off, s[0:3], 0 offset:220
	v_or_b32_e32 v120, 8, v146
	v_add_u32_e32 v121, 16, v146
	v_add_u32_e32 v122, 24, v146
	;; [unrolled: 1-line block ×26, first 2 shown]
	v_cmp_lt_u32_e64 s[6:7], 55, v0
	s_waitcnt vmcnt(0)
	ds_write_b32 v118, v147
	s_waitcnt lgkmcnt(0)
	; wave barrier
	s_waitcnt lgkmcnt(0)
	s_and_saveexec_b64 s[10:11], s[6:7]
	s_cbranch_execz .LBB121_16
; %bb.11:
	s_andn2_b64 vcc, exec, s[8:9]
	s_cbranch_vccnz .LBB121_13
; %bb.12:
	buffer_load_dword v147, v119, s[0:3], 0 offen
	ds_read_b32 v148, v118
	s_waitcnt vmcnt(0) lgkmcnt(0)
	v_mul_f32_e32 v147, v147, v148
	s_cbranch_execz .LBB121_14
	s_branch .LBB121_15
.LBB121_13:
                                        ; implicit-def: $vgpr147
.LBB121_14:
	ds_read_b32 v147, v118
.LBB121_15:
	buffer_load_dword v150, off, s[0:3], 0 offset:224
	v_mov_b32_e32 v148, 0
	ds_read2_b32 v[148:149], v148 offset0:55 offset1:116
	s_waitcnt vmcnt(0) lgkmcnt(0)
	v_fma_f32 v149, v150, v149, v147
	v_cndmask_b32_e64 v147, v147, v149, s[4:5]
	v_mul_f32_e32 v147, v147, v148
	buffer_store_dword v147, off, s[0:3], 0 offset:220
.LBB121_16:
	s_or_b64 exec, exec, s[10:11]
	buffer_load_dword v147, off, s[0:3], 0 offset:216
	v_cmp_lt_u32_e64 s[4:5], 54, v0
	s_waitcnt vmcnt(0)
	ds_write_b32 v118, v147
	s_waitcnt lgkmcnt(0)
	; wave barrier
	s_waitcnt lgkmcnt(0)
	s_and_saveexec_b64 s[10:11], s[4:5]
	s_cbranch_execz .LBB121_26
; %bb.17:
	s_andn2_b64 vcc, exec, s[8:9]
	s_cbranch_vccnz .LBB121_19
; %bb.18:
	buffer_load_dword v147, v119, s[0:3], 0 offen
	ds_read_b32 v148, v118
	s_waitcnt vmcnt(0) lgkmcnt(0)
	v_mul_f32_e32 v147, v147, v148
	s_cbranch_execz .LBB121_20
	s_branch .LBB121_21
.LBB121_19:
                                        ; implicit-def: $vgpr147
.LBB121_20:
	ds_read_b32 v147, v118
.LBB121_21:
	s_and_saveexec_b64 s[12:13], s[6:7]
	s_cbranch_execz .LBB121_25
; %bb.22:
	v_mov_b32_e32 v148, 0
	v_add_u32_e32 v148, 0xdc, v148
	v_subrev_u32_e32 v149, 55, v0
	s_movk_i32 s14, 0x1cc
	s_mov_b64 s[6:7], 0
.LBB121_23:                             ; =>This Inner Loop Header: Depth=1
	buffer_load_dword v150, v148, s[0:3], 0 offen
	v_mov_b32_e32 v151, s14
	ds_read_b32 v151, v151
	v_add_u32_e32 v149, -1, v149
	s_add_i32 s14, s14, 4
	v_cmp_eq_u32_e32 vcc, 0, v149
	v_add_u32_e32 v148, 4, v148
	s_or_b64 s[6:7], vcc, s[6:7]
	s_waitcnt vmcnt(0) lgkmcnt(0)
	v_fmac_f32_e32 v147, v150, v151
	s_andn2_b64 exec, exec, s[6:7]
	s_cbranch_execnz .LBB121_23
; %bb.24:
	s_or_b64 exec, exec, s[6:7]
.LBB121_25:
	s_or_b64 exec, exec, s[12:13]
	v_mov_b32_e32 v148, 0
	ds_read_b32 v148, v148 offset:216
	s_waitcnt lgkmcnt(0)
	v_mul_f32_e32 v147, v147, v148
	buffer_store_dword v147, off, s[0:3], 0 offset:216
.LBB121_26:
	s_or_b64 exec, exec, s[10:11]
	buffer_load_dword v147, off, s[0:3], 0 offset:212
	v_cmp_lt_u32_e64 s[6:7], 53, v0
	s_waitcnt vmcnt(0)
	ds_write_b32 v118, v147
	s_waitcnt lgkmcnt(0)
	; wave barrier
	s_waitcnt lgkmcnt(0)
	s_and_saveexec_b64 s[10:11], s[6:7]
	s_cbranch_execz .LBB121_36
; %bb.27:
	s_andn2_b64 vcc, exec, s[8:9]
	s_cbranch_vccnz .LBB121_29
; %bb.28:
	buffer_load_dword v147, v119, s[0:3], 0 offen
	ds_read_b32 v148, v118
	s_waitcnt vmcnt(0) lgkmcnt(0)
	v_mul_f32_e32 v147, v147, v148
	s_cbranch_execz .LBB121_30
	s_branch .LBB121_31
.LBB121_29:
                                        ; implicit-def: $vgpr147
.LBB121_30:
	ds_read_b32 v147, v118
.LBB121_31:
	s_and_saveexec_b64 s[12:13], s[4:5]
	s_cbranch_execz .LBB121_35
; %bb.32:
	v_subrev_u32_e32 v148, 54, v0
	s_movk_i32 s14, 0x1c8
	s_mov_b64 s[4:5], 0
.LBB121_33:                             ; =>This Inner Loop Header: Depth=1
	buffer_load_dword v149, v146, s[0:3], 0 offen
	v_mov_b32_e32 v150, s14
	ds_read_b32 v150, v150
	v_add_u32_e32 v148, -1, v148
	s_add_i32 s14, s14, 4
	v_cmp_eq_u32_e32 vcc, 0, v148
	v_add_u32_e32 v146, 4, v146
	s_or_b64 s[4:5], vcc, s[4:5]
	s_waitcnt vmcnt(0) lgkmcnt(0)
	v_fmac_f32_e32 v147, v149, v150
	s_andn2_b64 exec, exec, s[4:5]
	s_cbranch_execnz .LBB121_33
; %bb.34:
	s_or_b64 exec, exec, s[4:5]
.LBB121_35:
	s_or_b64 exec, exec, s[12:13]
	v_mov_b32_e32 v146, 0
	ds_read_b32 v146, v146 offset:212
	s_waitcnt lgkmcnt(0)
	v_mul_f32_e32 v146, v147, v146
	buffer_store_dword v146, off, s[0:3], 0 offset:212
.LBB121_36:
	s_or_b64 exec, exec, s[10:11]
	buffer_load_dword v146, off, s[0:3], 0 offset:208
	v_cmp_lt_u32_e64 s[4:5], 52, v0
	s_waitcnt vmcnt(0)
	ds_write_b32 v118, v146
	s_waitcnt lgkmcnt(0)
	; wave barrier
	s_waitcnt lgkmcnt(0)
	s_and_saveexec_b64 s[10:11], s[4:5]
	s_cbranch_execz .LBB121_46
; %bb.37:
	s_andn2_b64 vcc, exec, s[8:9]
	s_cbranch_vccnz .LBB121_39
; %bb.38:
	buffer_load_dword v146, v119, s[0:3], 0 offen
	ds_read_b32 v147, v118
	s_waitcnt vmcnt(0) lgkmcnt(0)
	v_mul_f32_e32 v146, v146, v147
	s_cbranch_execz .LBB121_40
	s_branch .LBB121_41
.LBB121_39:
                                        ; implicit-def: $vgpr146
.LBB121_40:
	ds_read_b32 v146, v118
.LBB121_41:
	s_and_saveexec_b64 s[12:13], s[6:7]
	s_cbranch_execz .LBB121_45
; %bb.42:
	v_mov_b32_e32 v147, 0
	v_add_u32_e32 v147, 0xd4, v147
	v_subrev_u32_e32 v148, 53, v0
	s_movk_i32 s14, 0x1c4
	s_mov_b64 s[6:7], 0
.LBB121_43:                             ; =>This Inner Loop Header: Depth=1
	buffer_load_dword v149, v147, s[0:3], 0 offen
	v_mov_b32_e32 v150, s14
	ds_read_b32 v150, v150
	v_add_u32_e32 v148, -1, v148
	s_add_i32 s14, s14, 4
	v_cmp_eq_u32_e32 vcc, 0, v148
	v_add_u32_e32 v147, 4, v147
	s_or_b64 s[6:7], vcc, s[6:7]
	s_waitcnt vmcnt(0) lgkmcnt(0)
	v_fmac_f32_e32 v146, v149, v150
	s_andn2_b64 exec, exec, s[6:7]
	s_cbranch_execnz .LBB121_43
; %bb.44:
	s_or_b64 exec, exec, s[6:7]
.LBB121_45:
	s_or_b64 exec, exec, s[12:13]
	v_mov_b32_e32 v147, 0
	ds_read_b32 v147, v147 offset:208
	s_waitcnt lgkmcnt(0)
	v_mul_f32_e32 v146, v146, v147
	buffer_store_dword v146, off, s[0:3], 0 offset:208
.LBB121_46:
	s_or_b64 exec, exec, s[10:11]
	buffer_load_dword v146, off, s[0:3], 0 offset:204
	v_cmp_lt_u32_e64 s[6:7], 51, v0
	s_waitcnt vmcnt(0)
	ds_write_b32 v118, v146
	s_waitcnt lgkmcnt(0)
	; wave barrier
	s_waitcnt lgkmcnt(0)
	s_and_saveexec_b64 s[10:11], s[6:7]
	s_cbranch_execz .LBB121_56
; %bb.47:
	s_andn2_b64 vcc, exec, s[8:9]
	s_cbranch_vccnz .LBB121_49
; %bb.48:
	buffer_load_dword v146, v119, s[0:3], 0 offen
	ds_read_b32 v147, v118
	s_waitcnt vmcnt(0) lgkmcnt(0)
	v_mul_f32_e32 v146, v146, v147
	s_cbranch_execz .LBB121_50
	s_branch .LBB121_51
.LBB121_49:
                                        ; implicit-def: $vgpr146
.LBB121_50:
	ds_read_b32 v146, v118
.LBB121_51:
	s_and_saveexec_b64 s[12:13], s[4:5]
	s_cbranch_execz .LBB121_55
; %bb.52:
	v_subrev_u32_e32 v147, 52, v0
	s_movk_i32 s14, 0x1c0
	s_mov_b64 s[4:5], 0
.LBB121_53:                             ; =>This Inner Loop Header: Depth=1
	buffer_load_dword v148, v145, s[0:3], 0 offen
	v_mov_b32_e32 v149, s14
	ds_read_b32 v149, v149
	v_add_u32_e32 v147, -1, v147
	s_add_i32 s14, s14, 4
	v_cmp_eq_u32_e32 vcc, 0, v147
	v_add_u32_e32 v145, 4, v145
	s_or_b64 s[4:5], vcc, s[4:5]
	s_waitcnt vmcnt(0) lgkmcnt(0)
	v_fmac_f32_e32 v146, v148, v149
	s_andn2_b64 exec, exec, s[4:5]
	s_cbranch_execnz .LBB121_53
; %bb.54:
	s_or_b64 exec, exec, s[4:5]
.LBB121_55:
	s_or_b64 exec, exec, s[12:13]
	v_mov_b32_e32 v145, 0
	ds_read_b32 v145, v145 offset:204
	s_waitcnt lgkmcnt(0)
	v_mul_f32_e32 v145, v146, v145
	buffer_store_dword v145, off, s[0:3], 0 offset:204
.LBB121_56:
	s_or_b64 exec, exec, s[10:11]
	buffer_load_dword v145, off, s[0:3], 0 offset:200
	v_cmp_lt_u32_e64 s[4:5], 50, v0
	s_waitcnt vmcnt(0)
	ds_write_b32 v118, v145
	s_waitcnt lgkmcnt(0)
	; wave barrier
	s_waitcnt lgkmcnt(0)
	s_and_saveexec_b64 s[10:11], s[4:5]
	s_cbranch_execz .LBB121_66
; %bb.57:
	s_andn2_b64 vcc, exec, s[8:9]
	s_cbranch_vccnz .LBB121_59
; %bb.58:
	buffer_load_dword v145, v119, s[0:3], 0 offen
	ds_read_b32 v146, v118
	s_waitcnt vmcnt(0) lgkmcnt(0)
	v_mul_f32_e32 v145, v145, v146
	s_cbranch_execz .LBB121_60
	s_branch .LBB121_61
.LBB121_59:
                                        ; implicit-def: $vgpr145
.LBB121_60:
	ds_read_b32 v145, v118
.LBB121_61:
	s_and_saveexec_b64 s[12:13], s[6:7]
	s_cbranch_execz .LBB121_65
; %bb.62:
	v_mov_b32_e32 v146, 0
	v_add_u32_e32 v146, 0xcc, v146
	v_subrev_u32_e32 v147, 51, v0
	s_movk_i32 s14, 0x1bc
	s_mov_b64 s[6:7], 0
.LBB121_63:                             ; =>This Inner Loop Header: Depth=1
	buffer_load_dword v148, v146, s[0:3], 0 offen
	v_mov_b32_e32 v149, s14
	ds_read_b32 v149, v149
	v_add_u32_e32 v147, -1, v147
	s_add_i32 s14, s14, 4
	v_cmp_eq_u32_e32 vcc, 0, v147
	v_add_u32_e32 v146, 4, v146
	s_or_b64 s[6:7], vcc, s[6:7]
	s_waitcnt vmcnt(0) lgkmcnt(0)
	v_fmac_f32_e32 v145, v148, v149
	s_andn2_b64 exec, exec, s[6:7]
	s_cbranch_execnz .LBB121_63
; %bb.64:
	s_or_b64 exec, exec, s[6:7]
.LBB121_65:
	s_or_b64 exec, exec, s[12:13]
	v_mov_b32_e32 v146, 0
	ds_read_b32 v146, v146 offset:200
	s_waitcnt lgkmcnt(0)
	v_mul_f32_e32 v145, v145, v146
	buffer_store_dword v145, off, s[0:3], 0 offset:200
.LBB121_66:
	s_or_b64 exec, exec, s[10:11]
	buffer_load_dword v145, off, s[0:3], 0 offset:196
	v_cmp_lt_u32_e64 s[6:7], 49, v0
	s_waitcnt vmcnt(0)
	ds_write_b32 v118, v145
	s_waitcnt lgkmcnt(0)
	; wave barrier
	s_waitcnt lgkmcnt(0)
	s_and_saveexec_b64 s[10:11], s[6:7]
	s_cbranch_execz .LBB121_76
; %bb.67:
	s_andn2_b64 vcc, exec, s[8:9]
	s_cbranch_vccnz .LBB121_69
; %bb.68:
	buffer_load_dword v145, v119, s[0:3], 0 offen
	ds_read_b32 v146, v118
	s_waitcnt vmcnt(0) lgkmcnt(0)
	v_mul_f32_e32 v145, v145, v146
	s_cbranch_execz .LBB121_70
	s_branch .LBB121_71
.LBB121_69:
                                        ; implicit-def: $vgpr145
.LBB121_70:
	ds_read_b32 v145, v118
.LBB121_71:
	s_and_saveexec_b64 s[12:13], s[4:5]
	s_cbranch_execz .LBB121_75
; %bb.72:
	v_subrev_u32_e32 v146, 50, v0
	s_movk_i32 s14, 0x1b8
	s_mov_b64 s[4:5], 0
.LBB121_73:                             ; =>This Inner Loop Header: Depth=1
	buffer_load_dword v147, v144, s[0:3], 0 offen
	v_mov_b32_e32 v148, s14
	ds_read_b32 v148, v148
	v_add_u32_e32 v146, -1, v146
	s_add_i32 s14, s14, 4
	v_cmp_eq_u32_e32 vcc, 0, v146
	v_add_u32_e32 v144, 4, v144
	s_or_b64 s[4:5], vcc, s[4:5]
	s_waitcnt vmcnt(0) lgkmcnt(0)
	v_fmac_f32_e32 v145, v147, v148
	s_andn2_b64 exec, exec, s[4:5]
	s_cbranch_execnz .LBB121_73
; %bb.74:
	s_or_b64 exec, exec, s[4:5]
.LBB121_75:
	s_or_b64 exec, exec, s[12:13]
	v_mov_b32_e32 v144, 0
	ds_read_b32 v144, v144 offset:196
	s_waitcnt lgkmcnt(0)
	v_mul_f32_e32 v144, v145, v144
	buffer_store_dword v144, off, s[0:3], 0 offset:196
.LBB121_76:
	s_or_b64 exec, exec, s[10:11]
	buffer_load_dword v144, off, s[0:3], 0 offset:192
	v_cmp_lt_u32_e64 s[4:5], 48, v0
	s_waitcnt vmcnt(0)
	ds_write_b32 v118, v144
	s_waitcnt lgkmcnt(0)
	; wave barrier
	s_waitcnt lgkmcnt(0)
	s_and_saveexec_b64 s[10:11], s[4:5]
	s_cbranch_execz .LBB121_86
; %bb.77:
	s_andn2_b64 vcc, exec, s[8:9]
	s_cbranch_vccnz .LBB121_79
; %bb.78:
	buffer_load_dword v144, v119, s[0:3], 0 offen
	ds_read_b32 v145, v118
	s_waitcnt vmcnt(0) lgkmcnt(0)
	v_mul_f32_e32 v144, v144, v145
	s_cbranch_execz .LBB121_80
	s_branch .LBB121_81
.LBB121_79:
                                        ; implicit-def: $vgpr144
.LBB121_80:
	ds_read_b32 v144, v118
.LBB121_81:
	s_and_saveexec_b64 s[12:13], s[6:7]
	s_cbranch_execz .LBB121_85
; %bb.82:
	v_mov_b32_e32 v145, 0
	v_add_u32_e32 v145, 0xc4, v145
	v_subrev_u32_e32 v146, 49, v0
	s_movk_i32 s14, 0x1b4
	s_mov_b64 s[6:7], 0
.LBB121_83:                             ; =>This Inner Loop Header: Depth=1
	buffer_load_dword v147, v145, s[0:3], 0 offen
	v_mov_b32_e32 v148, s14
	ds_read_b32 v148, v148
	v_add_u32_e32 v146, -1, v146
	s_add_i32 s14, s14, 4
	v_cmp_eq_u32_e32 vcc, 0, v146
	v_add_u32_e32 v145, 4, v145
	s_or_b64 s[6:7], vcc, s[6:7]
	s_waitcnt vmcnt(0) lgkmcnt(0)
	v_fmac_f32_e32 v144, v147, v148
	s_andn2_b64 exec, exec, s[6:7]
	s_cbranch_execnz .LBB121_83
; %bb.84:
	s_or_b64 exec, exec, s[6:7]
.LBB121_85:
	s_or_b64 exec, exec, s[12:13]
	v_mov_b32_e32 v145, 0
	ds_read_b32 v145, v145 offset:192
	s_waitcnt lgkmcnt(0)
	v_mul_f32_e32 v144, v144, v145
	buffer_store_dword v144, off, s[0:3], 0 offset:192
.LBB121_86:
	s_or_b64 exec, exec, s[10:11]
	buffer_load_dword v144, off, s[0:3], 0 offset:188
	v_cmp_lt_u32_e64 s[6:7], 47, v0
	s_waitcnt vmcnt(0)
	ds_write_b32 v118, v144
	s_waitcnt lgkmcnt(0)
	; wave barrier
	s_waitcnt lgkmcnt(0)
	s_and_saveexec_b64 s[10:11], s[6:7]
	s_cbranch_execz .LBB121_96
; %bb.87:
	s_andn2_b64 vcc, exec, s[8:9]
	s_cbranch_vccnz .LBB121_89
; %bb.88:
	buffer_load_dword v144, v119, s[0:3], 0 offen
	ds_read_b32 v145, v118
	s_waitcnt vmcnt(0) lgkmcnt(0)
	v_mul_f32_e32 v144, v144, v145
	s_cbranch_execz .LBB121_90
	s_branch .LBB121_91
.LBB121_89:
                                        ; implicit-def: $vgpr144
.LBB121_90:
	ds_read_b32 v144, v118
.LBB121_91:
	s_and_saveexec_b64 s[12:13], s[4:5]
	s_cbranch_execz .LBB121_95
; %bb.92:
	v_subrev_u32_e32 v145, 48, v0
	s_movk_i32 s14, 0x1b0
	s_mov_b64 s[4:5], 0
.LBB121_93:                             ; =>This Inner Loop Header: Depth=1
	buffer_load_dword v146, v143, s[0:3], 0 offen
	v_mov_b32_e32 v147, s14
	ds_read_b32 v147, v147
	v_add_u32_e32 v145, -1, v145
	s_add_i32 s14, s14, 4
	v_cmp_eq_u32_e32 vcc, 0, v145
	v_add_u32_e32 v143, 4, v143
	s_or_b64 s[4:5], vcc, s[4:5]
	s_waitcnt vmcnt(0) lgkmcnt(0)
	v_fmac_f32_e32 v144, v146, v147
	s_andn2_b64 exec, exec, s[4:5]
	s_cbranch_execnz .LBB121_93
; %bb.94:
	s_or_b64 exec, exec, s[4:5]
.LBB121_95:
	s_or_b64 exec, exec, s[12:13]
	v_mov_b32_e32 v143, 0
	ds_read_b32 v143, v143 offset:188
	s_waitcnt lgkmcnt(0)
	v_mul_f32_e32 v143, v144, v143
	buffer_store_dword v143, off, s[0:3], 0 offset:188
.LBB121_96:
	s_or_b64 exec, exec, s[10:11]
	buffer_load_dword v143, off, s[0:3], 0 offset:184
	v_cmp_lt_u32_e64 s[4:5], 46, v0
	s_waitcnt vmcnt(0)
	ds_write_b32 v118, v143
	s_waitcnt lgkmcnt(0)
	; wave barrier
	s_waitcnt lgkmcnt(0)
	s_and_saveexec_b64 s[10:11], s[4:5]
	s_cbranch_execz .LBB121_106
; %bb.97:
	s_andn2_b64 vcc, exec, s[8:9]
	s_cbranch_vccnz .LBB121_99
; %bb.98:
	buffer_load_dword v143, v119, s[0:3], 0 offen
	ds_read_b32 v144, v118
	s_waitcnt vmcnt(0) lgkmcnt(0)
	v_mul_f32_e32 v143, v143, v144
	s_cbranch_execz .LBB121_100
	s_branch .LBB121_101
.LBB121_99:
                                        ; implicit-def: $vgpr143
.LBB121_100:
	ds_read_b32 v143, v118
.LBB121_101:
	s_and_saveexec_b64 s[12:13], s[6:7]
	s_cbranch_execz .LBB121_105
; %bb.102:
	v_mov_b32_e32 v144, 0
	v_add_u32_e32 v144, 0xbc, v144
	v_subrev_u32_e32 v145, 47, v0
	s_movk_i32 s14, 0x1ac
	s_mov_b64 s[6:7], 0
.LBB121_103:                            ; =>This Inner Loop Header: Depth=1
	buffer_load_dword v146, v144, s[0:3], 0 offen
	v_mov_b32_e32 v147, s14
	ds_read_b32 v147, v147
	v_add_u32_e32 v145, -1, v145
	s_add_i32 s14, s14, 4
	v_cmp_eq_u32_e32 vcc, 0, v145
	v_add_u32_e32 v144, 4, v144
	s_or_b64 s[6:7], vcc, s[6:7]
	s_waitcnt vmcnt(0) lgkmcnt(0)
	v_fmac_f32_e32 v143, v146, v147
	s_andn2_b64 exec, exec, s[6:7]
	s_cbranch_execnz .LBB121_103
; %bb.104:
	s_or_b64 exec, exec, s[6:7]
.LBB121_105:
	s_or_b64 exec, exec, s[12:13]
	v_mov_b32_e32 v144, 0
	ds_read_b32 v144, v144 offset:184
	s_waitcnt lgkmcnt(0)
	v_mul_f32_e32 v143, v143, v144
	buffer_store_dword v143, off, s[0:3], 0 offset:184
.LBB121_106:
	s_or_b64 exec, exec, s[10:11]
	buffer_load_dword v143, off, s[0:3], 0 offset:180
	v_cmp_lt_u32_e64 s[6:7], 45, v0
	s_waitcnt vmcnt(0)
	ds_write_b32 v118, v143
	s_waitcnt lgkmcnt(0)
	; wave barrier
	s_waitcnt lgkmcnt(0)
	s_and_saveexec_b64 s[10:11], s[6:7]
	s_cbranch_execz .LBB121_116
; %bb.107:
	s_andn2_b64 vcc, exec, s[8:9]
	s_cbranch_vccnz .LBB121_109
; %bb.108:
	buffer_load_dword v143, v119, s[0:3], 0 offen
	ds_read_b32 v144, v118
	s_waitcnt vmcnt(0) lgkmcnt(0)
	v_mul_f32_e32 v143, v143, v144
	s_cbranch_execz .LBB121_110
	s_branch .LBB121_111
.LBB121_109:
                                        ; implicit-def: $vgpr143
.LBB121_110:
	ds_read_b32 v143, v118
.LBB121_111:
	s_and_saveexec_b64 s[12:13], s[4:5]
	s_cbranch_execz .LBB121_115
; %bb.112:
	v_subrev_u32_e32 v144, 46, v0
	s_movk_i32 s14, 0x1a8
	s_mov_b64 s[4:5], 0
.LBB121_113:                            ; =>This Inner Loop Header: Depth=1
	buffer_load_dword v145, v142, s[0:3], 0 offen
	v_mov_b32_e32 v146, s14
	ds_read_b32 v146, v146
	v_add_u32_e32 v144, -1, v144
	s_add_i32 s14, s14, 4
	v_cmp_eq_u32_e32 vcc, 0, v144
	v_add_u32_e32 v142, 4, v142
	s_or_b64 s[4:5], vcc, s[4:5]
	s_waitcnt vmcnt(0) lgkmcnt(0)
	v_fmac_f32_e32 v143, v145, v146
	s_andn2_b64 exec, exec, s[4:5]
	s_cbranch_execnz .LBB121_113
; %bb.114:
	s_or_b64 exec, exec, s[4:5]
.LBB121_115:
	s_or_b64 exec, exec, s[12:13]
	v_mov_b32_e32 v142, 0
	ds_read_b32 v142, v142 offset:180
	s_waitcnt lgkmcnt(0)
	v_mul_f32_e32 v142, v143, v142
	buffer_store_dword v142, off, s[0:3], 0 offset:180
.LBB121_116:
	s_or_b64 exec, exec, s[10:11]
	buffer_load_dword v142, off, s[0:3], 0 offset:176
	v_cmp_lt_u32_e64 s[4:5], 44, v0
	s_waitcnt vmcnt(0)
	ds_write_b32 v118, v142
	s_waitcnt lgkmcnt(0)
	; wave barrier
	s_waitcnt lgkmcnt(0)
	s_and_saveexec_b64 s[10:11], s[4:5]
	s_cbranch_execz .LBB121_126
; %bb.117:
	s_andn2_b64 vcc, exec, s[8:9]
	s_cbranch_vccnz .LBB121_119
; %bb.118:
	buffer_load_dword v142, v119, s[0:3], 0 offen
	ds_read_b32 v143, v118
	s_waitcnt vmcnt(0) lgkmcnt(0)
	v_mul_f32_e32 v142, v142, v143
	s_cbranch_execz .LBB121_120
	s_branch .LBB121_121
.LBB121_119:
                                        ; implicit-def: $vgpr142
.LBB121_120:
	ds_read_b32 v142, v118
.LBB121_121:
	s_and_saveexec_b64 s[12:13], s[6:7]
	s_cbranch_execz .LBB121_125
; %bb.122:
	v_mov_b32_e32 v143, 0
	v_add_u32_e32 v143, 0xb4, v143
	v_subrev_u32_e32 v144, 45, v0
	s_movk_i32 s14, 0x1a4
	s_mov_b64 s[6:7], 0
.LBB121_123:                            ; =>This Inner Loop Header: Depth=1
	buffer_load_dword v145, v143, s[0:3], 0 offen
	v_mov_b32_e32 v146, s14
	ds_read_b32 v146, v146
	v_add_u32_e32 v144, -1, v144
	s_add_i32 s14, s14, 4
	v_cmp_eq_u32_e32 vcc, 0, v144
	v_add_u32_e32 v143, 4, v143
	s_or_b64 s[6:7], vcc, s[6:7]
	s_waitcnt vmcnt(0) lgkmcnt(0)
	v_fmac_f32_e32 v142, v145, v146
	s_andn2_b64 exec, exec, s[6:7]
	s_cbranch_execnz .LBB121_123
; %bb.124:
	s_or_b64 exec, exec, s[6:7]
.LBB121_125:
	s_or_b64 exec, exec, s[12:13]
	v_mov_b32_e32 v143, 0
	ds_read_b32 v143, v143 offset:176
	s_waitcnt lgkmcnt(0)
	v_mul_f32_e32 v142, v142, v143
	buffer_store_dword v142, off, s[0:3], 0 offset:176
.LBB121_126:
	s_or_b64 exec, exec, s[10:11]
	buffer_load_dword v142, off, s[0:3], 0 offset:172
	v_cmp_lt_u32_e64 s[6:7], 43, v0
	s_waitcnt vmcnt(0)
	ds_write_b32 v118, v142
	s_waitcnt lgkmcnt(0)
	; wave barrier
	s_waitcnt lgkmcnt(0)
	s_and_saveexec_b64 s[10:11], s[6:7]
	s_cbranch_execz .LBB121_136
; %bb.127:
	s_andn2_b64 vcc, exec, s[8:9]
	s_cbranch_vccnz .LBB121_129
; %bb.128:
	buffer_load_dword v142, v119, s[0:3], 0 offen
	ds_read_b32 v143, v118
	s_waitcnt vmcnt(0) lgkmcnt(0)
	v_mul_f32_e32 v142, v142, v143
	s_cbranch_execz .LBB121_130
	s_branch .LBB121_131
.LBB121_129:
                                        ; implicit-def: $vgpr142
.LBB121_130:
	ds_read_b32 v142, v118
.LBB121_131:
	s_and_saveexec_b64 s[12:13], s[4:5]
	s_cbranch_execz .LBB121_135
; %bb.132:
	v_subrev_u32_e32 v143, 44, v0
	s_movk_i32 s14, 0x1a0
	s_mov_b64 s[4:5], 0
.LBB121_133:                            ; =>This Inner Loop Header: Depth=1
	buffer_load_dword v144, v141, s[0:3], 0 offen
	v_mov_b32_e32 v145, s14
	ds_read_b32 v145, v145
	v_add_u32_e32 v143, -1, v143
	s_add_i32 s14, s14, 4
	v_cmp_eq_u32_e32 vcc, 0, v143
	v_add_u32_e32 v141, 4, v141
	s_or_b64 s[4:5], vcc, s[4:5]
	s_waitcnt vmcnt(0) lgkmcnt(0)
	v_fmac_f32_e32 v142, v144, v145
	s_andn2_b64 exec, exec, s[4:5]
	s_cbranch_execnz .LBB121_133
; %bb.134:
	s_or_b64 exec, exec, s[4:5]
.LBB121_135:
	s_or_b64 exec, exec, s[12:13]
	v_mov_b32_e32 v141, 0
	ds_read_b32 v141, v141 offset:172
	s_waitcnt lgkmcnt(0)
	v_mul_f32_e32 v141, v142, v141
	buffer_store_dword v141, off, s[0:3], 0 offset:172
.LBB121_136:
	s_or_b64 exec, exec, s[10:11]
	buffer_load_dword v141, off, s[0:3], 0 offset:168
	v_cmp_lt_u32_e64 s[4:5], 42, v0
	s_waitcnt vmcnt(0)
	ds_write_b32 v118, v141
	s_waitcnt lgkmcnt(0)
	; wave barrier
	s_waitcnt lgkmcnt(0)
	s_and_saveexec_b64 s[10:11], s[4:5]
	s_cbranch_execz .LBB121_146
; %bb.137:
	s_andn2_b64 vcc, exec, s[8:9]
	s_cbranch_vccnz .LBB121_139
; %bb.138:
	buffer_load_dword v141, v119, s[0:3], 0 offen
	ds_read_b32 v142, v118
	s_waitcnt vmcnt(0) lgkmcnt(0)
	v_mul_f32_e32 v141, v141, v142
	s_cbranch_execz .LBB121_140
	s_branch .LBB121_141
.LBB121_139:
                                        ; implicit-def: $vgpr141
.LBB121_140:
	ds_read_b32 v141, v118
.LBB121_141:
	s_and_saveexec_b64 s[12:13], s[6:7]
	s_cbranch_execz .LBB121_145
; %bb.142:
	v_mov_b32_e32 v142, 0
	v_add_u32_e32 v142, 0xac, v142
	v_subrev_u32_e32 v143, 43, v0
	s_movk_i32 s14, 0x19c
	s_mov_b64 s[6:7], 0
.LBB121_143:                            ; =>This Inner Loop Header: Depth=1
	buffer_load_dword v144, v142, s[0:3], 0 offen
	v_mov_b32_e32 v145, s14
	ds_read_b32 v145, v145
	v_add_u32_e32 v143, -1, v143
	s_add_i32 s14, s14, 4
	v_cmp_eq_u32_e32 vcc, 0, v143
	v_add_u32_e32 v142, 4, v142
	s_or_b64 s[6:7], vcc, s[6:7]
	s_waitcnt vmcnt(0) lgkmcnt(0)
	v_fmac_f32_e32 v141, v144, v145
	s_andn2_b64 exec, exec, s[6:7]
	s_cbranch_execnz .LBB121_143
; %bb.144:
	s_or_b64 exec, exec, s[6:7]
.LBB121_145:
	s_or_b64 exec, exec, s[12:13]
	v_mov_b32_e32 v142, 0
	ds_read_b32 v142, v142 offset:168
	s_waitcnt lgkmcnt(0)
	v_mul_f32_e32 v141, v141, v142
	buffer_store_dword v141, off, s[0:3], 0 offset:168
.LBB121_146:
	s_or_b64 exec, exec, s[10:11]
	buffer_load_dword v141, off, s[0:3], 0 offset:164
	v_cmp_lt_u32_e64 s[6:7], 41, v0
	s_waitcnt vmcnt(0)
	ds_write_b32 v118, v141
	s_waitcnt lgkmcnt(0)
	; wave barrier
	s_waitcnt lgkmcnt(0)
	s_and_saveexec_b64 s[10:11], s[6:7]
	s_cbranch_execz .LBB121_156
; %bb.147:
	s_andn2_b64 vcc, exec, s[8:9]
	s_cbranch_vccnz .LBB121_149
; %bb.148:
	buffer_load_dword v141, v119, s[0:3], 0 offen
	ds_read_b32 v142, v118
	s_waitcnt vmcnt(0) lgkmcnt(0)
	v_mul_f32_e32 v141, v141, v142
	s_cbranch_execz .LBB121_150
	s_branch .LBB121_151
.LBB121_149:
                                        ; implicit-def: $vgpr141
.LBB121_150:
	ds_read_b32 v141, v118
.LBB121_151:
	s_and_saveexec_b64 s[12:13], s[4:5]
	s_cbranch_execz .LBB121_155
; %bb.152:
	v_subrev_u32_e32 v142, 42, v0
	s_movk_i32 s14, 0x198
	s_mov_b64 s[4:5], 0
.LBB121_153:                            ; =>This Inner Loop Header: Depth=1
	buffer_load_dword v143, v140, s[0:3], 0 offen
	v_mov_b32_e32 v144, s14
	ds_read_b32 v144, v144
	v_add_u32_e32 v142, -1, v142
	s_add_i32 s14, s14, 4
	v_cmp_eq_u32_e32 vcc, 0, v142
	v_add_u32_e32 v140, 4, v140
	s_or_b64 s[4:5], vcc, s[4:5]
	s_waitcnt vmcnt(0) lgkmcnt(0)
	v_fmac_f32_e32 v141, v143, v144
	s_andn2_b64 exec, exec, s[4:5]
	s_cbranch_execnz .LBB121_153
; %bb.154:
	s_or_b64 exec, exec, s[4:5]
.LBB121_155:
	s_or_b64 exec, exec, s[12:13]
	v_mov_b32_e32 v140, 0
	ds_read_b32 v140, v140 offset:164
	s_waitcnt lgkmcnt(0)
	v_mul_f32_e32 v140, v141, v140
	buffer_store_dword v140, off, s[0:3], 0 offset:164
.LBB121_156:
	s_or_b64 exec, exec, s[10:11]
	buffer_load_dword v140, off, s[0:3], 0 offset:160
	v_cmp_lt_u32_e64 s[4:5], 40, v0
	s_waitcnt vmcnt(0)
	ds_write_b32 v118, v140
	s_waitcnt lgkmcnt(0)
	; wave barrier
	s_waitcnt lgkmcnt(0)
	s_and_saveexec_b64 s[10:11], s[4:5]
	s_cbranch_execz .LBB121_166
; %bb.157:
	s_andn2_b64 vcc, exec, s[8:9]
	s_cbranch_vccnz .LBB121_159
; %bb.158:
	buffer_load_dword v140, v119, s[0:3], 0 offen
	ds_read_b32 v141, v118
	s_waitcnt vmcnt(0) lgkmcnt(0)
	v_mul_f32_e32 v140, v140, v141
	s_cbranch_execz .LBB121_160
	s_branch .LBB121_161
.LBB121_159:
                                        ; implicit-def: $vgpr140
.LBB121_160:
	ds_read_b32 v140, v118
.LBB121_161:
	s_and_saveexec_b64 s[12:13], s[6:7]
	s_cbranch_execz .LBB121_165
; %bb.162:
	v_mov_b32_e32 v141, 0
	v_add_u32_e32 v141, 0xa4, v141
	v_subrev_u32_e32 v142, 41, v0
	s_movk_i32 s14, 0x194
	s_mov_b64 s[6:7], 0
.LBB121_163:                            ; =>This Inner Loop Header: Depth=1
	buffer_load_dword v143, v141, s[0:3], 0 offen
	v_mov_b32_e32 v144, s14
	ds_read_b32 v144, v144
	v_add_u32_e32 v142, -1, v142
	s_add_i32 s14, s14, 4
	v_cmp_eq_u32_e32 vcc, 0, v142
	v_add_u32_e32 v141, 4, v141
	s_or_b64 s[6:7], vcc, s[6:7]
	s_waitcnt vmcnt(0) lgkmcnt(0)
	v_fmac_f32_e32 v140, v143, v144
	s_andn2_b64 exec, exec, s[6:7]
	s_cbranch_execnz .LBB121_163
; %bb.164:
	s_or_b64 exec, exec, s[6:7]
.LBB121_165:
	s_or_b64 exec, exec, s[12:13]
	v_mov_b32_e32 v141, 0
	ds_read_b32 v141, v141 offset:160
	s_waitcnt lgkmcnt(0)
	v_mul_f32_e32 v140, v140, v141
	buffer_store_dword v140, off, s[0:3], 0 offset:160
.LBB121_166:
	s_or_b64 exec, exec, s[10:11]
	buffer_load_dword v140, off, s[0:3], 0 offset:156
	v_cmp_lt_u32_e64 s[6:7], 39, v0
	s_waitcnt vmcnt(0)
	ds_write_b32 v118, v140
	s_waitcnt lgkmcnt(0)
	; wave barrier
	s_waitcnt lgkmcnt(0)
	s_and_saveexec_b64 s[10:11], s[6:7]
	s_cbranch_execz .LBB121_176
; %bb.167:
	s_andn2_b64 vcc, exec, s[8:9]
	s_cbranch_vccnz .LBB121_169
; %bb.168:
	buffer_load_dword v140, v119, s[0:3], 0 offen
	ds_read_b32 v141, v118
	s_waitcnt vmcnt(0) lgkmcnt(0)
	v_mul_f32_e32 v140, v140, v141
	s_cbranch_execz .LBB121_170
	s_branch .LBB121_171
.LBB121_169:
                                        ; implicit-def: $vgpr140
.LBB121_170:
	ds_read_b32 v140, v118
.LBB121_171:
	s_and_saveexec_b64 s[12:13], s[4:5]
	s_cbranch_execz .LBB121_175
; %bb.172:
	v_subrev_u32_e32 v141, 40, v0
	s_movk_i32 s14, 0x190
	s_mov_b64 s[4:5], 0
.LBB121_173:                            ; =>This Inner Loop Header: Depth=1
	buffer_load_dword v142, v139, s[0:3], 0 offen
	v_mov_b32_e32 v143, s14
	ds_read_b32 v143, v143
	v_add_u32_e32 v141, -1, v141
	s_add_i32 s14, s14, 4
	v_cmp_eq_u32_e32 vcc, 0, v141
	v_add_u32_e32 v139, 4, v139
	s_or_b64 s[4:5], vcc, s[4:5]
	s_waitcnt vmcnt(0) lgkmcnt(0)
	v_fmac_f32_e32 v140, v142, v143
	s_andn2_b64 exec, exec, s[4:5]
	s_cbranch_execnz .LBB121_173
; %bb.174:
	s_or_b64 exec, exec, s[4:5]
.LBB121_175:
	s_or_b64 exec, exec, s[12:13]
	v_mov_b32_e32 v139, 0
	ds_read_b32 v139, v139 offset:156
	s_waitcnt lgkmcnt(0)
	v_mul_f32_e32 v139, v140, v139
	buffer_store_dword v139, off, s[0:3], 0 offset:156
.LBB121_176:
	s_or_b64 exec, exec, s[10:11]
	buffer_load_dword v139, off, s[0:3], 0 offset:152
	v_cmp_lt_u32_e64 s[4:5], 38, v0
	s_waitcnt vmcnt(0)
	ds_write_b32 v118, v139
	s_waitcnt lgkmcnt(0)
	; wave barrier
	s_waitcnt lgkmcnt(0)
	s_and_saveexec_b64 s[10:11], s[4:5]
	s_cbranch_execz .LBB121_186
; %bb.177:
	s_andn2_b64 vcc, exec, s[8:9]
	s_cbranch_vccnz .LBB121_179
; %bb.178:
	buffer_load_dword v139, v119, s[0:3], 0 offen
	ds_read_b32 v140, v118
	s_waitcnt vmcnt(0) lgkmcnt(0)
	v_mul_f32_e32 v139, v139, v140
	s_cbranch_execz .LBB121_180
	s_branch .LBB121_181
.LBB121_179:
                                        ; implicit-def: $vgpr139
.LBB121_180:
	ds_read_b32 v139, v118
.LBB121_181:
	s_and_saveexec_b64 s[12:13], s[6:7]
	s_cbranch_execz .LBB121_185
; %bb.182:
	v_mov_b32_e32 v140, 0
	v_add_u32_e32 v140, 0x9c, v140
	v_subrev_u32_e32 v141, 39, v0
	s_movk_i32 s14, 0x18c
	s_mov_b64 s[6:7], 0
.LBB121_183:                            ; =>This Inner Loop Header: Depth=1
	buffer_load_dword v142, v140, s[0:3], 0 offen
	v_mov_b32_e32 v143, s14
	ds_read_b32 v143, v143
	v_add_u32_e32 v141, -1, v141
	s_add_i32 s14, s14, 4
	v_cmp_eq_u32_e32 vcc, 0, v141
	v_add_u32_e32 v140, 4, v140
	s_or_b64 s[6:7], vcc, s[6:7]
	s_waitcnt vmcnt(0) lgkmcnt(0)
	v_fmac_f32_e32 v139, v142, v143
	s_andn2_b64 exec, exec, s[6:7]
	s_cbranch_execnz .LBB121_183
; %bb.184:
	s_or_b64 exec, exec, s[6:7]
.LBB121_185:
	s_or_b64 exec, exec, s[12:13]
	v_mov_b32_e32 v140, 0
	ds_read_b32 v140, v140 offset:152
	s_waitcnt lgkmcnt(0)
	v_mul_f32_e32 v139, v139, v140
	buffer_store_dword v139, off, s[0:3], 0 offset:152
.LBB121_186:
	s_or_b64 exec, exec, s[10:11]
	buffer_load_dword v139, off, s[0:3], 0 offset:148
	v_cmp_lt_u32_e64 s[6:7], 37, v0
	s_waitcnt vmcnt(0)
	ds_write_b32 v118, v139
	s_waitcnt lgkmcnt(0)
	; wave barrier
	s_waitcnt lgkmcnt(0)
	s_and_saveexec_b64 s[10:11], s[6:7]
	s_cbranch_execz .LBB121_196
; %bb.187:
	s_andn2_b64 vcc, exec, s[8:9]
	s_cbranch_vccnz .LBB121_189
; %bb.188:
	buffer_load_dword v139, v119, s[0:3], 0 offen
	ds_read_b32 v140, v118
	s_waitcnt vmcnt(0) lgkmcnt(0)
	v_mul_f32_e32 v139, v139, v140
	s_cbranch_execz .LBB121_190
	s_branch .LBB121_191
.LBB121_189:
                                        ; implicit-def: $vgpr139
.LBB121_190:
	ds_read_b32 v139, v118
.LBB121_191:
	s_and_saveexec_b64 s[12:13], s[4:5]
	s_cbranch_execz .LBB121_195
; %bb.192:
	v_subrev_u32_e32 v140, 38, v0
	s_movk_i32 s14, 0x188
	s_mov_b64 s[4:5], 0
.LBB121_193:                            ; =>This Inner Loop Header: Depth=1
	buffer_load_dword v141, v138, s[0:3], 0 offen
	v_mov_b32_e32 v142, s14
	ds_read_b32 v142, v142
	v_add_u32_e32 v140, -1, v140
	s_add_i32 s14, s14, 4
	v_cmp_eq_u32_e32 vcc, 0, v140
	v_add_u32_e32 v138, 4, v138
	s_or_b64 s[4:5], vcc, s[4:5]
	s_waitcnt vmcnt(0) lgkmcnt(0)
	v_fmac_f32_e32 v139, v141, v142
	s_andn2_b64 exec, exec, s[4:5]
	s_cbranch_execnz .LBB121_193
; %bb.194:
	s_or_b64 exec, exec, s[4:5]
.LBB121_195:
	s_or_b64 exec, exec, s[12:13]
	v_mov_b32_e32 v138, 0
	ds_read_b32 v138, v138 offset:148
	s_waitcnt lgkmcnt(0)
	v_mul_f32_e32 v138, v139, v138
	buffer_store_dword v138, off, s[0:3], 0 offset:148
.LBB121_196:
	s_or_b64 exec, exec, s[10:11]
	buffer_load_dword v138, off, s[0:3], 0 offset:144
	v_cmp_lt_u32_e64 s[4:5], 36, v0
	s_waitcnt vmcnt(0)
	ds_write_b32 v118, v138
	s_waitcnt lgkmcnt(0)
	; wave barrier
	s_waitcnt lgkmcnt(0)
	s_and_saveexec_b64 s[10:11], s[4:5]
	s_cbranch_execz .LBB121_206
; %bb.197:
	s_andn2_b64 vcc, exec, s[8:9]
	s_cbranch_vccnz .LBB121_199
; %bb.198:
	buffer_load_dword v138, v119, s[0:3], 0 offen
	ds_read_b32 v139, v118
	s_waitcnt vmcnt(0) lgkmcnt(0)
	v_mul_f32_e32 v138, v138, v139
	s_cbranch_execz .LBB121_200
	s_branch .LBB121_201
.LBB121_199:
                                        ; implicit-def: $vgpr138
.LBB121_200:
	ds_read_b32 v138, v118
.LBB121_201:
	s_and_saveexec_b64 s[12:13], s[6:7]
	s_cbranch_execz .LBB121_205
; %bb.202:
	v_mov_b32_e32 v139, 0
	v_add_u32_e32 v139, 0x94, v139
	v_subrev_u32_e32 v140, 37, v0
	s_movk_i32 s14, 0x184
	s_mov_b64 s[6:7], 0
.LBB121_203:                            ; =>This Inner Loop Header: Depth=1
	buffer_load_dword v141, v139, s[0:3], 0 offen
	v_mov_b32_e32 v142, s14
	ds_read_b32 v142, v142
	v_add_u32_e32 v140, -1, v140
	s_add_i32 s14, s14, 4
	v_cmp_eq_u32_e32 vcc, 0, v140
	v_add_u32_e32 v139, 4, v139
	s_or_b64 s[6:7], vcc, s[6:7]
	s_waitcnt vmcnt(0) lgkmcnt(0)
	v_fmac_f32_e32 v138, v141, v142
	s_andn2_b64 exec, exec, s[6:7]
	s_cbranch_execnz .LBB121_203
; %bb.204:
	s_or_b64 exec, exec, s[6:7]
.LBB121_205:
	s_or_b64 exec, exec, s[12:13]
	v_mov_b32_e32 v139, 0
	ds_read_b32 v139, v139 offset:144
	s_waitcnt lgkmcnt(0)
	v_mul_f32_e32 v138, v138, v139
	buffer_store_dword v138, off, s[0:3], 0 offset:144
.LBB121_206:
	s_or_b64 exec, exec, s[10:11]
	buffer_load_dword v138, off, s[0:3], 0 offset:140
	v_cmp_lt_u32_e64 s[6:7], 35, v0
	s_waitcnt vmcnt(0)
	ds_write_b32 v118, v138
	s_waitcnt lgkmcnt(0)
	; wave barrier
	s_waitcnt lgkmcnt(0)
	s_and_saveexec_b64 s[10:11], s[6:7]
	s_cbranch_execz .LBB121_216
; %bb.207:
	s_andn2_b64 vcc, exec, s[8:9]
	s_cbranch_vccnz .LBB121_209
; %bb.208:
	buffer_load_dword v138, v119, s[0:3], 0 offen
	ds_read_b32 v139, v118
	s_waitcnt vmcnt(0) lgkmcnt(0)
	v_mul_f32_e32 v138, v138, v139
	s_cbranch_execz .LBB121_210
	s_branch .LBB121_211
.LBB121_209:
                                        ; implicit-def: $vgpr138
.LBB121_210:
	ds_read_b32 v138, v118
.LBB121_211:
	s_and_saveexec_b64 s[12:13], s[4:5]
	s_cbranch_execz .LBB121_215
; %bb.212:
	v_subrev_u32_e32 v139, 36, v0
	s_movk_i32 s14, 0x180
	s_mov_b64 s[4:5], 0
.LBB121_213:                            ; =>This Inner Loop Header: Depth=1
	buffer_load_dword v140, v137, s[0:3], 0 offen
	v_mov_b32_e32 v141, s14
	ds_read_b32 v141, v141
	v_add_u32_e32 v139, -1, v139
	s_add_i32 s14, s14, 4
	v_cmp_eq_u32_e32 vcc, 0, v139
	v_add_u32_e32 v137, 4, v137
	s_or_b64 s[4:5], vcc, s[4:5]
	s_waitcnt vmcnt(0) lgkmcnt(0)
	v_fmac_f32_e32 v138, v140, v141
	s_andn2_b64 exec, exec, s[4:5]
	s_cbranch_execnz .LBB121_213
; %bb.214:
	s_or_b64 exec, exec, s[4:5]
.LBB121_215:
	s_or_b64 exec, exec, s[12:13]
	v_mov_b32_e32 v137, 0
	ds_read_b32 v137, v137 offset:140
	s_waitcnt lgkmcnt(0)
	v_mul_f32_e32 v137, v138, v137
	buffer_store_dword v137, off, s[0:3], 0 offset:140
.LBB121_216:
	s_or_b64 exec, exec, s[10:11]
	buffer_load_dword v137, off, s[0:3], 0 offset:136
	v_cmp_lt_u32_e64 s[4:5], 34, v0
	s_waitcnt vmcnt(0)
	ds_write_b32 v118, v137
	s_waitcnt lgkmcnt(0)
	; wave barrier
	s_waitcnt lgkmcnt(0)
	s_and_saveexec_b64 s[10:11], s[4:5]
	s_cbranch_execz .LBB121_226
; %bb.217:
	s_andn2_b64 vcc, exec, s[8:9]
	s_cbranch_vccnz .LBB121_219
; %bb.218:
	buffer_load_dword v137, v119, s[0:3], 0 offen
	ds_read_b32 v138, v118
	s_waitcnt vmcnt(0) lgkmcnt(0)
	v_mul_f32_e32 v137, v137, v138
	s_cbranch_execz .LBB121_220
	s_branch .LBB121_221
.LBB121_219:
                                        ; implicit-def: $vgpr137
.LBB121_220:
	ds_read_b32 v137, v118
.LBB121_221:
	s_and_saveexec_b64 s[12:13], s[6:7]
	s_cbranch_execz .LBB121_225
; %bb.222:
	v_mov_b32_e32 v138, 0
	v_add_u32_e32 v138, 0x8c, v138
	v_subrev_u32_e32 v139, 35, v0
	s_movk_i32 s14, 0x17c
	s_mov_b64 s[6:7], 0
.LBB121_223:                            ; =>This Inner Loop Header: Depth=1
	buffer_load_dword v140, v138, s[0:3], 0 offen
	v_mov_b32_e32 v141, s14
	ds_read_b32 v141, v141
	v_add_u32_e32 v139, -1, v139
	s_add_i32 s14, s14, 4
	v_cmp_eq_u32_e32 vcc, 0, v139
	v_add_u32_e32 v138, 4, v138
	s_or_b64 s[6:7], vcc, s[6:7]
	s_waitcnt vmcnt(0) lgkmcnt(0)
	v_fmac_f32_e32 v137, v140, v141
	s_andn2_b64 exec, exec, s[6:7]
	s_cbranch_execnz .LBB121_223
; %bb.224:
	s_or_b64 exec, exec, s[6:7]
.LBB121_225:
	s_or_b64 exec, exec, s[12:13]
	v_mov_b32_e32 v138, 0
	ds_read_b32 v138, v138 offset:136
	s_waitcnt lgkmcnt(0)
	v_mul_f32_e32 v137, v137, v138
	buffer_store_dword v137, off, s[0:3], 0 offset:136
.LBB121_226:
	s_or_b64 exec, exec, s[10:11]
	buffer_load_dword v137, off, s[0:3], 0 offset:132
	v_cmp_lt_u32_e64 s[6:7], 33, v0
	s_waitcnt vmcnt(0)
	ds_write_b32 v118, v137
	s_waitcnt lgkmcnt(0)
	; wave barrier
	s_waitcnt lgkmcnt(0)
	s_and_saveexec_b64 s[10:11], s[6:7]
	s_cbranch_execz .LBB121_236
; %bb.227:
	s_andn2_b64 vcc, exec, s[8:9]
	s_cbranch_vccnz .LBB121_229
; %bb.228:
	buffer_load_dword v137, v119, s[0:3], 0 offen
	ds_read_b32 v138, v118
	s_waitcnt vmcnt(0) lgkmcnt(0)
	v_mul_f32_e32 v137, v137, v138
	s_cbranch_execz .LBB121_230
	s_branch .LBB121_231
.LBB121_229:
                                        ; implicit-def: $vgpr137
.LBB121_230:
	ds_read_b32 v137, v118
.LBB121_231:
	s_and_saveexec_b64 s[12:13], s[4:5]
	s_cbranch_execz .LBB121_235
; %bb.232:
	v_subrev_u32_e32 v138, 34, v0
	s_movk_i32 s14, 0x178
	s_mov_b64 s[4:5], 0
.LBB121_233:                            ; =>This Inner Loop Header: Depth=1
	buffer_load_dword v139, v136, s[0:3], 0 offen
	v_mov_b32_e32 v140, s14
	ds_read_b32 v140, v140
	v_add_u32_e32 v138, -1, v138
	s_add_i32 s14, s14, 4
	v_cmp_eq_u32_e32 vcc, 0, v138
	v_add_u32_e32 v136, 4, v136
	s_or_b64 s[4:5], vcc, s[4:5]
	s_waitcnt vmcnt(0) lgkmcnt(0)
	v_fmac_f32_e32 v137, v139, v140
	s_andn2_b64 exec, exec, s[4:5]
	s_cbranch_execnz .LBB121_233
; %bb.234:
	s_or_b64 exec, exec, s[4:5]
.LBB121_235:
	s_or_b64 exec, exec, s[12:13]
	v_mov_b32_e32 v136, 0
	ds_read_b32 v136, v136 offset:132
	s_waitcnt lgkmcnt(0)
	v_mul_f32_e32 v136, v137, v136
	buffer_store_dword v136, off, s[0:3], 0 offset:132
.LBB121_236:
	s_or_b64 exec, exec, s[10:11]
	buffer_load_dword v136, off, s[0:3], 0 offset:128
	v_cmp_lt_u32_e64 s[4:5], 32, v0
	s_waitcnt vmcnt(0)
	ds_write_b32 v118, v136
	s_waitcnt lgkmcnt(0)
	; wave barrier
	s_waitcnt lgkmcnt(0)
	s_and_saveexec_b64 s[10:11], s[4:5]
	s_cbranch_execz .LBB121_246
; %bb.237:
	s_andn2_b64 vcc, exec, s[8:9]
	s_cbranch_vccnz .LBB121_239
; %bb.238:
	buffer_load_dword v136, v119, s[0:3], 0 offen
	ds_read_b32 v137, v118
	s_waitcnt vmcnt(0) lgkmcnt(0)
	v_mul_f32_e32 v136, v136, v137
	s_cbranch_execz .LBB121_240
	s_branch .LBB121_241
.LBB121_239:
                                        ; implicit-def: $vgpr136
.LBB121_240:
	ds_read_b32 v136, v118
.LBB121_241:
	s_and_saveexec_b64 s[12:13], s[6:7]
	s_cbranch_execz .LBB121_245
; %bb.242:
	v_mov_b32_e32 v137, 0
	v_add_u32_e32 v137, 0x84, v137
	v_subrev_u32_e32 v138, 33, v0
	s_movk_i32 s14, 0x174
	s_mov_b64 s[6:7], 0
.LBB121_243:                            ; =>This Inner Loop Header: Depth=1
	buffer_load_dword v139, v137, s[0:3], 0 offen
	v_mov_b32_e32 v140, s14
	ds_read_b32 v140, v140
	v_add_u32_e32 v138, -1, v138
	s_add_i32 s14, s14, 4
	v_cmp_eq_u32_e32 vcc, 0, v138
	v_add_u32_e32 v137, 4, v137
	s_or_b64 s[6:7], vcc, s[6:7]
	s_waitcnt vmcnt(0) lgkmcnt(0)
	v_fmac_f32_e32 v136, v139, v140
	s_andn2_b64 exec, exec, s[6:7]
	s_cbranch_execnz .LBB121_243
; %bb.244:
	s_or_b64 exec, exec, s[6:7]
.LBB121_245:
	s_or_b64 exec, exec, s[12:13]
	v_mov_b32_e32 v137, 0
	ds_read_b32 v137, v137 offset:128
	s_waitcnt lgkmcnt(0)
	v_mul_f32_e32 v136, v136, v137
	buffer_store_dword v136, off, s[0:3], 0 offset:128
.LBB121_246:
	s_or_b64 exec, exec, s[10:11]
	buffer_load_dword v136, off, s[0:3], 0 offset:124
	v_cmp_lt_u32_e64 s[6:7], 31, v0
	s_waitcnt vmcnt(0)
	ds_write_b32 v118, v136
	s_waitcnt lgkmcnt(0)
	; wave barrier
	s_waitcnt lgkmcnt(0)
	s_and_saveexec_b64 s[10:11], s[6:7]
	s_cbranch_execz .LBB121_256
; %bb.247:
	s_andn2_b64 vcc, exec, s[8:9]
	s_cbranch_vccnz .LBB121_249
; %bb.248:
	buffer_load_dword v136, v119, s[0:3], 0 offen
	ds_read_b32 v137, v118
	s_waitcnt vmcnt(0) lgkmcnt(0)
	v_mul_f32_e32 v136, v136, v137
	s_cbranch_execz .LBB121_250
	s_branch .LBB121_251
.LBB121_249:
                                        ; implicit-def: $vgpr136
.LBB121_250:
	ds_read_b32 v136, v118
.LBB121_251:
	s_and_saveexec_b64 s[12:13], s[4:5]
	s_cbranch_execz .LBB121_255
; %bb.252:
	v_subrev_u32_e32 v137, 32, v0
	s_movk_i32 s14, 0x170
	s_mov_b64 s[4:5], 0
.LBB121_253:                            ; =>This Inner Loop Header: Depth=1
	buffer_load_dword v138, v135, s[0:3], 0 offen
	v_mov_b32_e32 v139, s14
	ds_read_b32 v139, v139
	v_add_u32_e32 v137, -1, v137
	s_add_i32 s14, s14, 4
	v_cmp_eq_u32_e32 vcc, 0, v137
	v_add_u32_e32 v135, 4, v135
	s_or_b64 s[4:5], vcc, s[4:5]
	s_waitcnt vmcnt(0) lgkmcnt(0)
	v_fmac_f32_e32 v136, v138, v139
	s_andn2_b64 exec, exec, s[4:5]
	s_cbranch_execnz .LBB121_253
; %bb.254:
	s_or_b64 exec, exec, s[4:5]
.LBB121_255:
	s_or_b64 exec, exec, s[12:13]
	v_mov_b32_e32 v135, 0
	ds_read_b32 v135, v135 offset:124
	s_waitcnt lgkmcnt(0)
	v_mul_f32_e32 v135, v136, v135
	buffer_store_dword v135, off, s[0:3], 0 offset:124
.LBB121_256:
	s_or_b64 exec, exec, s[10:11]
	buffer_load_dword v135, off, s[0:3], 0 offset:120
	v_cmp_lt_u32_e64 s[4:5], 30, v0
	s_waitcnt vmcnt(0)
	ds_write_b32 v118, v135
	s_waitcnt lgkmcnt(0)
	; wave barrier
	s_waitcnt lgkmcnt(0)
	s_and_saveexec_b64 s[10:11], s[4:5]
	s_cbranch_execz .LBB121_266
; %bb.257:
	s_andn2_b64 vcc, exec, s[8:9]
	s_cbranch_vccnz .LBB121_259
; %bb.258:
	buffer_load_dword v135, v119, s[0:3], 0 offen
	ds_read_b32 v136, v118
	s_waitcnt vmcnt(0) lgkmcnt(0)
	v_mul_f32_e32 v135, v135, v136
	s_cbranch_execz .LBB121_260
	s_branch .LBB121_261
.LBB121_259:
                                        ; implicit-def: $vgpr135
.LBB121_260:
	ds_read_b32 v135, v118
.LBB121_261:
	s_and_saveexec_b64 s[12:13], s[6:7]
	s_cbranch_execz .LBB121_265
; %bb.262:
	v_mov_b32_e32 v136, 0
	v_add_u32_e32 v136, 0x7c, v136
	v_subrev_u32_e32 v137, 31, v0
	s_movk_i32 s14, 0x16c
	s_mov_b64 s[6:7], 0
.LBB121_263:                            ; =>This Inner Loop Header: Depth=1
	buffer_load_dword v138, v136, s[0:3], 0 offen
	v_mov_b32_e32 v139, s14
	ds_read_b32 v139, v139
	v_add_u32_e32 v137, -1, v137
	s_add_i32 s14, s14, 4
	v_cmp_eq_u32_e32 vcc, 0, v137
	v_add_u32_e32 v136, 4, v136
	s_or_b64 s[6:7], vcc, s[6:7]
	s_waitcnt vmcnt(0) lgkmcnt(0)
	v_fmac_f32_e32 v135, v138, v139
	s_andn2_b64 exec, exec, s[6:7]
	s_cbranch_execnz .LBB121_263
; %bb.264:
	s_or_b64 exec, exec, s[6:7]
.LBB121_265:
	s_or_b64 exec, exec, s[12:13]
	v_mov_b32_e32 v136, 0
	ds_read_b32 v136, v136 offset:120
	s_waitcnt lgkmcnt(0)
	v_mul_f32_e32 v135, v135, v136
	buffer_store_dword v135, off, s[0:3], 0 offset:120
.LBB121_266:
	s_or_b64 exec, exec, s[10:11]
	buffer_load_dword v135, off, s[0:3], 0 offset:116
	v_cmp_lt_u32_e64 s[6:7], 29, v0
	s_waitcnt vmcnt(0)
	ds_write_b32 v118, v135
	s_waitcnt lgkmcnt(0)
	; wave barrier
	s_waitcnt lgkmcnt(0)
	s_and_saveexec_b64 s[10:11], s[6:7]
	s_cbranch_execz .LBB121_276
; %bb.267:
	s_andn2_b64 vcc, exec, s[8:9]
	s_cbranch_vccnz .LBB121_269
; %bb.268:
	buffer_load_dword v135, v119, s[0:3], 0 offen
	ds_read_b32 v136, v118
	s_waitcnt vmcnt(0) lgkmcnt(0)
	v_mul_f32_e32 v135, v135, v136
	s_cbranch_execz .LBB121_270
	s_branch .LBB121_271
.LBB121_269:
                                        ; implicit-def: $vgpr135
.LBB121_270:
	ds_read_b32 v135, v118
.LBB121_271:
	s_and_saveexec_b64 s[12:13], s[4:5]
	s_cbranch_execz .LBB121_275
; %bb.272:
	v_subrev_u32_e32 v136, 30, v0
	s_movk_i32 s14, 0x168
	s_mov_b64 s[4:5], 0
.LBB121_273:                            ; =>This Inner Loop Header: Depth=1
	buffer_load_dword v137, v134, s[0:3], 0 offen
	v_mov_b32_e32 v138, s14
	ds_read_b32 v138, v138
	v_add_u32_e32 v136, -1, v136
	s_add_i32 s14, s14, 4
	v_cmp_eq_u32_e32 vcc, 0, v136
	v_add_u32_e32 v134, 4, v134
	s_or_b64 s[4:5], vcc, s[4:5]
	s_waitcnt vmcnt(0) lgkmcnt(0)
	v_fmac_f32_e32 v135, v137, v138
	s_andn2_b64 exec, exec, s[4:5]
	s_cbranch_execnz .LBB121_273
; %bb.274:
	s_or_b64 exec, exec, s[4:5]
.LBB121_275:
	s_or_b64 exec, exec, s[12:13]
	v_mov_b32_e32 v134, 0
	ds_read_b32 v134, v134 offset:116
	s_waitcnt lgkmcnt(0)
	v_mul_f32_e32 v134, v135, v134
	buffer_store_dword v134, off, s[0:3], 0 offset:116
.LBB121_276:
	s_or_b64 exec, exec, s[10:11]
	buffer_load_dword v134, off, s[0:3], 0 offset:112
	v_cmp_lt_u32_e64 s[4:5], 28, v0
	s_waitcnt vmcnt(0)
	ds_write_b32 v118, v134
	s_waitcnt lgkmcnt(0)
	; wave barrier
	s_waitcnt lgkmcnt(0)
	s_and_saveexec_b64 s[10:11], s[4:5]
	s_cbranch_execz .LBB121_286
; %bb.277:
	s_andn2_b64 vcc, exec, s[8:9]
	s_cbranch_vccnz .LBB121_279
; %bb.278:
	buffer_load_dword v134, v119, s[0:3], 0 offen
	ds_read_b32 v135, v118
	s_waitcnt vmcnt(0) lgkmcnt(0)
	v_mul_f32_e32 v134, v134, v135
	s_cbranch_execz .LBB121_280
	s_branch .LBB121_281
.LBB121_279:
                                        ; implicit-def: $vgpr134
.LBB121_280:
	ds_read_b32 v134, v118
.LBB121_281:
	s_and_saveexec_b64 s[12:13], s[6:7]
	s_cbranch_execz .LBB121_285
; %bb.282:
	v_mov_b32_e32 v135, 0
	v_add_u32_e32 v135, 0x74, v135
	v_subrev_u32_e32 v136, 29, v0
	s_movk_i32 s14, 0x164
	s_mov_b64 s[6:7], 0
.LBB121_283:                            ; =>This Inner Loop Header: Depth=1
	buffer_load_dword v137, v135, s[0:3], 0 offen
	v_mov_b32_e32 v138, s14
	ds_read_b32 v138, v138
	v_add_u32_e32 v136, -1, v136
	s_add_i32 s14, s14, 4
	v_cmp_eq_u32_e32 vcc, 0, v136
	v_add_u32_e32 v135, 4, v135
	s_or_b64 s[6:7], vcc, s[6:7]
	s_waitcnt vmcnt(0) lgkmcnt(0)
	v_fmac_f32_e32 v134, v137, v138
	s_andn2_b64 exec, exec, s[6:7]
	s_cbranch_execnz .LBB121_283
; %bb.284:
	s_or_b64 exec, exec, s[6:7]
.LBB121_285:
	s_or_b64 exec, exec, s[12:13]
	v_mov_b32_e32 v135, 0
	ds_read_b32 v135, v135 offset:112
	s_waitcnt lgkmcnt(0)
	v_mul_f32_e32 v134, v134, v135
	buffer_store_dword v134, off, s[0:3], 0 offset:112
.LBB121_286:
	s_or_b64 exec, exec, s[10:11]
	buffer_load_dword v134, off, s[0:3], 0 offset:108
	v_cmp_lt_u32_e64 s[6:7], 27, v0
	s_waitcnt vmcnt(0)
	ds_write_b32 v118, v134
	s_waitcnt lgkmcnt(0)
	; wave barrier
	s_waitcnt lgkmcnt(0)
	s_and_saveexec_b64 s[10:11], s[6:7]
	s_cbranch_execz .LBB121_296
; %bb.287:
	s_andn2_b64 vcc, exec, s[8:9]
	s_cbranch_vccnz .LBB121_289
; %bb.288:
	buffer_load_dword v134, v119, s[0:3], 0 offen
	ds_read_b32 v135, v118
	s_waitcnt vmcnt(0) lgkmcnt(0)
	v_mul_f32_e32 v134, v134, v135
	s_cbranch_execz .LBB121_290
	s_branch .LBB121_291
.LBB121_289:
                                        ; implicit-def: $vgpr134
.LBB121_290:
	ds_read_b32 v134, v118
.LBB121_291:
	s_and_saveexec_b64 s[12:13], s[4:5]
	s_cbranch_execz .LBB121_295
; %bb.292:
	v_subrev_u32_e32 v135, 28, v0
	s_movk_i32 s14, 0x160
	s_mov_b64 s[4:5], 0
.LBB121_293:                            ; =>This Inner Loop Header: Depth=1
	buffer_load_dword v136, v133, s[0:3], 0 offen
	v_mov_b32_e32 v137, s14
	ds_read_b32 v137, v137
	v_add_u32_e32 v135, -1, v135
	s_add_i32 s14, s14, 4
	v_cmp_eq_u32_e32 vcc, 0, v135
	v_add_u32_e32 v133, 4, v133
	s_or_b64 s[4:5], vcc, s[4:5]
	s_waitcnt vmcnt(0) lgkmcnt(0)
	v_fmac_f32_e32 v134, v136, v137
	s_andn2_b64 exec, exec, s[4:5]
	s_cbranch_execnz .LBB121_293
; %bb.294:
	s_or_b64 exec, exec, s[4:5]
.LBB121_295:
	s_or_b64 exec, exec, s[12:13]
	v_mov_b32_e32 v133, 0
	ds_read_b32 v133, v133 offset:108
	s_waitcnt lgkmcnt(0)
	v_mul_f32_e32 v133, v134, v133
	buffer_store_dword v133, off, s[0:3], 0 offset:108
.LBB121_296:
	s_or_b64 exec, exec, s[10:11]
	buffer_load_dword v133, off, s[0:3], 0 offset:104
	v_cmp_lt_u32_e64 s[4:5], 26, v0
	s_waitcnt vmcnt(0)
	ds_write_b32 v118, v133
	s_waitcnt lgkmcnt(0)
	; wave barrier
	s_waitcnt lgkmcnt(0)
	s_and_saveexec_b64 s[10:11], s[4:5]
	s_cbranch_execz .LBB121_306
; %bb.297:
	s_andn2_b64 vcc, exec, s[8:9]
	s_cbranch_vccnz .LBB121_299
; %bb.298:
	buffer_load_dword v133, v119, s[0:3], 0 offen
	ds_read_b32 v134, v118
	s_waitcnt vmcnt(0) lgkmcnt(0)
	v_mul_f32_e32 v133, v133, v134
	s_cbranch_execz .LBB121_300
	s_branch .LBB121_301
.LBB121_299:
                                        ; implicit-def: $vgpr133
.LBB121_300:
	ds_read_b32 v133, v118
.LBB121_301:
	s_and_saveexec_b64 s[12:13], s[6:7]
	s_cbranch_execz .LBB121_305
; %bb.302:
	v_mov_b32_e32 v134, 0
	v_add_u32_e32 v134, 0x6c, v134
	v_subrev_u32_e32 v135, 27, v0
	s_movk_i32 s14, 0x15c
	s_mov_b64 s[6:7], 0
.LBB121_303:                            ; =>This Inner Loop Header: Depth=1
	buffer_load_dword v136, v134, s[0:3], 0 offen
	v_mov_b32_e32 v137, s14
	ds_read_b32 v137, v137
	v_add_u32_e32 v135, -1, v135
	s_add_i32 s14, s14, 4
	v_cmp_eq_u32_e32 vcc, 0, v135
	v_add_u32_e32 v134, 4, v134
	s_or_b64 s[6:7], vcc, s[6:7]
	s_waitcnt vmcnt(0) lgkmcnt(0)
	v_fmac_f32_e32 v133, v136, v137
	s_andn2_b64 exec, exec, s[6:7]
	s_cbranch_execnz .LBB121_303
; %bb.304:
	s_or_b64 exec, exec, s[6:7]
.LBB121_305:
	s_or_b64 exec, exec, s[12:13]
	v_mov_b32_e32 v134, 0
	ds_read_b32 v134, v134 offset:104
	s_waitcnt lgkmcnt(0)
	v_mul_f32_e32 v133, v133, v134
	buffer_store_dword v133, off, s[0:3], 0 offset:104
.LBB121_306:
	s_or_b64 exec, exec, s[10:11]
	buffer_load_dword v133, off, s[0:3], 0 offset:100
	v_cmp_lt_u32_e64 s[6:7], 25, v0
	s_waitcnt vmcnt(0)
	ds_write_b32 v118, v133
	s_waitcnt lgkmcnt(0)
	; wave barrier
	s_waitcnt lgkmcnt(0)
	s_and_saveexec_b64 s[10:11], s[6:7]
	s_cbranch_execz .LBB121_316
; %bb.307:
	s_andn2_b64 vcc, exec, s[8:9]
	s_cbranch_vccnz .LBB121_309
; %bb.308:
	buffer_load_dword v133, v119, s[0:3], 0 offen
	ds_read_b32 v134, v118
	s_waitcnt vmcnt(0) lgkmcnt(0)
	v_mul_f32_e32 v133, v133, v134
	s_cbranch_execz .LBB121_310
	s_branch .LBB121_311
.LBB121_309:
                                        ; implicit-def: $vgpr133
.LBB121_310:
	ds_read_b32 v133, v118
.LBB121_311:
	s_and_saveexec_b64 s[12:13], s[4:5]
	s_cbranch_execz .LBB121_315
; %bb.312:
	v_subrev_u32_e32 v134, 26, v0
	s_movk_i32 s14, 0x158
	s_mov_b64 s[4:5], 0
.LBB121_313:                            ; =>This Inner Loop Header: Depth=1
	buffer_load_dword v135, v132, s[0:3], 0 offen
	v_mov_b32_e32 v136, s14
	ds_read_b32 v136, v136
	v_add_u32_e32 v134, -1, v134
	s_add_i32 s14, s14, 4
	v_cmp_eq_u32_e32 vcc, 0, v134
	v_add_u32_e32 v132, 4, v132
	s_or_b64 s[4:5], vcc, s[4:5]
	s_waitcnt vmcnt(0) lgkmcnt(0)
	v_fmac_f32_e32 v133, v135, v136
	s_andn2_b64 exec, exec, s[4:5]
	s_cbranch_execnz .LBB121_313
; %bb.314:
	s_or_b64 exec, exec, s[4:5]
.LBB121_315:
	s_or_b64 exec, exec, s[12:13]
	v_mov_b32_e32 v132, 0
	ds_read_b32 v132, v132 offset:100
	s_waitcnt lgkmcnt(0)
	v_mul_f32_e32 v132, v133, v132
	buffer_store_dword v132, off, s[0:3], 0 offset:100
.LBB121_316:
	s_or_b64 exec, exec, s[10:11]
	buffer_load_dword v132, off, s[0:3], 0 offset:96
	v_cmp_lt_u32_e64 s[4:5], 24, v0
	s_waitcnt vmcnt(0)
	ds_write_b32 v118, v132
	s_waitcnt lgkmcnt(0)
	; wave barrier
	s_waitcnt lgkmcnt(0)
	s_and_saveexec_b64 s[10:11], s[4:5]
	s_cbranch_execz .LBB121_326
; %bb.317:
	s_andn2_b64 vcc, exec, s[8:9]
	s_cbranch_vccnz .LBB121_319
; %bb.318:
	buffer_load_dword v132, v119, s[0:3], 0 offen
	ds_read_b32 v133, v118
	s_waitcnt vmcnt(0) lgkmcnt(0)
	v_mul_f32_e32 v132, v132, v133
	s_cbranch_execz .LBB121_320
	s_branch .LBB121_321
.LBB121_319:
                                        ; implicit-def: $vgpr132
.LBB121_320:
	ds_read_b32 v132, v118
.LBB121_321:
	s_and_saveexec_b64 s[12:13], s[6:7]
	s_cbranch_execz .LBB121_325
; %bb.322:
	v_mov_b32_e32 v133, 0
	v_add_u32_e32 v133, 0x64, v133
	v_subrev_u32_e32 v134, 25, v0
	s_movk_i32 s14, 0x154
	s_mov_b64 s[6:7], 0
.LBB121_323:                            ; =>This Inner Loop Header: Depth=1
	buffer_load_dword v135, v133, s[0:3], 0 offen
	v_mov_b32_e32 v136, s14
	ds_read_b32 v136, v136
	v_add_u32_e32 v134, -1, v134
	s_add_i32 s14, s14, 4
	v_cmp_eq_u32_e32 vcc, 0, v134
	v_add_u32_e32 v133, 4, v133
	s_or_b64 s[6:7], vcc, s[6:7]
	s_waitcnt vmcnt(0) lgkmcnt(0)
	v_fmac_f32_e32 v132, v135, v136
	s_andn2_b64 exec, exec, s[6:7]
	s_cbranch_execnz .LBB121_323
; %bb.324:
	s_or_b64 exec, exec, s[6:7]
.LBB121_325:
	s_or_b64 exec, exec, s[12:13]
	v_mov_b32_e32 v133, 0
	ds_read_b32 v133, v133 offset:96
	s_waitcnt lgkmcnt(0)
	v_mul_f32_e32 v132, v132, v133
	buffer_store_dword v132, off, s[0:3], 0 offset:96
.LBB121_326:
	s_or_b64 exec, exec, s[10:11]
	buffer_load_dword v132, off, s[0:3], 0 offset:92
	v_cmp_lt_u32_e64 s[6:7], 23, v0
	s_waitcnt vmcnt(0)
	ds_write_b32 v118, v132
	s_waitcnt lgkmcnt(0)
	; wave barrier
	s_waitcnt lgkmcnt(0)
	s_and_saveexec_b64 s[10:11], s[6:7]
	s_cbranch_execz .LBB121_336
; %bb.327:
	s_andn2_b64 vcc, exec, s[8:9]
	s_cbranch_vccnz .LBB121_329
; %bb.328:
	buffer_load_dword v132, v119, s[0:3], 0 offen
	ds_read_b32 v133, v118
	s_waitcnt vmcnt(0) lgkmcnt(0)
	v_mul_f32_e32 v132, v132, v133
	s_cbranch_execz .LBB121_330
	s_branch .LBB121_331
.LBB121_329:
                                        ; implicit-def: $vgpr132
.LBB121_330:
	ds_read_b32 v132, v118
.LBB121_331:
	s_and_saveexec_b64 s[12:13], s[4:5]
	s_cbranch_execz .LBB121_335
; %bb.332:
	v_subrev_u32_e32 v133, 24, v0
	s_movk_i32 s14, 0x150
	s_mov_b64 s[4:5], 0
.LBB121_333:                            ; =>This Inner Loop Header: Depth=1
	buffer_load_dword v134, v131, s[0:3], 0 offen
	v_mov_b32_e32 v135, s14
	ds_read_b32 v135, v135
	v_add_u32_e32 v133, -1, v133
	s_add_i32 s14, s14, 4
	v_cmp_eq_u32_e32 vcc, 0, v133
	v_add_u32_e32 v131, 4, v131
	s_or_b64 s[4:5], vcc, s[4:5]
	s_waitcnt vmcnt(0) lgkmcnt(0)
	v_fmac_f32_e32 v132, v134, v135
	s_andn2_b64 exec, exec, s[4:5]
	s_cbranch_execnz .LBB121_333
; %bb.334:
	s_or_b64 exec, exec, s[4:5]
.LBB121_335:
	s_or_b64 exec, exec, s[12:13]
	v_mov_b32_e32 v131, 0
	ds_read_b32 v131, v131 offset:92
	s_waitcnt lgkmcnt(0)
	v_mul_f32_e32 v131, v132, v131
	buffer_store_dword v131, off, s[0:3], 0 offset:92
.LBB121_336:
	s_or_b64 exec, exec, s[10:11]
	buffer_load_dword v131, off, s[0:3], 0 offset:88
	v_cmp_lt_u32_e64 s[4:5], 22, v0
	s_waitcnt vmcnt(0)
	ds_write_b32 v118, v131
	s_waitcnt lgkmcnt(0)
	; wave barrier
	s_waitcnt lgkmcnt(0)
	s_and_saveexec_b64 s[10:11], s[4:5]
	s_cbranch_execz .LBB121_346
; %bb.337:
	s_andn2_b64 vcc, exec, s[8:9]
	s_cbranch_vccnz .LBB121_339
; %bb.338:
	buffer_load_dword v131, v119, s[0:3], 0 offen
	ds_read_b32 v132, v118
	s_waitcnt vmcnt(0) lgkmcnt(0)
	v_mul_f32_e32 v131, v131, v132
	s_cbranch_execz .LBB121_340
	s_branch .LBB121_341
.LBB121_339:
                                        ; implicit-def: $vgpr131
.LBB121_340:
	ds_read_b32 v131, v118
.LBB121_341:
	s_and_saveexec_b64 s[12:13], s[6:7]
	s_cbranch_execz .LBB121_345
; %bb.342:
	v_mov_b32_e32 v132, 0
	v_add_u32_e32 v132, 0x5c, v132
	v_subrev_u32_e32 v133, 23, v0
	s_movk_i32 s14, 0x14c
	s_mov_b64 s[6:7], 0
.LBB121_343:                            ; =>This Inner Loop Header: Depth=1
	buffer_load_dword v134, v132, s[0:3], 0 offen
	v_mov_b32_e32 v135, s14
	ds_read_b32 v135, v135
	v_add_u32_e32 v133, -1, v133
	s_add_i32 s14, s14, 4
	v_cmp_eq_u32_e32 vcc, 0, v133
	v_add_u32_e32 v132, 4, v132
	s_or_b64 s[6:7], vcc, s[6:7]
	s_waitcnt vmcnt(0) lgkmcnt(0)
	v_fmac_f32_e32 v131, v134, v135
	s_andn2_b64 exec, exec, s[6:7]
	s_cbranch_execnz .LBB121_343
; %bb.344:
	s_or_b64 exec, exec, s[6:7]
.LBB121_345:
	s_or_b64 exec, exec, s[12:13]
	v_mov_b32_e32 v132, 0
	ds_read_b32 v132, v132 offset:88
	s_waitcnt lgkmcnt(0)
	v_mul_f32_e32 v131, v131, v132
	buffer_store_dword v131, off, s[0:3], 0 offset:88
.LBB121_346:
	s_or_b64 exec, exec, s[10:11]
	buffer_load_dword v131, off, s[0:3], 0 offset:84
	v_cmp_lt_u32_e64 s[6:7], 21, v0
	s_waitcnt vmcnt(0)
	ds_write_b32 v118, v131
	s_waitcnt lgkmcnt(0)
	; wave barrier
	s_waitcnt lgkmcnt(0)
	s_and_saveexec_b64 s[10:11], s[6:7]
	s_cbranch_execz .LBB121_356
; %bb.347:
	s_andn2_b64 vcc, exec, s[8:9]
	s_cbranch_vccnz .LBB121_349
; %bb.348:
	buffer_load_dword v131, v119, s[0:3], 0 offen
	ds_read_b32 v132, v118
	s_waitcnt vmcnt(0) lgkmcnt(0)
	v_mul_f32_e32 v131, v131, v132
	s_cbranch_execz .LBB121_350
	s_branch .LBB121_351
.LBB121_349:
                                        ; implicit-def: $vgpr131
.LBB121_350:
	ds_read_b32 v131, v118
.LBB121_351:
	s_and_saveexec_b64 s[12:13], s[4:5]
	s_cbranch_execz .LBB121_355
; %bb.352:
	v_subrev_u32_e32 v132, 22, v0
	s_movk_i32 s14, 0x148
	s_mov_b64 s[4:5], 0
.LBB121_353:                            ; =>This Inner Loop Header: Depth=1
	buffer_load_dword v133, v130, s[0:3], 0 offen
	v_mov_b32_e32 v134, s14
	ds_read_b32 v134, v134
	v_add_u32_e32 v132, -1, v132
	s_add_i32 s14, s14, 4
	v_cmp_eq_u32_e32 vcc, 0, v132
	v_add_u32_e32 v130, 4, v130
	s_or_b64 s[4:5], vcc, s[4:5]
	s_waitcnt vmcnt(0) lgkmcnt(0)
	v_fmac_f32_e32 v131, v133, v134
	s_andn2_b64 exec, exec, s[4:5]
	s_cbranch_execnz .LBB121_353
; %bb.354:
	s_or_b64 exec, exec, s[4:5]
.LBB121_355:
	s_or_b64 exec, exec, s[12:13]
	v_mov_b32_e32 v130, 0
	ds_read_b32 v130, v130 offset:84
	s_waitcnt lgkmcnt(0)
	v_mul_f32_e32 v130, v131, v130
	buffer_store_dword v130, off, s[0:3], 0 offset:84
.LBB121_356:
	s_or_b64 exec, exec, s[10:11]
	buffer_load_dword v130, off, s[0:3], 0 offset:80
	v_cmp_lt_u32_e64 s[4:5], 20, v0
	s_waitcnt vmcnt(0)
	ds_write_b32 v118, v130
	s_waitcnt lgkmcnt(0)
	; wave barrier
	s_waitcnt lgkmcnt(0)
	s_and_saveexec_b64 s[10:11], s[4:5]
	s_cbranch_execz .LBB121_366
; %bb.357:
	s_andn2_b64 vcc, exec, s[8:9]
	s_cbranch_vccnz .LBB121_359
; %bb.358:
	buffer_load_dword v130, v119, s[0:3], 0 offen
	ds_read_b32 v131, v118
	s_waitcnt vmcnt(0) lgkmcnt(0)
	v_mul_f32_e32 v130, v130, v131
	s_cbranch_execz .LBB121_360
	s_branch .LBB121_361
.LBB121_359:
                                        ; implicit-def: $vgpr130
.LBB121_360:
	ds_read_b32 v130, v118
.LBB121_361:
	s_and_saveexec_b64 s[12:13], s[6:7]
	s_cbranch_execz .LBB121_365
; %bb.362:
	v_mov_b32_e32 v131, 0
	v_add_u32_e32 v131, 0x54, v131
	v_subrev_u32_e32 v132, 21, v0
	s_movk_i32 s14, 0x144
	s_mov_b64 s[6:7], 0
.LBB121_363:                            ; =>This Inner Loop Header: Depth=1
	buffer_load_dword v133, v131, s[0:3], 0 offen
	v_mov_b32_e32 v134, s14
	ds_read_b32 v134, v134
	v_add_u32_e32 v132, -1, v132
	s_add_i32 s14, s14, 4
	v_cmp_eq_u32_e32 vcc, 0, v132
	v_add_u32_e32 v131, 4, v131
	s_or_b64 s[6:7], vcc, s[6:7]
	s_waitcnt vmcnt(0) lgkmcnt(0)
	v_fmac_f32_e32 v130, v133, v134
	s_andn2_b64 exec, exec, s[6:7]
	s_cbranch_execnz .LBB121_363
; %bb.364:
	s_or_b64 exec, exec, s[6:7]
.LBB121_365:
	s_or_b64 exec, exec, s[12:13]
	v_mov_b32_e32 v131, 0
	ds_read_b32 v131, v131 offset:80
	s_waitcnt lgkmcnt(0)
	v_mul_f32_e32 v130, v130, v131
	buffer_store_dword v130, off, s[0:3], 0 offset:80
.LBB121_366:
	s_or_b64 exec, exec, s[10:11]
	buffer_load_dword v130, off, s[0:3], 0 offset:76
	v_cmp_lt_u32_e64 s[6:7], 19, v0
	s_waitcnt vmcnt(0)
	ds_write_b32 v118, v130
	s_waitcnt lgkmcnt(0)
	; wave barrier
	s_waitcnt lgkmcnt(0)
	s_and_saveexec_b64 s[10:11], s[6:7]
	s_cbranch_execz .LBB121_376
; %bb.367:
	s_andn2_b64 vcc, exec, s[8:9]
	s_cbranch_vccnz .LBB121_369
; %bb.368:
	buffer_load_dword v130, v119, s[0:3], 0 offen
	ds_read_b32 v131, v118
	s_waitcnt vmcnt(0) lgkmcnt(0)
	v_mul_f32_e32 v130, v130, v131
	s_cbranch_execz .LBB121_370
	s_branch .LBB121_371
.LBB121_369:
                                        ; implicit-def: $vgpr130
.LBB121_370:
	ds_read_b32 v130, v118
.LBB121_371:
	s_and_saveexec_b64 s[12:13], s[4:5]
	s_cbranch_execz .LBB121_375
; %bb.372:
	v_subrev_u32_e32 v131, 20, v0
	s_movk_i32 s14, 0x140
	s_mov_b64 s[4:5], 0
.LBB121_373:                            ; =>This Inner Loop Header: Depth=1
	buffer_load_dword v132, v129, s[0:3], 0 offen
	v_mov_b32_e32 v133, s14
	ds_read_b32 v133, v133
	v_add_u32_e32 v131, -1, v131
	s_add_i32 s14, s14, 4
	v_cmp_eq_u32_e32 vcc, 0, v131
	v_add_u32_e32 v129, 4, v129
	s_or_b64 s[4:5], vcc, s[4:5]
	s_waitcnt vmcnt(0) lgkmcnt(0)
	v_fmac_f32_e32 v130, v132, v133
	s_andn2_b64 exec, exec, s[4:5]
	s_cbranch_execnz .LBB121_373
; %bb.374:
	s_or_b64 exec, exec, s[4:5]
.LBB121_375:
	s_or_b64 exec, exec, s[12:13]
	v_mov_b32_e32 v129, 0
	ds_read_b32 v129, v129 offset:76
	s_waitcnt lgkmcnt(0)
	v_mul_f32_e32 v129, v130, v129
	buffer_store_dword v129, off, s[0:3], 0 offset:76
.LBB121_376:
	s_or_b64 exec, exec, s[10:11]
	buffer_load_dword v129, off, s[0:3], 0 offset:72
	v_cmp_lt_u32_e64 s[4:5], 18, v0
	s_waitcnt vmcnt(0)
	ds_write_b32 v118, v129
	s_waitcnt lgkmcnt(0)
	; wave barrier
	s_waitcnt lgkmcnt(0)
	s_and_saveexec_b64 s[10:11], s[4:5]
	s_cbranch_execz .LBB121_386
; %bb.377:
	s_andn2_b64 vcc, exec, s[8:9]
	s_cbranch_vccnz .LBB121_379
; %bb.378:
	buffer_load_dword v129, v119, s[0:3], 0 offen
	ds_read_b32 v130, v118
	s_waitcnt vmcnt(0) lgkmcnt(0)
	v_mul_f32_e32 v129, v129, v130
	s_cbranch_execz .LBB121_380
	s_branch .LBB121_381
.LBB121_379:
                                        ; implicit-def: $vgpr129
.LBB121_380:
	ds_read_b32 v129, v118
.LBB121_381:
	s_and_saveexec_b64 s[12:13], s[6:7]
	s_cbranch_execz .LBB121_385
; %bb.382:
	v_mov_b32_e32 v130, 0
	v_add_u32_e32 v130, 0x4c, v130
	v_subrev_u32_e32 v131, 19, v0
	s_movk_i32 s14, 0x13c
	s_mov_b64 s[6:7], 0
.LBB121_383:                            ; =>This Inner Loop Header: Depth=1
	buffer_load_dword v132, v130, s[0:3], 0 offen
	v_mov_b32_e32 v133, s14
	ds_read_b32 v133, v133
	v_add_u32_e32 v131, -1, v131
	s_add_i32 s14, s14, 4
	v_cmp_eq_u32_e32 vcc, 0, v131
	v_add_u32_e32 v130, 4, v130
	s_or_b64 s[6:7], vcc, s[6:7]
	s_waitcnt vmcnt(0) lgkmcnt(0)
	v_fmac_f32_e32 v129, v132, v133
	s_andn2_b64 exec, exec, s[6:7]
	s_cbranch_execnz .LBB121_383
; %bb.384:
	s_or_b64 exec, exec, s[6:7]
.LBB121_385:
	s_or_b64 exec, exec, s[12:13]
	v_mov_b32_e32 v130, 0
	ds_read_b32 v130, v130 offset:72
	s_waitcnt lgkmcnt(0)
	v_mul_f32_e32 v129, v129, v130
	buffer_store_dword v129, off, s[0:3], 0 offset:72
.LBB121_386:
	s_or_b64 exec, exec, s[10:11]
	buffer_load_dword v129, off, s[0:3], 0 offset:68
	v_cmp_lt_u32_e64 s[6:7], 17, v0
	s_waitcnt vmcnt(0)
	ds_write_b32 v118, v129
	s_waitcnt lgkmcnt(0)
	; wave barrier
	s_waitcnt lgkmcnt(0)
	s_and_saveexec_b64 s[10:11], s[6:7]
	s_cbranch_execz .LBB121_396
; %bb.387:
	s_andn2_b64 vcc, exec, s[8:9]
	s_cbranch_vccnz .LBB121_389
; %bb.388:
	buffer_load_dword v129, v119, s[0:3], 0 offen
	ds_read_b32 v130, v118
	s_waitcnt vmcnt(0) lgkmcnt(0)
	v_mul_f32_e32 v129, v129, v130
	s_cbranch_execz .LBB121_390
	s_branch .LBB121_391
.LBB121_389:
                                        ; implicit-def: $vgpr129
.LBB121_390:
	ds_read_b32 v129, v118
.LBB121_391:
	s_and_saveexec_b64 s[12:13], s[4:5]
	s_cbranch_execz .LBB121_395
; %bb.392:
	v_subrev_u32_e32 v130, 18, v0
	s_movk_i32 s14, 0x138
	s_mov_b64 s[4:5], 0
.LBB121_393:                            ; =>This Inner Loop Header: Depth=1
	buffer_load_dword v131, v128, s[0:3], 0 offen
	v_mov_b32_e32 v132, s14
	ds_read_b32 v132, v132
	v_add_u32_e32 v130, -1, v130
	s_add_i32 s14, s14, 4
	v_cmp_eq_u32_e32 vcc, 0, v130
	v_add_u32_e32 v128, 4, v128
	s_or_b64 s[4:5], vcc, s[4:5]
	s_waitcnt vmcnt(0) lgkmcnt(0)
	v_fmac_f32_e32 v129, v131, v132
	s_andn2_b64 exec, exec, s[4:5]
	s_cbranch_execnz .LBB121_393
; %bb.394:
	s_or_b64 exec, exec, s[4:5]
.LBB121_395:
	s_or_b64 exec, exec, s[12:13]
	v_mov_b32_e32 v128, 0
	ds_read_b32 v128, v128 offset:68
	s_waitcnt lgkmcnt(0)
	v_mul_f32_e32 v128, v129, v128
	buffer_store_dword v128, off, s[0:3], 0 offset:68
.LBB121_396:
	s_or_b64 exec, exec, s[10:11]
	buffer_load_dword v128, off, s[0:3], 0 offset:64
	v_cmp_lt_u32_e64 s[4:5], 16, v0
	s_waitcnt vmcnt(0)
	ds_write_b32 v118, v128
	s_waitcnt lgkmcnt(0)
	; wave barrier
	s_waitcnt lgkmcnt(0)
	s_and_saveexec_b64 s[10:11], s[4:5]
	s_cbranch_execz .LBB121_406
; %bb.397:
	s_andn2_b64 vcc, exec, s[8:9]
	s_cbranch_vccnz .LBB121_399
; %bb.398:
	buffer_load_dword v128, v119, s[0:3], 0 offen
	ds_read_b32 v129, v118
	s_waitcnt vmcnt(0) lgkmcnt(0)
	v_mul_f32_e32 v128, v128, v129
	s_cbranch_execz .LBB121_400
	s_branch .LBB121_401
.LBB121_399:
                                        ; implicit-def: $vgpr128
.LBB121_400:
	ds_read_b32 v128, v118
.LBB121_401:
	s_and_saveexec_b64 s[12:13], s[6:7]
	s_cbranch_execz .LBB121_405
; %bb.402:
	v_mov_b32_e32 v129, 0
	v_add_u32_e32 v129, 0x44, v129
	v_subrev_u32_e32 v130, 17, v0
	s_movk_i32 s14, 0x134
	s_mov_b64 s[6:7], 0
.LBB121_403:                            ; =>This Inner Loop Header: Depth=1
	buffer_load_dword v131, v129, s[0:3], 0 offen
	v_mov_b32_e32 v132, s14
	ds_read_b32 v132, v132
	v_add_u32_e32 v130, -1, v130
	s_add_i32 s14, s14, 4
	v_cmp_eq_u32_e32 vcc, 0, v130
	v_add_u32_e32 v129, 4, v129
	s_or_b64 s[6:7], vcc, s[6:7]
	s_waitcnt vmcnt(0) lgkmcnt(0)
	v_fmac_f32_e32 v128, v131, v132
	s_andn2_b64 exec, exec, s[6:7]
	s_cbranch_execnz .LBB121_403
; %bb.404:
	s_or_b64 exec, exec, s[6:7]
.LBB121_405:
	s_or_b64 exec, exec, s[12:13]
	v_mov_b32_e32 v129, 0
	ds_read_b32 v129, v129 offset:64
	s_waitcnt lgkmcnt(0)
	v_mul_f32_e32 v128, v128, v129
	buffer_store_dword v128, off, s[0:3], 0 offset:64
.LBB121_406:
	s_or_b64 exec, exec, s[10:11]
	buffer_load_dword v128, off, s[0:3], 0 offset:60
	v_cmp_lt_u32_e64 s[6:7], 15, v0
	s_waitcnt vmcnt(0)
	ds_write_b32 v118, v128
	s_waitcnt lgkmcnt(0)
	; wave barrier
	s_waitcnt lgkmcnt(0)
	s_and_saveexec_b64 s[10:11], s[6:7]
	s_cbranch_execz .LBB121_416
; %bb.407:
	s_andn2_b64 vcc, exec, s[8:9]
	s_cbranch_vccnz .LBB121_409
; %bb.408:
	buffer_load_dword v128, v119, s[0:3], 0 offen
	ds_read_b32 v129, v118
	s_waitcnt vmcnt(0) lgkmcnt(0)
	v_mul_f32_e32 v128, v128, v129
	s_cbranch_execz .LBB121_410
	s_branch .LBB121_411
.LBB121_409:
                                        ; implicit-def: $vgpr128
.LBB121_410:
	ds_read_b32 v128, v118
.LBB121_411:
	s_and_saveexec_b64 s[12:13], s[4:5]
	s_cbranch_execz .LBB121_415
; %bb.412:
	v_add_u32_e32 v129, -16, v0
	s_movk_i32 s14, 0x130
	s_mov_b64 s[4:5], 0
.LBB121_413:                            ; =>This Inner Loop Header: Depth=1
	buffer_load_dword v130, v127, s[0:3], 0 offen
	v_mov_b32_e32 v131, s14
	ds_read_b32 v131, v131
	v_add_u32_e32 v129, -1, v129
	s_add_i32 s14, s14, 4
	v_cmp_eq_u32_e32 vcc, 0, v129
	v_add_u32_e32 v127, 4, v127
	s_or_b64 s[4:5], vcc, s[4:5]
	s_waitcnt vmcnt(0) lgkmcnt(0)
	v_fmac_f32_e32 v128, v130, v131
	s_andn2_b64 exec, exec, s[4:5]
	s_cbranch_execnz .LBB121_413
; %bb.414:
	s_or_b64 exec, exec, s[4:5]
.LBB121_415:
	s_or_b64 exec, exec, s[12:13]
	v_mov_b32_e32 v127, 0
	ds_read_b32 v127, v127 offset:60
	s_waitcnt lgkmcnt(0)
	v_mul_f32_e32 v127, v128, v127
	buffer_store_dword v127, off, s[0:3], 0 offset:60
.LBB121_416:
	s_or_b64 exec, exec, s[10:11]
	buffer_load_dword v127, off, s[0:3], 0 offset:56
	v_cmp_lt_u32_e64 s[4:5], 14, v0
	s_waitcnt vmcnt(0)
	ds_write_b32 v118, v127
	s_waitcnt lgkmcnt(0)
	; wave barrier
	s_waitcnt lgkmcnt(0)
	s_and_saveexec_b64 s[10:11], s[4:5]
	s_cbranch_execz .LBB121_426
; %bb.417:
	s_andn2_b64 vcc, exec, s[8:9]
	s_cbranch_vccnz .LBB121_419
; %bb.418:
	buffer_load_dword v127, v119, s[0:3], 0 offen
	ds_read_b32 v128, v118
	s_waitcnt vmcnt(0) lgkmcnt(0)
	v_mul_f32_e32 v127, v127, v128
	s_cbranch_execz .LBB121_420
	s_branch .LBB121_421
.LBB121_419:
                                        ; implicit-def: $vgpr127
.LBB121_420:
	ds_read_b32 v127, v118
.LBB121_421:
	s_and_saveexec_b64 s[12:13], s[6:7]
	s_cbranch_execz .LBB121_425
; %bb.422:
	v_mov_b32_e32 v128, 0
	v_add_u32_e32 v128, 60, v128
	v_add_u32_e32 v129, -15, v0
	s_movk_i32 s14, 0x12c
	s_mov_b64 s[6:7], 0
.LBB121_423:                            ; =>This Inner Loop Header: Depth=1
	buffer_load_dword v130, v128, s[0:3], 0 offen
	v_mov_b32_e32 v131, s14
	ds_read_b32 v131, v131
	v_add_u32_e32 v129, -1, v129
	s_add_i32 s14, s14, 4
	v_cmp_eq_u32_e32 vcc, 0, v129
	v_add_u32_e32 v128, 4, v128
	s_or_b64 s[6:7], vcc, s[6:7]
	s_waitcnt vmcnt(0) lgkmcnt(0)
	v_fmac_f32_e32 v127, v130, v131
	s_andn2_b64 exec, exec, s[6:7]
	s_cbranch_execnz .LBB121_423
; %bb.424:
	s_or_b64 exec, exec, s[6:7]
.LBB121_425:
	s_or_b64 exec, exec, s[12:13]
	v_mov_b32_e32 v128, 0
	ds_read_b32 v128, v128 offset:56
	s_waitcnt lgkmcnt(0)
	v_mul_f32_e32 v127, v127, v128
	buffer_store_dword v127, off, s[0:3], 0 offset:56
.LBB121_426:
	s_or_b64 exec, exec, s[10:11]
	buffer_load_dword v127, off, s[0:3], 0 offset:52
	v_cmp_lt_u32_e64 s[6:7], 13, v0
	s_waitcnt vmcnt(0)
	ds_write_b32 v118, v127
	s_waitcnt lgkmcnt(0)
	; wave barrier
	s_waitcnt lgkmcnt(0)
	s_and_saveexec_b64 s[10:11], s[6:7]
	s_cbranch_execz .LBB121_436
; %bb.427:
	s_andn2_b64 vcc, exec, s[8:9]
	s_cbranch_vccnz .LBB121_429
; %bb.428:
	buffer_load_dword v127, v119, s[0:3], 0 offen
	ds_read_b32 v128, v118
	s_waitcnt vmcnt(0) lgkmcnt(0)
	v_mul_f32_e32 v127, v127, v128
	s_cbranch_execz .LBB121_430
	s_branch .LBB121_431
.LBB121_429:
                                        ; implicit-def: $vgpr127
.LBB121_430:
	ds_read_b32 v127, v118
.LBB121_431:
	s_and_saveexec_b64 s[12:13], s[4:5]
	s_cbranch_execz .LBB121_435
; %bb.432:
	v_add_u32_e32 v128, -14, v0
	s_movk_i32 s14, 0x128
	s_mov_b64 s[4:5], 0
.LBB121_433:                            ; =>This Inner Loop Header: Depth=1
	buffer_load_dword v129, v126, s[0:3], 0 offen
	v_mov_b32_e32 v130, s14
	ds_read_b32 v130, v130
	v_add_u32_e32 v128, -1, v128
	s_add_i32 s14, s14, 4
	v_cmp_eq_u32_e32 vcc, 0, v128
	v_add_u32_e32 v126, 4, v126
	s_or_b64 s[4:5], vcc, s[4:5]
	s_waitcnt vmcnt(0) lgkmcnt(0)
	v_fmac_f32_e32 v127, v129, v130
	s_andn2_b64 exec, exec, s[4:5]
	s_cbranch_execnz .LBB121_433
; %bb.434:
	s_or_b64 exec, exec, s[4:5]
.LBB121_435:
	s_or_b64 exec, exec, s[12:13]
	v_mov_b32_e32 v126, 0
	ds_read_b32 v126, v126 offset:52
	s_waitcnt lgkmcnt(0)
	v_mul_f32_e32 v126, v127, v126
	buffer_store_dword v126, off, s[0:3], 0 offset:52
.LBB121_436:
	s_or_b64 exec, exec, s[10:11]
	buffer_load_dword v126, off, s[0:3], 0 offset:48
	v_cmp_lt_u32_e64 s[4:5], 12, v0
	s_waitcnt vmcnt(0)
	ds_write_b32 v118, v126
	s_waitcnt lgkmcnt(0)
	; wave barrier
	s_waitcnt lgkmcnt(0)
	s_and_saveexec_b64 s[10:11], s[4:5]
	s_cbranch_execz .LBB121_446
; %bb.437:
	s_andn2_b64 vcc, exec, s[8:9]
	s_cbranch_vccnz .LBB121_439
; %bb.438:
	buffer_load_dword v126, v119, s[0:3], 0 offen
	ds_read_b32 v127, v118
	s_waitcnt vmcnt(0) lgkmcnt(0)
	v_mul_f32_e32 v126, v126, v127
	s_cbranch_execz .LBB121_440
	s_branch .LBB121_441
.LBB121_439:
                                        ; implicit-def: $vgpr126
.LBB121_440:
	ds_read_b32 v126, v118
.LBB121_441:
	s_and_saveexec_b64 s[12:13], s[6:7]
	s_cbranch_execz .LBB121_445
; %bb.442:
	v_mov_b32_e32 v127, 0
	v_add_u32_e32 v127, 52, v127
	v_add_u32_e32 v128, -13, v0
	s_movk_i32 s14, 0x124
	s_mov_b64 s[6:7], 0
.LBB121_443:                            ; =>This Inner Loop Header: Depth=1
	buffer_load_dword v129, v127, s[0:3], 0 offen
	v_mov_b32_e32 v130, s14
	ds_read_b32 v130, v130
	v_add_u32_e32 v128, -1, v128
	s_add_i32 s14, s14, 4
	v_cmp_eq_u32_e32 vcc, 0, v128
	v_add_u32_e32 v127, 4, v127
	s_or_b64 s[6:7], vcc, s[6:7]
	s_waitcnt vmcnt(0) lgkmcnt(0)
	v_fmac_f32_e32 v126, v129, v130
	s_andn2_b64 exec, exec, s[6:7]
	s_cbranch_execnz .LBB121_443
; %bb.444:
	s_or_b64 exec, exec, s[6:7]
.LBB121_445:
	s_or_b64 exec, exec, s[12:13]
	v_mov_b32_e32 v127, 0
	ds_read_b32 v127, v127 offset:48
	s_waitcnt lgkmcnt(0)
	v_mul_f32_e32 v126, v126, v127
	buffer_store_dword v126, off, s[0:3], 0 offset:48
.LBB121_446:
	s_or_b64 exec, exec, s[10:11]
	buffer_load_dword v126, off, s[0:3], 0 offset:44
	v_cmp_lt_u32_e64 s[6:7], 11, v0
	s_waitcnt vmcnt(0)
	ds_write_b32 v118, v126
	s_waitcnt lgkmcnt(0)
	; wave barrier
	s_waitcnt lgkmcnt(0)
	s_and_saveexec_b64 s[10:11], s[6:7]
	s_cbranch_execz .LBB121_456
; %bb.447:
	s_andn2_b64 vcc, exec, s[8:9]
	s_cbranch_vccnz .LBB121_449
; %bb.448:
	buffer_load_dword v126, v119, s[0:3], 0 offen
	ds_read_b32 v127, v118
	s_waitcnt vmcnt(0) lgkmcnt(0)
	v_mul_f32_e32 v126, v126, v127
	s_cbranch_execz .LBB121_450
	s_branch .LBB121_451
.LBB121_449:
                                        ; implicit-def: $vgpr126
.LBB121_450:
	ds_read_b32 v126, v118
.LBB121_451:
	s_and_saveexec_b64 s[12:13], s[4:5]
	s_cbranch_execz .LBB121_455
; %bb.452:
	v_add_u32_e32 v127, -12, v0
	s_movk_i32 s14, 0x120
	s_mov_b64 s[4:5], 0
.LBB121_453:                            ; =>This Inner Loop Header: Depth=1
	buffer_load_dword v128, v125, s[0:3], 0 offen
	v_mov_b32_e32 v129, s14
	ds_read_b32 v129, v129
	v_add_u32_e32 v127, -1, v127
	s_add_i32 s14, s14, 4
	v_cmp_eq_u32_e32 vcc, 0, v127
	v_add_u32_e32 v125, 4, v125
	s_or_b64 s[4:5], vcc, s[4:5]
	s_waitcnt vmcnt(0) lgkmcnt(0)
	v_fmac_f32_e32 v126, v128, v129
	s_andn2_b64 exec, exec, s[4:5]
	s_cbranch_execnz .LBB121_453
; %bb.454:
	s_or_b64 exec, exec, s[4:5]
.LBB121_455:
	s_or_b64 exec, exec, s[12:13]
	v_mov_b32_e32 v125, 0
	ds_read_b32 v125, v125 offset:44
	s_waitcnt lgkmcnt(0)
	v_mul_f32_e32 v125, v126, v125
	buffer_store_dword v125, off, s[0:3], 0 offset:44
.LBB121_456:
	s_or_b64 exec, exec, s[10:11]
	buffer_load_dword v125, off, s[0:3], 0 offset:40
	v_cmp_lt_u32_e64 s[4:5], 10, v0
	s_waitcnt vmcnt(0)
	ds_write_b32 v118, v125
	s_waitcnt lgkmcnt(0)
	; wave barrier
	s_waitcnt lgkmcnt(0)
	s_and_saveexec_b64 s[10:11], s[4:5]
	s_cbranch_execz .LBB121_466
; %bb.457:
	s_andn2_b64 vcc, exec, s[8:9]
	s_cbranch_vccnz .LBB121_459
; %bb.458:
	buffer_load_dword v125, v119, s[0:3], 0 offen
	ds_read_b32 v126, v118
	s_waitcnt vmcnt(0) lgkmcnt(0)
	v_mul_f32_e32 v125, v125, v126
	s_cbranch_execz .LBB121_460
	s_branch .LBB121_461
.LBB121_459:
                                        ; implicit-def: $vgpr125
.LBB121_460:
	ds_read_b32 v125, v118
.LBB121_461:
	s_and_saveexec_b64 s[12:13], s[6:7]
	s_cbranch_execz .LBB121_465
; %bb.462:
	v_mov_b32_e32 v126, 0
	v_add_u32_e32 v126, 44, v126
	v_add_u32_e32 v127, -11, v0
	s_movk_i32 s14, 0x11c
	s_mov_b64 s[6:7], 0
.LBB121_463:                            ; =>This Inner Loop Header: Depth=1
	buffer_load_dword v128, v126, s[0:3], 0 offen
	v_mov_b32_e32 v129, s14
	ds_read_b32 v129, v129
	v_add_u32_e32 v127, -1, v127
	s_add_i32 s14, s14, 4
	v_cmp_eq_u32_e32 vcc, 0, v127
	v_add_u32_e32 v126, 4, v126
	s_or_b64 s[6:7], vcc, s[6:7]
	s_waitcnt vmcnt(0) lgkmcnt(0)
	v_fmac_f32_e32 v125, v128, v129
	s_andn2_b64 exec, exec, s[6:7]
	s_cbranch_execnz .LBB121_463
; %bb.464:
	s_or_b64 exec, exec, s[6:7]
.LBB121_465:
	s_or_b64 exec, exec, s[12:13]
	v_mov_b32_e32 v126, 0
	ds_read_b32 v126, v126 offset:40
	s_waitcnt lgkmcnt(0)
	v_mul_f32_e32 v125, v125, v126
	buffer_store_dword v125, off, s[0:3], 0 offset:40
.LBB121_466:
	s_or_b64 exec, exec, s[10:11]
	buffer_load_dword v125, off, s[0:3], 0 offset:36
	v_cmp_lt_u32_e64 s[6:7], 9, v0
	s_waitcnt vmcnt(0)
	ds_write_b32 v118, v125
	s_waitcnt lgkmcnt(0)
	; wave barrier
	s_waitcnt lgkmcnt(0)
	s_and_saveexec_b64 s[10:11], s[6:7]
	s_cbranch_execz .LBB121_476
; %bb.467:
	s_andn2_b64 vcc, exec, s[8:9]
	s_cbranch_vccnz .LBB121_469
; %bb.468:
	buffer_load_dword v125, v119, s[0:3], 0 offen
	ds_read_b32 v126, v118
	s_waitcnt vmcnt(0) lgkmcnt(0)
	v_mul_f32_e32 v125, v125, v126
	s_cbranch_execz .LBB121_470
	s_branch .LBB121_471
.LBB121_469:
                                        ; implicit-def: $vgpr125
.LBB121_470:
	ds_read_b32 v125, v118
.LBB121_471:
	s_and_saveexec_b64 s[12:13], s[4:5]
	s_cbranch_execz .LBB121_475
; %bb.472:
	v_add_u32_e32 v126, -10, v0
	s_movk_i32 s14, 0x118
	s_mov_b64 s[4:5], 0
.LBB121_473:                            ; =>This Inner Loop Header: Depth=1
	buffer_load_dword v127, v124, s[0:3], 0 offen
	v_mov_b32_e32 v128, s14
	ds_read_b32 v128, v128
	v_add_u32_e32 v126, -1, v126
	s_add_i32 s14, s14, 4
	v_cmp_eq_u32_e32 vcc, 0, v126
	v_add_u32_e32 v124, 4, v124
	s_or_b64 s[4:5], vcc, s[4:5]
	s_waitcnt vmcnt(0) lgkmcnt(0)
	v_fmac_f32_e32 v125, v127, v128
	s_andn2_b64 exec, exec, s[4:5]
	s_cbranch_execnz .LBB121_473
; %bb.474:
	s_or_b64 exec, exec, s[4:5]
.LBB121_475:
	s_or_b64 exec, exec, s[12:13]
	v_mov_b32_e32 v124, 0
	ds_read_b32 v124, v124 offset:36
	s_waitcnt lgkmcnt(0)
	v_mul_f32_e32 v124, v125, v124
	buffer_store_dword v124, off, s[0:3], 0 offset:36
.LBB121_476:
	s_or_b64 exec, exec, s[10:11]
	buffer_load_dword v124, off, s[0:3], 0 offset:32
	v_cmp_lt_u32_e64 s[4:5], 8, v0
	s_waitcnt vmcnt(0)
	ds_write_b32 v118, v124
	s_waitcnt lgkmcnt(0)
	; wave barrier
	s_waitcnt lgkmcnt(0)
	s_and_saveexec_b64 s[10:11], s[4:5]
	s_cbranch_execz .LBB121_486
; %bb.477:
	s_andn2_b64 vcc, exec, s[8:9]
	s_cbranch_vccnz .LBB121_479
; %bb.478:
	buffer_load_dword v124, v119, s[0:3], 0 offen
	ds_read_b32 v125, v118
	s_waitcnt vmcnt(0) lgkmcnt(0)
	v_mul_f32_e32 v124, v124, v125
	s_cbranch_execz .LBB121_480
	s_branch .LBB121_481
.LBB121_479:
                                        ; implicit-def: $vgpr124
.LBB121_480:
	ds_read_b32 v124, v118
.LBB121_481:
	s_and_saveexec_b64 s[12:13], s[6:7]
	s_cbranch_execz .LBB121_485
; %bb.482:
	v_mov_b32_e32 v125, 0
	v_add_u32_e32 v125, 36, v125
	v_add_u32_e32 v126, -9, v0
	s_movk_i32 s14, 0x114
	s_mov_b64 s[6:7], 0
.LBB121_483:                            ; =>This Inner Loop Header: Depth=1
	buffer_load_dword v127, v125, s[0:3], 0 offen
	v_mov_b32_e32 v128, s14
	ds_read_b32 v128, v128
	v_add_u32_e32 v126, -1, v126
	s_add_i32 s14, s14, 4
	v_cmp_eq_u32_e32 vcc, 0, v126
	v_add_u32_e32 v125, 4, v125
	s_or_b64 s[6:7], vcc, s[6:7]
	s_waitcnt vmcnt(0) lgkmcnt(0)
	v_fmac_f32_e32 v124, v127, v128
	s_andn2_b64 exec, exec, s[6:7]
	s_cbranch_execnz .LBB121_483
; %bb.484:
	s_or_b64 exec, exec, s[6:7]
.LBB121_485:
	s_or_b64 exec, exec, s[12:13]
	v_mov_b32_e32 v125, 0
	ds_read_b32 v125, v125 offset:32
	s_waitcnt lgkmcnt(0)
	v_mul_f32_e32 v124, v124, v125
	buffer_store_dword v124, off, s[0:3], 0 offset:32
.LBB121_486:
	s_or_b64 exec, exec, s[10:11]
	buffer_load_dword v124, off, s[0:3], 0 offset:28
	v_cmp_lt_u32_e64 s[6:7], 7, v0
	s_waitcnt vmcnt(0)
	ds_write_b32 v118, v124
	s_waitcnt lgkmcnt(0)
	; wave barrier
	s_waitcnt lgkmcnt(0)
	s_and_saveexec_b64 s[10:11], s[6:7]
	s_cbranch_execz .LBB121_496
; %bb.487:
	s_andn2_b64 vcc, exec, s[8:9]
	s_cbranch_vccnz .LBB121_489
; %bb.488:
	buffer_load_dword v124, v119, s[0:3], 0 offen
	ds_read_b32 v125, v118
	s_waitcnt vmcnt(0) lgkmcnt(0)
	v_mul_f32_e32 v124, v124, v125
	s_cbranch_execz .LBB121_490
	s_branch .LBB121_491
.LBB121_489:
                                        ; implicit-def: $vgpr124
.LBB121_490:
	ds_read_b32 v124, v118
.LBB121_491:
	s_and_saveexec_b64 s[12:13], s[4:5]
	s_cbranch_execz .LBB121_495
; %bb.492:
	v_add_u32_e32 v125, -8, v0
	s_movk_i32 s14, 0x110
	s_mov_b64 s[4:5], 0
.LBB121_493:                            ; =>This Inner Loop Header: Depth=1
	buffer_load_dword v126, v123, s[0:3], 0 offen
	v_mov_b32_e32 v127, s14
	ds_read_b32 v127, v127
	v_add_u32_e32 v125, -1, v125
	s_add_i32 s14, s14, 4
	v_cmp_eq_u32_e32 vcc, 0, v125
	v_add_u32_e32 v123, 4, v123
	s_or_b64 s[4:5], vcc, s[4:5]
	s_waitcnt vmcnt(0) lgkmcnt(0)
	v_fmac_f32_e32 v124, v126, v127
	s_andn2_b64 exec, exec, s[4:5]
	s_cbranch_execnz .LBB121_493
; %bb.494:
	s_or_b64 exec, exec, s[4:5]
.LBB121_495:
	s_or_b64 exec, exec, s[12:13]
	v_mov_b32_e32 v123, 0
	ds_read_b32 v123, v123 offset:28
	s_waitcnt lgkmcnt(0)
	v_mul_f32_e32 v123, v124, v123
	buffer_store_dword v123, off, s[0:3], 0 offset:28
.LBB121_496:
	s_or_b64 exec, exec, s[10:11]
	buffer_load_dword v123, off, s[0:3], 0 offset:24
	v_cmp_lt_u32_e64 s[4:5], 6, v0
	s_waitcnt vmcnt(0)
	ds_write_b32 v118, v123
	s_waitcnt lgkmcnt(0)
	; wave barrier
	s_waitcnt lgkmcnt(0)
	s_and_saveexec_b64 s[10:11], s[4:5]
	s_cbranch_execz .LBB121_506
; %bb.497:
	s_andn2_b64 vcc, exec, s[8:9]
	s_cbranch_vccnz .LBB121_499
; %bb.498:
	buffer_load_dword v123, v119, s[0:3], 0 offen
	ds_read_b32 v124, v118
	s_waitcnt vmcnt(0) lgkmcnt(0)
	v_mul_f32_e32 v123, v123, v124
	s_cbranch_execz .LBB121_500
	s_branch .LBB121_501
.LBB121_499:
                                        ; implicit-def: $vgpr123
.LBB121_500:
	ds_read_b32 v123, v118
.LBB121_501:
	s_and_saveexec_b64 s[12:13], s[6:7]
	s_cbranch_execz .LBB121_505
; %bb.502:
	v_mov_b32_e32 v124, 0
	v_add_u32_e32 v124, 28, v124
	v_add_u32_e32 v125, -7, v0
	s_movk_i32 s14, 0x10c
	s_mov_b64 s[6:7], 0
.LBB121_503:                            ; =>This Inner Loop Header: Depth=1
	buffer_load_dword v126, v124, s[0:3], 0 offen
	v_mov_b32_e32 v127, s14
	ds_read_b32 v127, v127
	v_add_u32_e32 v125, -1, v125
	s_add_i32 s14, s14, 4
	v_cmp_eq_u32_e32 vcc, 0, v125
	v_add_u32_e32 v124, 4, v124
	s_or_b64 s[6:7], vcc, s[6:7]
	s_waitcnt vmcnt(0) lgkmcnt(0)
	v_fmac_f32_e32 v123, v126, v127
	s_andn2_b64 exec, exec, s[6:7]
	s_cbranch_execnz .LBB121_503
; %bb.504:
	s_or_b64 exec, exec, s[6:7]
.LBB121_505:
	s_or_b64 exec, exec, s[12:13]
	v_mov_b32_e32 v124, 0
	ds_read_b32 v124, v124 offset:24
	s_waitcnt lgkmcnt(0)
	v_mul_f32_e32 v123, v123, v124
	buffer_store_dword v123, off, s[0:3], 0 offset:24
.LBB121_506:
	s_or_b64 exec, exec, s[10:11]
	buffer_load_dword v123, off, s[0:3], 0 offset:20
	v_cmp_lt_u32_e64 s[6:7], 5, v0
	s_waitcnt vmcnt(0)
	ds_write_b32 v118, v123
	s_waitcnt lgkmcnt(0)
	; wave barrier
	s_waitcnt lgkmcnt(0)
	s_and_saveexec_b64 s[10:11], s[6:7]
	s_cbranch_execz .LBB121_516
; %bb.507:
	s_andn2_b64 vcc, exec, s[8:9]
	s_cbranch_vccnz .LBB121_509
; %bb.508:
	buffer_load_dword v123, v119, s[0:3], 0 offen
	ds_read_b32 v124, v118
	s_waitcnt vmcnt(0) lgkmcnt(0)
	v_mul_f32_e32 v123, v123, v124
	s_cbranch_execz .LBB121_510
	s_branch .LBB121_511
.LBB121_509:
                                        ; implicit-def: $vgpr123
.LBB121_510:
	ds_read_b32 v123, v118
.LBB121_511:
	s_and_saveexec_b64 s[12:13], s[4:5]
	s_cbranch_execz .LBB121_515
; %bb.512:
	v_add_u32_e32 v124, -6, v0
	s_movk_i32 s14, 0x108
	s_mov_b64 s[4:5], 0
.LBB121_513:                            ; =>This Inner Loop Header: Depth=1
	buffer_load_dword v125, v122, s[0:3], 0 offen
	v_mov_b32_e32 v126, s14
	ds_read_b32 v126, v126
	v_add_u32_e32 v124, -1, v124
	s_add_i32 s14, s14, 4
	v_cmp_eq_u32_e32 vcc, 0, v124
	v_add_u32_e32 v122, 4, v122
	s_or_b64 s[4:5], vcc, s[4:5]
	s_waitcnt vmcnt(0) lgkmcnt(0)
	v_fmac_f32_e32 v123, v125, v126
	s_andn2_b64 exec, exec, s[4:5]
	s_cbranch_execnz .LBB121_513
; %bb.514:
	s_or_b64 exec, exec, s[4:5]
.LBB121_515:
	s_or_b64 exec, exec, s[12:13]
	v_mov_b32_e32 v122, 0
	ds_read_b32 v122, v122 offset:20
	s_waitcnt lgkmcnt(0)
	v_mul_f32_e32 v122, v123, v122
	buffer_store_dword v122, off, s[0:3], 0 offset:20
.LBB121_516:
	s_or_b64 exec, exec, s[10:11]
	buffer_load_dword v122, off, s[0:3], 0 offset:16
	v_cmp_lt_u32_e64 s[4:5], 4, v0
	s_waitcnt vmcnt(0)
	ds_write_b32 v118, v122
	s_waitcnt lgkmcnt(0)
	; wave barrier
	s_waitcnt lgkmcnt(0)
	s_and_saveexec_b64 s[10:11], s[4:5]
	s_cbranch_execz .LBB121_526
; %bb.517:
	s_andn2_b64 vcc, exec, s[8:9]
	s_cbranch_vccnz .LBB121_519
; %bb.518:
	buffer_load_dword v122, v119, s[0:3], 0 offen
	ds_read_b32 v123, v118
	s_waitcnt vmcnt(0) lgkmcnt(0)
	v_mul_f32_e32 v122, v122, v123
	s_cbranch_execz .LBB121_520
	s_branch .LBB121_521
.LBB121_519:
                                        ; implicit-def: $vgpr122
.LBB121_520:
	ds_read_b32 v122, v118
.LBB121_521:
	s_and_saveexec_b64 s[12:13], s[6:7]
	s_cbranch_execz .LBB121_525
; %bb.522:
	v_mov_b32_e32 v123, 0
	v_add_u32_e32 v123, 20, v123
	v_add_u32_e32 v124, -5, v0
	s_movk_i32 s14, 0x104
	s_mov_b64 s[6:7], 0
.LBB121_523:                            ; =>This Inner Loop Header: Depth=1
	buffer_load_dword v125, v123, s[0:3], 0 offen
	v_mov_b32_e32 v126, s14
	ds_read_b32 v126, v126
	v_add_u32_e32 v124, -1, v124
	s_add_i32 s14, s14, 4
	v_cmp_eq_u32_e32 vcc, 0, v124
	v_add_u32_e32 v123, 4, v123
	s_or_b64 s[6:7], vcc, s[6:7]
	s_waitcnt vmcnt(0) lgkmcnt(0)
	v_fmac_f32_e32 v122, v125, v126
	s_andn2_b64 exec, exec, s[6:7]
	s_cbranch_execnz .LBB121_523
; %bb.524:
	s_or_b64 exec, exec, s[6:7]
.LBB121_525:
	s_or_b64 exec, exec, s[12:13]
	v_mov_b32_e32 v123, 0
	ds_read_b32 v123, v123 offset:16
	s_waitcnt lgkmcnt(0)
	v_mul_f32_e32 v122, v122, v123
	buffer_store_dword v122, off, s[0:3], 0 offset:16
.LBB121_526:
	s_or_b64 exec, exec, s[10:11]
	buffer_load_dword v122, off, s[0:3], 0 offset:12
	v_cmp_lt_u32_e64 s[6:7], 3, v0
	s_waitcnt vmcnt(0)
	ds_write_b32 v118, v122
	s_waitcnt lgkmcnt(0)
	; wave barrier
	s_waitcnt lgkmcnt(0)
	s_and_saveexec_b64 s[10:11], s[6:7]
	s_cbranch_execz .LBB121_536
; %bb.527:
	s_andn2_b64 vcc, exec, s[8:9]
	s_cbranch_vccnz .LBB121_529
; %bb.528:
	buffer_load_dword v122, v119, s[0:3], 0 offen
	ds_read_b32 v123, v118
	s_waitcnt vmcnt(0) lgkmcnt(0)
	v_mul_f32_e32 v122, v122, v123
	s_cbranch_execz .LBB121_530
	s_branch .LBB121_531
.LBB121_529:
                                        ; implicit-def: $vgpr122
.LBB121_530:
	ds_read_b32 v122, v118
.LBB121_531:
	s_and_saveexec_b64 s[12:13], s[4:5]
	s_cbranch_execz .LBB121_535
; %bb.532:
	v_add_u32_e32 v123, -4, v0
	s_movk_i32 s14, 0x100
	s_mov_b64 s[4:5], 0
.LBB121_533:                            ; =>This Inner Loop Header: Depth=1
	buffer_load_dword v124, v121, s[0:3], 0 offen
	v_mov_b32_e32 v125, s14
	ds_read_b32 v125, v125
	v_add_u32_e32 v123, -1, v123
	s_add_i32 s14, s14, 4
	v_cmp_eq_u32_e32 vcc, 0, v123
	v_add_u32_e32 v121, 4, v121
	s_or_b64 s[4:5], vcc, s[4:5]
	s_waitcnt vmcnt(0) lgkmcnt(0)
	v_fmac_f32_e32 v122, v124, v125
	s_andn2_b64 exec, exec, s[4:5]
	s_cbranch_execnz .LBB121_533
; %bb.534:
	s_or_b64 exec, exec, s[4:5]
.LBB121_535:
	s_or_b64 exec, exec, s[12:13]
	v_mov_b32_e32 v121, 0
	ds_read_b32 v121, v121 offset:12
	s_waitcnt lgkmcnt(0)
	v_mul_f32_e32 v121, v122, v121
	buffer_store_dword v121, off, s[0:3], 0 offset:12
.LBB121_536:
	s_or_b64 exec, exec, s[10:11]
	buffer_load_dword v121, off, s[0:3], 0 offset:8
	v_cmp_lt_u32_e64 s[4:5], 2, v0
	s_waitcnt vmcnt(0)
	ds_write_b32 v118, v121
	s_waitcnt lgkmcnt(0)
	; wave barrier
	s_waitcnt lgkmcnt(0)
	s_and_saveexec_b64 s[10:11], s[4:5]
	s_cbranch_execz .LBB121_546
; %bb.537:
	s_andn2_b64 vcc, exec, s[8:9]
	s_cbranch_vccnz .LBB121_539
; %bb.538:
	buffer_load_dword v121, v119, s[0:3], 0 offen
	ds_read_b32 v122, v118
	s_waitcnt vmcnt(0) lgkmcnt(0)
	v_mul_f32_e32 v121, v121, v122
	s_cbranch_execz .LBB121_540
	s_branch .LBB121_541
.LBB121_539:
                                        ; implicit-def: $vgpr121
.LBB121_540:
	ds_read_b32 v121, v118
.LBB121_541:
	s_and_saveexec_b64 s[12:13], s[6:7]
	s_cbranch_execz .LBB121_545
; %bb.542:
	v_mov_b32_e32 v122, 0
	v_or_b32_e32 v122, 12, v122
	v_add_u32_e32 v123, -3, v0
	s_movk_i32 s14, 0xfc
	s_mov_b64 s[6:7], 0
.LBB121_543:                            ; =>This Inner Loop Header: Depth=1
	buffer_load_dword v124, v122, s[0:3], 0 offen
	v_mov_b32_e32 v125, s14
	ds_read_b32 v125, v125
	v_add_u32_e32 v123, -1, v123
	s_add_i32 s14, s14, 4
	v_cmp_eq_u32_e32 vcc, 0, v123
	v_add_u32_e32 v122, 4, v122
	s_or_b64 s[6:7], vcc, s[6:7]
	s_waitcnt vmcnt(0) lgkmcnt(0)
	v_fmac_f32_e32 v121, v124, v125
	s_andn2_b64 exec, exec, s[6:7]
	s_cbranch_execnz .LBB121_543
; %bb.544:
	s_or_b64 exec, exec, s[6:7]
.LBB121_545:
	s_or_b64 exec, exec, s[12:13]
	v_mov_b32_e32 v122, 0
	ds_read_b32 v122, v122 offset:8
	s_waitcnt lgkmcnt(0)
	v_mul_f32_e32 v121, v121, v122
	buffer_store_dword v121, off, s[0:3], 0 offset:8
.LBB121_546:
	s_or_b64 exec, exec, s[10:11]
	buffer_load_dword v121, off, s[0:3], 0 offset:4
	v_cmp_lt_u32_e64 s[6:7], 1, v0
	s_waitcnt vmcnt(0)
	ds_write_b32 v118, v121
	s_waitcnt lgkmcnt(0)
	; wave barrier
	s_waitcnt lgkmcnt(0)
	s_and_saveexec_b64 s[10:11], s[6:7]
	s_cbranch_execz .LBB121_556
; %bb.547:
	s_andn2_b64 vcc, exec, s[8:9]
	s_cbranch_vccnz .LBB121_549
; %bb.548:
	buffer_load_dword v121, v119, s[0:3], 0 offen
	ds_read_b32 v122, v118
	s_waitcnt vmcnt(0) lgkmcnt(0)
	v_mul_f32_e32 v121, v121, v122
	s_cbranch_execz .LBB121_550
	s_branch .LBB121_551
.LBB121_549:
                                        ; implicit-def: $vgpr121
.LBB121_550:
	ds_read_b32 v121, v118
.LBB121_551:
	s_and_saveexec_b64 s[12:13], s[4:5]
	s_cbranch_execz .LBB121_555
; %bb.552:
	v_add_u32_e32 v122, -2, v0
	s_movk_i32 s14, 0xf8
	s_mov_b64 s[4:5], 0
.LBB121_553:                            ; =>This Inner Loop Header: Depth=1
	buffer_load_dword v123, v120, s[0:3], 0 offen
	v_mov_b32_e32 v124, s14
	ds_read_b32 v124, v124
	v_add_u32_e32 v122, -1, v122
	s_add_i32 s14, s14, 4
	v_cmp_eq_u32_e32 vcc, 0, v122
	v_add_u32_e32 v120, 4, v120
	s_or_b64 s[4:5], vcc, s[4:5]
	s_waitcnt vmcnt(0) lgkmcnt(0)
	v_fmac_f32_e32 v121, v123, v124
	s_andn2_b64 exec, exec, s[4:5]
	s_cbranch_execnz .LBB121_553
; %bb.554:
	s_or_b64 exec, exec, s[4:5]
.LBB121_555:
	s_or_b64 exec, exec, s[12:13]
	v_mov_b32_e32 v120, 0
	ds_read_b32 v120, v120 offset:4
	s_waitcnt lgkmcnt(0)
	v_mul_f32_e32 v120, v121, v120
	buffer_store_dword v120, off, s[0:3], 0 offset:4
.LBB121_556:
	s_or_b64 exec, exec, s[10:11]
	buffer_load_dword v120, off, s[0:3], 0
	v_cmp_ne_u32_e32 vcc, 0, v0
	s_waitcnt vmcnt(0)
	ds_write_b32 v118, v120
	s_waitcnt lgkmcnt(0)
	; wave barrier
	s_waitcnt lgkmcnt(0)
	s_and_saveexec_b64 s[4:5], vcc
	s_cbranch_execz .LBB121_566
; %bb.557:
	s_andn2_b64 vcc, exec, s[8:9]
	s_cbranch_vccnz .LBB121_559
; %bb.558:
	buffer_load_dword v120, v119, s[0:3], 0 offen
	ds_read_b32 v121, v118
	s_waitcnt vmcnt(0) lgkmcnt(0)
	v_mul_f32_e32 v120, v120, v121
	s_cbranch_execz .LBB121_560
	s_branch .LBB121_561
.LBB121_559:
                                        ; implicit-def: $vgpr120
.LBB121_560:
	ds_read_b32 v120, v118
.LBB121_561:
	s_and_saveexec_b64 s[10:11], s[6:7]
	s_cbranch_execz .LBB121_565
; %bb.562:
	v_mov_b32_e32 v121, 0
	v_or_b32_e32 v121, 4, v121
	v_add_u32_e32 v122, -1, v0
	s_movk_i32 s12, 0xf4
	s_mov_b64 s[6:7], 0
.LBB121_563:                            ; =>This Inner Loop Header: Depth=1
	buffer_load_dword v123, v121, s[0:3], 0 offen
	v_mov_b32_e32 v124, s12
	ds_read_b32 v124, v124
	v_add_u32_e32 v122, -1, v122
	s_add_i32 s12, s12, 4
	v_cmp_eq_u32_e32 vcc, 0, v122
	v_add_u32_e32 v121, 4, v121
	s_or_b64 s[6:7], vcc, s[6:7]
	s_waitcnt vmcnt(0) lgkmcnt(0)
	v_fmac_f32_e32 v120, v123, v124
	s_andn2_b64 exec, exec, s[6:7]
	s_cbranch_execnz .LBB121_563
; %bb.564:
	s_or_b64 exec, exec, s[6:7]
.LBB121_565:
	s_or_b64 exec, exec, s[10:11]
	v_mov_b32_e32 v121, 0
	ds_read_b32 v121, v121
	s_waitcnt lgkmcnt(0)
	v_mul_f32_e32 v120, v120, v121
	buffer_store_dword v120, off, s[0:3], 0
.LBB121_566:
	s_or_b64 exec, exec, s[4:5]
	s_mov_b64 s[4:5], 0
.LBB121_567:
	s_and_b64 vcc, exec, s[4:5]
	s_cbranch_vccz .LBB121_1131
; %bb.568:
	buffer_load_dword v120, off, s[0:3], 0 offset:4
	v_cmp_eq_u32_e64 s[6:7], 0, v0
	s_waitcnt vmcnt(0)
	ds_write_b32 v118, v120
	s_waitcnt lgkmcnt(0)
	; wave barrier
	s_waitcnt lgkmcnt(0)
	s_and_saveexec_b64 s[4:5], s[6:7]
	s_cbranch_execz .LBB121_574
; %bb.569:
	s_and_b64 vcc, exec, s[8:9]
	s_cbranch_vccz .LBB121_571
; %bb.570:
	buffer_load_dword v120, v119, s[0:3], 0 offen
	ds_read_b32 v121, v118
	s_waitcnt vmcnt(0) lgkmcnt(0)
	v_mul_f32_e32 v120, v120, v121
	s_cbranch_execz .LBB121_572
	s_branch .LBB121_573
.LBB121_571:
                                        ; implicit-def: $vgpr120
.LBB121_572:
	ds_read_b32 v120, v118
.LBB121_573:
	v_mov_b32_e32 v121, 0
	ds_read_b32 v121, v121 offset:4
	s_waitcnt lgkmcnt(0)
	v_mul_f32_e32 v120, v120, v121
	buffer_store_dword v120, off, s[0:3], 0 offset:4
.LBB121_574:
	s_or_b64 exec, exec, s[4:5]
	buffer_load_dword v120, off, s[0:3], 0 offset:8
	v_cndmask_b32_e64 v121, 0, 1, s[8:9]
	v_cmp_gt_u32_e32 vcc, 2, v0
	v_cmp_ne_u32_e64 s[4:5], 1, v121
	s_waitcnt vmcnt(0)
	ds_write_b32 v118, v120
	s_waitcnt lgkmcnt(0)
	; wave barrier
	s_waitcnt lgkmcnt(0)
	s_and_saveexec_b64 s[8:9], vcc
	s_cbranch_execz .LBB121_582
; %bb.575:
	s_and_b64 vcc, exec, s[4:5]
	s_cbranch_vccnz .LBB121_577
; %bb.576:
	buffer_load_dword v120, v119, s[0:3], 0 offen
	ds_read_b32 v121, v118
	s_waitcnt vmcnt(0) lgkmcnt(0)
	v_mul_f32_e32 v120, v120, v121
	s_cbranch_execz .LBB121_578
	s_branch .LBB121_579
.LBB121_577:
                                        ; implicit-def: $vgpr120
.LBB121_578:
	ds_read_b32 v120, v118
.LBB121_579:
	s_and_saveexec_b64 s[10:11], s[6:7]
	s_cbranch_execz .LBB121_581
; %bb.580:
	buffer_load_dword v121, v119, s[0:3], 0 offen offset:4
	ds_read_b32 v122, v118 offset:4
	s_waitcnt vmcnt(0) lgkmcnt(0)
	v_fmac_f32_e32 v120, v121, v122
.LBB121_581:
	s_or_b64 exec, exec, s[10:11]
	v_mov_b32_e32 v121, 0
	ds_read_b32 v121, v121 offset:8
	s_waitcnt lgkmcnt(0)
	v_mul_f32_e32 v120, v120, v121
	buffer_store_dword v120, off, s[0:3], 0 offset:8
.LBB121_582:
	s_or_b64 exec, exec, s[8:9]
	buffer_load_dword v120, off, s[0:3], 0 offset:12
	v_cmp_gt_u32_e32 vcc, 3, v0
	s_waitcnt vmcnt(0)
	ds_write_b32 v118, v120
	s_waitcnt lgkmcnt(0)
	; wave barrier
	s_waitcnt lgkmcnt(0)
	s_and_saveexec_b64 s[8:9], vcc
	s_cbranch_execz .LBB121_590
; %bb.583:
	s_and_b64 vcc, exec, s[4:5]
	s_cbranch_vccnz .LBB121_585
; %bb.584:
	buffer_load_dword v120, v119, s[0:3], 0 offen
	ds_read_b32 v121, v118
	s_waitcnt vmcnt(0) lgkmcnt(0)
	v_mul_f32_e32 v120, v120, v121
	s_cbranch_execz .LBB121_586
	s_branch .LBB121_587
.LBB121_585:
                                        ; implicit-def: $vgpr120
.LBB121_586:
	ds_read_b32 v120, v118
.LBB121_587:
	v_cmp_ne_u32_e32 vcc, 2, v0
	s_and_saveexec_b64 s[10:11], vcc
	s_cbranch_execz .LBB121_589
; %bb.588:
	buffer_load_dword v121, v119, s[0:3], 0 offen offset:4
	buffer_load_dword v122, off, s[0:3], 0 offset:8
	v_mov_b32_e32 v123, 0
	ds_read_b32 v124, v118 offset:4
	ds_read_b32 v123, v123 offset:248
	s_waitcnt vmcnt(1) lgkmcnt(1)
	v_fmac_f32_e32 v120, v121, v124
	s_waitcnt vmcnt(0) lgkmcnt(0)
	v_fma_f32 v121, v122, v123, v120
	v_cndmask_b32_e64 v120, v120, v121, s[6:7]
.LBB121_589:
	s_or_b64 exec, exec, s[10:11]
	v_mov_b32_e32 v121, 0
	ds_read_b32 v121, v121 offset:12
	s_waitcnt lgkmcnt(0)
	v_mul_f32_e32 v120, v120, v121
	buffer_store_dword v120, off, s[0:3], 0 offset:12
.LBB121_590:
	s_or_b64 exec, exec, s[8:9]
	buffer_load_dword v120, off, s[0:3], 0 offset:16
	v_cmp_gt_u32_e32 vcc, 4, v0
	s_waitcnt vmcnt(0)
	ds_write_b32 v118, v120
	s_waitcnt lgkmcnt(0)
	; wave barrier
	s_waitcnt lgkmcnt(0)
	s_and_saveexec_b64 s[6:7], vcc
	s_cbranch_execz .LBB121_600
; %bb.591:
	s_and_b64 vcc, exec, s[4:5]
	s_cbranch_vccnz .LBB121_593
; %bb.592:
	buffer_load_dword v120, v119, s[0:3], 0 offen
	ds_read_b32 v121, v118
	s_waitcnt vmcnt(0) lgkmcnt(0)
	v_mul_f32_e32 v120, v120, v121
	s_cbranch_execz .LBB121_594
	s_branch .LBB121_595
.LBB121_593:
                                        ; implicit-def: $vgpr120
.LBB121_594:
	ds_read_b32 v120, v118
.LBB121_595:
	v_cmp_ne_u32_e32 vcc, 3, v0
	s_and_saveexec_b64 s[8:9], vcc
	s_cbranch_execz .LBB121_599
; %bb.596:
	v_mov_b32_e32 v122, 0
	v_add_u32_e32 v121, 0xf4, v1
	v_add3_u32 v122, v1, v122, 4
	s_mov_b64 s[10:11], 0
	v_mov_b32_e32 v123, v0
.LBB121_597:                            ; =>This Inner Loop Header: Depth=1
	buffer_load_dword v124, v122, s[0:3], 0 offen
	ds_read_b32 v125, v121
	v_add_u32_e32 v123, 1, v123
	v_cmp_lt_u32_e32 vcc, 2, v123
	v_add_u32_e32 v121, 4, v121
	v_add_u32_e32 v122, 4, v122
	s_or_b64 s[10:11], vcc, s[10:11]
	s_waitcnt vmcnt(0) lgkmcnt(0)
	v_fmac_f32_e32 v120, v124, v125
	s_andn2_b64 exec, exec, s[10:11]
	s_cbranch_execnz .LBB121_597
; %bb.598:
	s_or_b64 exec, exec, s[10:11]
.LBB121_599:
	s_or_b64 exec, exec, s[8:9]
	v_mov_b32_e32 v121, 0
	ds_read_b32 v121, v121 offset:16
	s_waitcnt lgkmcnt(0)
	v_mul_f32_e32 v120, v120, v121
	buffer_store_dword v120, off, s[0:3], 0 offset:16
.LBB121_600:
	s_or_b64 exec, exec, s[6:7]
	buffer_load_dword v120, off, s[0:3], 0 offset:20
	v_cmp_gt_u32_e32 vcc, 5, v0
	s_waitcnt vmcnt(0)
	ds_write_b32 v118, v120
	s_waitcnt lgkmcnt(0)
	; wave barrier
	s_waitcnt lgkmcnt(0)
	s_and_saveexec_b64 s[6:7], vcc
	s_cbranch_execz .LBB121_610
; %bb.601:
	s_and_b64 vcc, exec, s[4:5]
	s_cbranch_vccnz .LBB121_603
; %bb.602:
	buffer_load_dword v120, v119, s[0:3], 0 offen
	ds_read_b32 v121, v118
	s_waitcnt vmcnt(0) lgkmcnt(0)
	v_mul_f32_e32 v120, v120, v121
	s_cbranch_execz .LBB121_604
	s_branch .LBB121_605
.LBB121_603:
                                        ; implicit-def: $vgpr120
.LBB121_604:
	ds_read_b32 v120, v118
.LBB121_605:
	v_cmp_ne_u32_e32 vcc, 4, v0
	s_and_saveexec_b64 s[8:9], vcc
	s_cbranch_execz .LBB121_609
; %bb.606:
	v_mov_b32_e32 v122, 0
	v_add_u32_e32 v121, 0xf4, v1
	v_add3_u32 v122, v1, v122, 4
	s_mov_b64 s[10:11], 0
	v_mov_b32_e32 v123, v0
.LBB121_607:                            ; =>This Inner Loop Header: Depth=1
	buffer_load_dword v124, v122, s[0:3], 0 offen
	ds_read_b32 v125, v121
	v_add_u32_e32 v123, 1, v123
	v_cmp_lt_u32_e32 vcc, 3, v123
	v_add_u32_e32 v121, 4, v121
	v_add_u32_e32 v122, 4, v122
	s_or_b64 s[10:11], vcc, s[10:11]
	s_waitcnt vmcnt(0) lgkmcnt(0)
	v_fmac_f32_e32 v120, v124, v125
	s_andn2_b64 exec, exec, s[10:11]
	s_cbranch_execnz .LBB121_607
; %bb.608:
	s_or_b64 exec, exec, s[10:11]
.LBB121_609:
	s_or_b64 exec, exec, s[8:9]
	v_mov_b32_e32 v121, 0
	ds_read_b32 v121, v121 offset:20
	s_waitcnt lgkmcnt(0)
	v_mul_f32_e32 v120, v120, v121
	buffer_store_dword v120, off, s[0:3], 0 offset:20
.LBB121_610:
	s_or_b64 exec, exec, s[6:7]
	buffer_load_dword v120, off, s[0:3], 0 offset:24
	v_cmp_gt_u32_e32 vcc, 6, v0
	s_waitcnt vmcnt(0)
	ds_write_b32 v118, v120
	s_waitcnt lgkmcnt(0)
	; wave barrier
	s_waitcnt lgkmcnt(0)
	s_and_saveexec_b64 s[6:7], vcc
	s_cbranch_execz .LBB121_620
; %bb.611:
	s_and_b64 vcc, exec, s[4:5]
	s_cbranch_vccnz .LBB121_613
; %bb.612:
	buffer_load_dword v120, v119, s[0:3], 0 offen
	ds_read_b32 v121, v118
	s_waitcnt vmcnt(0) lgkmcnt(0)
	v_mul_f32_e32 v120, v120, v121
	s_cbranch_execz .LBB121_614
	s_branch .LBB121_615
.LBB121_613:
                                        ; implicit-def: $vgpr120
.LBB121_614:
	ds_read_b32 v120, v118
.LBB121_615:
	v_cmp_ne_u32_e32 vcc, 5, v0
	s_and_saveexec_b64 s[8:9], vcc
	s_cbranch_execz .LBB121_619
; %bb.616:
	v_mov_b32_e32 v122, 0
	v_add_u32_e32 v121, 0xf4, v1
	v_add3_u32 v122, v1, v122, 4
	s_mov_b64 s[10:11], 0
	v_mov_b32_e32 v123, v0
.LBB121_617:                            ; =>This Inner Loop Header: Depth=1
	buffer_load_dword v124, v122, s[0:3], 0 offen
	ds_read_b32 v125, v121
	v_add_u32_e32 v123, 1, v123
	v_cmp_lt_u32_e32 vcc, 4, v123
	v_add_u32_e32 v121, 4, v121
	v_add_u32_e32 v122, 4, v122
	s_or_b64 s[10:11], vcc, s[10:11]
	s_waitcnt vmcnt(0) lgkmcnt(0)
	v_fmac_f32_e32 v120, v124, v125
	s_andn2_b64 exec, exec, s[10:11]
	s_cbranch_execnz .LBB121_617
; %bb.618:
	s_or_b64 exec, exec, s[10:11]
.LBB121_619:
	s_or_b64 exec, exec, s[8:9]
	v_mov_b32_e32 v121, 0
	ds_read_b32 v121, v121 offset:24
	s_waitcnt lgkmcnt(0)
	v_mul_f32_e32 v120, v120, v121
	buffer_store_dword v120, off, s[0:3], 0 offset:24
.LBB121_620:
	s_or_b64 exec, exec, s[6:7]
	buffer_load_dword v120, off, s[0:3], 0 offset:28
	v_cmp_gt_u32_e32 vcc, 7, v0
	s_waitcnt vmcnt(0)
	ds_write_b32 v118, v120
	s_waitcnt lgkmcnt(0)
	; wave barrier
	s_waitcnt lgkmcnt(0)
	s_and_saveexec_b64 s[6:7], vcc
	s_cbranch_execz .LBB121_630
; %bb.621:
	s_and_b64 vcc, exec, s[4:5]
	s_cbranch_vccnz .LBB121_623
; %bb.622:
	buffer_load_dword v120, v119, s[0:3], 0 offen
	ds_read_b32 v121, v118
	s_waitcnt vmcnt(0) lgkmcnt(0)
	v_mul_f32_e32 v120, v120, v121
	s_cbranch_execz .LBB121_624
	s_branch .LBB121_625
.LBB121_623:
                                        ; implicit-def: $vgpr120
.LBB121_624:
	ds_read_b32 v120, v118
.LBB121_625:
	v_cmp_ne_u32_e32 vcc, 6, v0
	s_and_saveexec_b64 s[8:9], vcc
	s_cbranch_execz .LBB121_629
; %bb.626:
	v_mov_b32_e32 v122, 0
	v_add_u32_e32 v121, 0xf4, v1
	v_add3_u32 v122, v1, v122, 4
	s_mov_b64 s[10:11], 0
	v_mov_b32_e32 v123, v0
.LBB121_627:                            ; =>This Inner Loop Header: Depth=1
	buffer_load_dword v124, v122, s[0:3], 0 offen
	ds_read_b32 v125, v121
	v_add_u32_e32 v123, 1, v123
	v_cmp_lt_u32_e32 vcc, 5, v123
	v_add_u32_e32 v121, 4, v121
	v_add_u32_e32 v122, 4, v122
	s_or_b64 s[10:11], vcc, s[10:11]
	s_waitcnt vmcnt(0) lgkmcnt(0)
	v_fmac_f32_e32 v120, v124, v125
	s_andn2_b64 exec, exec, s[10:11]
	s_cbranch_execnz .LBB121_627
; %bb.628:
	s_or_b64 exec, exec, s[10:11]
.LBB121_629:
	s_or_b64 exec, exec, s[8:9]
	v_mov_b32_e32 v121, 0
	ds_read_b32 v121, v121 offset:28
	s_waitcnt lgkmcnt(0)
	v_mul_f32_e32 v120, v120, v121
	buffer_store_dword v120, off, s[0:3], 0 offset:28
.LBB121_630:
	s_or_b64 exec, exec, s[6:7]
	buffer_load_dword v120, off, s[0:3], 0 offset:32
	v_cmp_gt_u32_e32 vcc, 8, v0
	s_waitcnt vmcnt(0)
	ds_write_b32 v118, v120
	s_waitcnt lgkmcnt(0)
	; wave barrier
	s_waitcnt lgkmcnt(0)
	s_and_saveexec_b64 s[6:7], vcc
	s_cbranch_execz .LBB121_640
; %bb.631:
	s_and_b64 vcc, exec, s[4:5]
	s_cbranch_vccnz .LBB121_633
; %bb.632:
	buffer_load_dword v120, v119, s[0:3], 0 offen
	ds_read_b32 v121, v118
	s_waitcnt vmcnt(0) lgkmcnt(0)
	v_mul_f32_e32 v120, v120, v121
	s_cbranch_execz .LBB121_634
	s_branch .LBB121_635
.LBB121_633:
                                        ; implicit-def: $vgpr120
.LBB121_634:
	ds_read_b32 v120, v118
.LBB121_635:
	v_cmp_ne_u32_e32 vcc, 7, v0
	s_and_saveexec_b64 s[8:9], vcc
	s_cbranch_execz .LBB121_639
; %bb.636:
	v_mov_b32_e32 v122, 0
	v_add_u32_e32 v121, 0xf4, v1
	v_add3_u32 v122, v1, v122, 4
	s_mov_b64 s[10:11], 0
	v_mov_b32_e32 v123, v0
.LBB121_637:                            ; =>This Inner Loop Header: Depth=1
	buffer_load_dword v124, v122, s[0:3], 0 offen
	ds_read_b32 v125, v121
	v_add_u32_e32 v123, 1, v123
	v_cmp_lt_u32_e32 vcc, 6, v123
	v_add_u32_e32 v121, 4, v121
	v_add_u32_e32 v122, 4, v122
	s_or_b64 s[10:11], vcc, s[10:11]
	s_waitcnt vmcnt(0) lgkmcnt(0)
	v_fmac_f32_e32 v120, v124, v125
	s_andn2_b64 exec, exec, s[10:11]
	s_cbranch_execnz .LBB121_637
; %bb.638:
	s_or_b64 exec, exec, s[10:11]
.LBB121_639:
	s_or_b64 exec, exec, s[8:9]
	v_mov_b32_e32 v121, 0
	ds_read_b32 v121, v121 offset:32
	s_waitcnt lgkmcnt(0)
	v_mul_f32_e32 v120, v120, v121
	buffer_store_dword v120, off, s[0:3], 0 offset:32
.LBB121_640:
	s_or_b64 exec, exec, s[6:7]
	buffer_load_dword v120, off, s[0:3], 0 offset:36
	v_cmp_gt_u32_e32 vcc, 9, v0
	s_waitcnt vmcnt(0)
	ds_write_b32 v118, v120
	s_waitcnt lgkmcnt(0)
	; wave barrier
	s_waitcnt lgkmcnt(0)
	s_and_saveexec_b64 s[6:7], vcc
	s_cbranch_execz .LBB121_650
; %bb.641:
	s_and_b64 vcc, exec, s[4:5]
	s_cbranch_vccnz .LBB121_643
; %bb.642:
	buffer_load_dword v120, v119, s[0:3], 0 offen
	ds_read_b32 v121, v118
	s_waitcnt vmcnt(0) lgkmcnt(0)
	v_mul_f32_e32 v120, v120, v121
	s_cbranch_execz .LBB121_644
	s_branch .LBB121_645
.LBB121_643:
                                        ; implicit-def: $vgpr120
.LBB121_644:
	ds_read_b32 v120, v118
.LBB121_645:
	v_cmp_ne_u32_e32 vcc, 8, v0
	s_and_saveexec_b64 s[8:9], vcc
	s_cbranch_execz .LBB121_649
; %bb.646:
	v_mov_b32_e32 v122, 0
	v_add_u32_e32 v121, 0xf4, v1
	v_add3_u32 v122, v1, v122, 4
	s_mov_b64 s[10:11], 0
	v_mov_b32_e32 v123, v0
.LBB121_647:                            ; =>This Inner Loop Header: Depth=1
	buffer_load_dword v124, v122, s[0:3], 0 offen
	ds_read_b32 v125, v121
	v_add_u32_e32 v123, 1, v123
	v_cmp_lt_u32_e32 vcc, 7, v123
	v_add_u32_e32 v121, 4, v121
	v_add_u32_e32 v122, 4, v122
	s_or_b64 s[10:11], vcc, s[10:11]
	s_waitcnt vmcnt(0) lgkmcnt(0)
	v_fmac_f32_e32 v120, v124, v125
	s_andn2_b64 exec, exec, s[10:11]
	s_cbranch_execnz .LBB121_647
; %bb.648:
	s_or_b64 exec, exec, s[10:11]
.LBB121_649:
	s_or_b64 exec, exec, s[8:9]
	v_mov_b32_e32 v121, 0
	ds_read_b32 v121, v121 offset:36
	s_waitcnt lgkmcnt(0)
	v_mul_f32_e32 v120, v120, v121
	buffer_store_dword v120, off, s[0:3], 0 offset:36
.LBB121_650:
	s_or_b64 exec, exec, s[6:7]
	buffer_load_dword v120, off, s[0:3], 0 offset:40
	v_cmp_gt_u32_e32 vcc, 10, v0
	s_waitcnt vmcnt(0)
	ds_write_b32 v118, v120
	s_waitcnt lgkmcnt(0)
	; wave barrier
	s_waitcnt lgkmcnt(0)
	s_and_saveexec_b64 s[6:7], vcc
	s_cbranch_execz .LBB121_660
; %bb.651:
	s_and_b64 vcc, exec, s[4:5]
	s_cbranch_vccnz .LBB121_653
; %bb.652:
	buffer_load_dword v120, v119, s[0:3], 0 offen
	ds_read_b32 v121, v118
	s_waitcnt vmcnt(0) lgkmcnt(0)
	v_mul_f32_e32 v120, v120, v121
	s_cbranch_execz .LBB121_654
	s_branch .LBB121_655
.LBB121_653:
                                        ; implicit-def: $vgpr120
.LBB121_654:
	ds_read_b32 v120, v118
.LBB121_655:
	v_cmp_ne_u32_e32 vcc, 9, v0
	s_and_saveexec_b64 s[8:9], vcc
	s_cbranch_execz .LBB121_659
; %bb.656:
	v_mov_b32_e32 v122, 0
	v_add_u32_e32 v121, 0xf4, v1
	v_add3_u32 v122, v1, v122, 4
	s_mov_b64 s[10:11], 0
	v_mov_b32_e32 v123, v0
.LBB121_657:                            ; =>This Inner Loop Header: Depth=1
	buffer_load_dword v124, v122, s[0:3], 0 offen
	ds_read_b32 v125, v121
	v_add_u32_e32 v123, 1, v123
	v_cmp_lt_u32_e32 vcc, 8, v123
	v_add_u32_e32 v121, 4, v121
	v_add_u32_e32 v122, 4, v122
	s_or_b64 s[10:11], vcc, s[10:11]
	s_waitcnt vmcnt(0) lgkmcnt(0)
	v_fmac_f32_e32 v120, v124, v125
	s_andn2_b64 exec, exec, s[10:11]
	s_cbranch_execnz .LBB121_657
; %bb.658:
	s_or_b64 exec, exec, s[10:11]
.LBB121_659:
	s_or_b64 exec, exec, s[8:9]
	v_mov_b32_e32 v121, 0
	ds_read_b32 v121, v121 offset:40
	s_waitcnt lgkmcnt(0)
	v_mul_f32_e32 v120, v120, v121
	buffer_store_dword v120, off, s[0:3], 0 offset:40
.LBB121_660:
	s_or_b64 exec, exec, s[6:7]
	buffer_load_dword v120, off, s[0:3], 0 offset:44
	v_cmp_gt_u32_e32 vcc, 11, v0
	s_waitcnt vmcnt(0)
	ds_write_b32 v118, v120
	s_waitcnt lgkmcnt(0)
	; wave barrier
	s_waitcnt lgkmcnt(0)
	s_and_saveexec_b64 s[6:7], vcc
	s_cbranch_execz .LBB121_670
; %bb.661:
	s_and_b64 vcc, exec, s[4:5]
	s_cbranch_vccnz .LBB121_663
; %bb.662:
	buffer_load_dword v120, v119, s[0:3], 0 offen
	ds_read_b32 v121, v118
	s_waitcnt vmcnt(0) lgkmcnt(0)
	v_mul_f32_e32 v120, v120, v121
	s_cbranch_execz .LBB121_664
	s_branch .LBB121_665
.LBB121_663:
                                        ; implicit-def: $vgpr120
.LBB121_664:
	ds_read_b32 v120, v118
.LBB121_665:
	v_cmp_ne_u32_e32 vcc, 10, v0
	s_and_saveexec_b64 s[8:9], vcc
	s_cbranch_execz .LBB121_669
; %bb.666:
	v_mov_b32_e32 v122, 0
	v_add_u32_e32 v121, 0xf4, v1
	v_add3_u32 v122, v1, v122, 4
	s_mov_b64 s[10:11], 0
	v_mov_b32_e32 v123, v0
.LBB121_667:                            ; =>This Inner Loop Header: Depth=1
	buffer_load_dword v124, v122, s[0:3], 0 offen
	ds_read_b32 v125, v121
	v_add_u32_e32 v123, 1, v123
	v_cmp_lt_u32_e32 vcc, 9, v123
	v_add_u32_e32 v121, 4, v121
	v_add_u32_e32 v122, 4, v122
	s_or_b64 s[10:11], vcc, s[10:11]
	s_waitcnt vmcnt(0) lgkmcnt(0)
	v_fmac_f32_e32 v120, v124, v125
	s_andn2_b64 exec, exec, s[10:11]
	s_cbranch_execnz .LBB121_667
; %bb.668:
	s_or_b64 exec, exec, s[10:11]
.LBB121_669:
	s_or_b64 exec, exec, s[8:9]
	v_mov_b32_e32 v121, 0
	ds_read_b32 v121, v121 offset:44
	s_waitcnt lgkmcnt(0)
	v_mul_f32_e32 v120, v120, v121
	buffer_store_dword v120, off, s[0:3], 0 offset:44
.LBB121_670:
	s_or_b64 exec, exec, s[6:7]
	buffer_load_dword v120, off, s[0:3], 0 offset:48
	v_cmp_gt_u32_e32 vcc, 12, v0
	s_waitcnt vmcnt(0)
	ds_write_b32 v118, v120
	s_waitcnt lgkmcnt(0)
	; wave barrier
	s_waitcnt lgkmcnt(0)
	s_and_saveexec_b64 s[6:7], vcc
	s_cbranch_execz .LBB121_680
; %bb.671:
	s_and_b64 vcc, exec, s[4:5]
	s_cbranch_vccnz .LBB121_673
; %bb.672:
	buffer_load_dword v120, v119, s[0:3], 0 offen
	ds_read_b32 v121, v118
	s_waitcnt vmcnt(0) lgkmcnt(0)
	v_mul_f32_e32 v120, v120, v121
	s_cbranch_execz .LBB121_674
	s_branch .LBB121_675
.LBB121_673:
                                        ; implicit-def: $vgpr120
.LBB121_674:
	ds_read_b32 v120, v118
.LBB121_675:
	v_cmp_ne_u32_e32 vcc, 11, v0
	s_and_saveexec_b64 s[8:9], vcc
	s_cbranch_execz .LBB121_679
; %bb.676:
	v_mov_b32_e32 v122, 0
	v_add_u32_e32 v121, 0xf4, v1
	v_add3_u32 v122, v1, v122, 4
	s_mov_b64 s[10:11], 0
	v_mov_b32_e32 v123, v0
.LBB121_677:                            ; =>This Inner Loop Header: Depth=1
	buffer_load_dword v124, v122, s[0:3], 0 offen
	ds_read_b32 v125, v121
	v_add_u32_e32 v123, 1, v123
	v_cmp_lt_u32_e32 vcc, 10, v123
	v_add_u32_e32 v121, 4, v121
	v_add_u32_e32 v122, 4, v122
	s_or_b64 s[10:11], vcc, s[10:11]
	s_waitcnt vmcnt(0) lgkmcnt(0)
	v_fmac_f32_e32 v120, v124, v125
	s_andn2_b64 exec, exec, s[10:11]
	s_cbranch_execnz .LBB121_677
; %bb.678:
	s_or_b64 exec, exec, s[10:11]
.LBB121_679:
	s_or_b64 exec, exec, s[8:9]
	v_mov_b32_e32 v121, 0
	ds_read_b32 v121, v121 offset:48
	s_waitcnt lgkmcnt(0)
	v_mul_f32_e32 v120, v120, v121
	buffer_store_dword v120, off, s[0:3], 0 offset:48
.LBB121_680:
	s_or_b64 exec, exec, s[6:7]
	buffer_load_dword v120, off, s[0:3], 0 offset:52
	v_cmp_gt_u32_e32 vcc, 13, v0
	s_waitcnt vmcnt(0)
	ds_write_b32 v118, v120
	s_waitcnt lgkmcnt(0)
	; wave barrier
	s_waitcnt lgkmcnt(0)
	s_and_saveexec_b64 s[6:7], vcc
	s_cbranch_execz .LBB121_690
; %bb.681:
	s_and_b64 vcc, exec, s[4:5]
	s_cbranch_vccnz .LBB121_683
; %bb.682:
	buffer_load_dword v120, v119, s[0:3], 0 offen
	ds_read_b32 v121, v118
	s_waitcnt vmcnt(0) lgkmcnt(0)
	v_mul_f32_e32 v120, v120, v121
	s_cbranch_execz .LBB121_684
	s_branch .LBB121_685
.LBB121_683:
                                        ; implicit-def: $vgpr120
.LBB121_684:
	ds_read_b32 v120, v118
.LBB121_685:
	v_cmp_ne_u32_e32 vcc, 12, v0
	s_and_saveexec_b64 s[8:9], vcc
	s_cbranch_execz .LBB121_689
; %bb.686:
	v_mov_b32_e32 v122, 0
	v_add_u32_e32 v121, 0xf4, v1
	v_add3_u32 v122, v1, v122, 4
	s_mov_b64 s[10:11], 0
	v_mov_b32_e32 v123, v0
.LBB121_687:                            ; =>This Inner Loop Header: Depth=1
	buffer_load_dword v124, v122, s[0:3], 0 offen
	ds_read_b32 v125, v121
	v_add_u32_e32 v123, 1, v123
	v_cmp_lt_u32_e32 vcc, 11, v123
	v_add_u32_e32 v121, 4, v121
	v_add_u32_e32 v122, 4, v122
	s_or_b64 s[10:11], vcc, s[10:11]
	s_waitcnt vmcnt(0) lgkmcnt(0)
	v_fmac_f32_e32 v120, v124, v125
	s_andn2_b64 exec, exec, s[10:11]
	s_cbranch_execnz .LBB121_687
; %bb.688:
	s_or_b64 exec, exec, s[10:11]
.LBB121_689:
	s_or_b64 exec, exec, s[8:9]
	v_mov_b32_e32 v121, 0
	ds_read_b32 v121, v121 offset:52
	s_waitcnt lgkmcnt(0)
	v_mul_f32_e32 v120, v120, v121
	buffer_store_dword v120, off, s[0:3], 0 offset:52
.LBB121_690:
	s_or_b64 exec, exec, s[6:7]
	buffer_load_dword v120, off, s[0:3], 0 offset:56
	v_cmp_gt_u32_e32 vcc, 14, v0
	s_waitcnt vmcnt(0)
	ds_write_b32 v118, v120
	s_waitcnt lgkmcnt(0)
	; wave barrier
	s_waitcnt lgkmcnt(0)
	s_and_saveexec_b64 s[6:7], vcc
	s_cbranch_execz .LBB121_700
; %bb.691:
	s_and_b64 vcc, exec, s[4:5]
	s_cbranch_vccnz .LBB121_693
; %bb.692:
	buffer_load_dword v120, v119, s[0:3], 0 offen
	ds_read_b32 v121, v118
	s_waitcnt vmcnt(0) lgkmcnt(0)
	v_mul_f32_e32 v120, v120, v121
	s_cbranch_execz .LBB121_694
	s_branch .LBB121_695
.LBB121_693:
                                        ; implicit-def: $vgpr120
.LBB121_694:
	ds_read_b32 v120, v118
.LBB121_695:
	v_cmp_ne_u32_e32 vcc, 13, v0
	s_and_saveexec_b64 s[8:9], vcc
	s_cbranch_execz .LBB121_699
; %bb.696:
	v_mov_b32_e32 v122, 0
	v_add_u32_e32 v121, 0xf4, v1
	v_add3_u32 v122, v1, v122, 4
	s_mov_b64 s[10:11], 0
	v_mov_b32_e32 v123, v0
.LBB121_697:                            ; =>This Inner Loop Header: Depth=1
	buffer_load_dword v124, v122, s[0:3], 0 offen
	ds_read_b32 v125, v121
	v_add_u32_e32 v123, 1, v123
	v_cmp_lt_u32_e32 vcc, 12, v123
	v_add_u32_e32 v121, 4, v121
	v_add_u32_e32 v122, 4, v122
	s_or_b64 s[10:11], vcc, s[10:11]
	s_waitcnt vmcnt(0) lgkmcnt(0)
	v_fmac_f32_e32 v120, v124, v125
	s_andn2_b64 exec, exec, s[10:11]
	s_cbranch_execnz .LBB121_697
; %bb.698:
	s_or_b64 exec, exec, s[10:11]
.LBB121_699:
	s_or_b64 exec, exec, s[8:9]
	v_mov_b32_e32 v121, 0
	ds_read_b32 v121, v121 offset:56
	s_waitcnt lgkmcnt(0)
	v_mul_f32_e32 v120, v120, v121
	buffer_store_dword v120, off, s[0:3], 0 offset:56
.LBB121_700:
	s_or_b64 exec, exec, s[6:7]
	buffer_load_dword v120, off, s[0:3], 0 offset:60
	v_cmp_gt_u32_e32 vcc, 15, v0
	s_waitcnt vmcnt(0)
	ds_write_b32 v118, v120
	s_waitcnt lgkmcnt(0)
	; wave barrier
	s_waitcnt lgkmcnt(0)
	s_and_saveexec_b64 s[6:7], vcc
	s_cbranch_execz .LBB121_710
; %bb.701:
	s_and_b64 vcc, exec, s[4:5]
	s_cbranch_vccnz .LBB121_703
; %bb.702:
	buffer_load_dword v120, v119, s[0:3], 0 offen
	ds_read_b32 v121, v118
	s_waitcnt vmcnt(0) lgkmcnt(0)
	v_mul_f32_e32 v120, v120, v121
	s_cbranch_execz .LBB121_704
	s_branch .LBB121_705
.LBB121_703:
                                        ; implicit-def: $vgpr120
.LBB121_704:
	ds_read_b32 v120, v118
.LBB121_705:
	v_cmp_ne_u32_e32 vcc, 14, v0
	s_and_saveexec_b64 s[8:9], vcc
	s_cbranch_execz .LBB121_709
; %bb.706:
	v_mov_b32_e32 v122, 0
	v_add_u32_e32 v121, 0xf4, v1
	v_add3_u32 v122, v1, v122, 4
	s_mov_b64 s[10:11], 0
	v_mov_b32_e32 v123, v0
.LBB121_707:                            ; =>This Inner Loop Header: Depth=1
	buffer_load_dword v124, v122, s[0:3], 0 offen
	ds_read_b32 v125, v121
	v_add_u32_e32 v123, 1, v123
	v_cmp_lt_u32_e32 vcc, 13, v123
	v_add_u32_e32 v121, 4, v121
	v_add_u32_e32 v122, 4, v122
	s_or_b64 s[10:11], vcc, s[10:11]
	s_waitcnt vmcnt(0) lgkmcnt(0)
	v_fmac_f32_e32 v120, v124, v125
	s_andn2_b64 exec, exec, s[10:11]
	s_cbranch_execnz .LBB121_707
; %bb.708:
	s_or_b64 exec, exec, s[10:11]
.LBB121_709:
	s_or_b64 exec, exec, s[8:9]
	v_mov_b32_e32 v121, 0
	ds_read_b32 v121, v121 offset:60
	s_waitcnt lgkmcnt(0)
	v_mul_f32_e32 v120, v120, v121
	buffer_store_dword v120, off, s[0:3], 0 offset:60
.LBB121_710:
	s_or_b64 exec, exec, s[6:7]
	buffer_load_dword v120, off, s[0:3], 0 offset:64
	v_cmp_gt_u32_e32 vcc, 16, v0
	s_waitcnt vmcnt(0)
	ds_write_b32 v118, v120
	s_waitcnt lgkmcnt(0)
	; wave barrier
	s_waitcnt lgkmcnt(0)
	s_and_saveexec_b64 s[6:7], vcc
	s_cbranch_execz .LBB121_720
; %bb.711:
	s_and_b64 vcc, exec, s[4:5]
	s_cbranch_vccnz .LBB121_713
; %bb.712:
	buffer_load_dword v120, v119, s[0:3], 0 offen
	ds_read_b32 v121, v118
	s_waitcnt vmcnt(0) lgkmcnt(0)
	v_mul_f32_e32 v120, v120, v121
	s_cbranch_execz .LBB121_714
	s_branch .LBB121_715
.LBB121_713:
                                        ; implicit-def: $vgpr120
.LBB121_714:
	ds_read_b32 v120, v118
.LBB121_715:
	v_cmp_ne_u32_e32 vcc, 15, v0
	s_and_saveexec_b64 s[8:9], vcc
	s_cbranch_execz .LBB121_719
; %bb.716:
	v_mov_b32_e32 v122, 0
	v_add_u32_e32 v121, 0xf4, v1
	v_add3_u32 v122, v1, v122, 4
	s_mov_b64 s[10:11], 0
	v_mov_b32_e32 v123, v0
.LBB121_717:                            ; =>This Inner Loop Header: Depth=1
	buffer_load_dword v124, v122, s[0:3], 0 offen
	ds_read_b32 v125, v121
	v_add_u32_e32 v123, 1, v123
	v_cmp_lt_u32_e32 vcc, 14, v123
	v_add_u32_e32 v121, 4, v121
	v_add_u32_e32 v122, 4, v122
	s_or_b64 s[10:11], vcc, s[10:11]
	s_waitcnt vmcnt(0) lgkmcnt(0)
	v_fmac_f32_e32 v120, v124, v125
	s_andn2_b64 exec, exec, s[10:11]
	s_cbranch_execnz .LBB121_717
; %bb.718:
	s_or_b64 exec, exec, s[10:11]
.LBB121_719:
	s_or_b64 exec, exec, s[8:9]
	v_mov_b32_e32 v121, 0
	ds_read_b32 v121, v121 offset:64
	s_waitcnt lgkmcnt(0)
	v_mul_f32_e32 v120, v120, v121
	buffer_store_dword v120, off, s[0:3], 0 offset:64
.LBB121_720:
	s_or_b64 exec, exec, s[6:7]
	buffer_load_dword v120, off, s[0:3], 0 offset:68
	v_cmp_gt_u32_e32 vcc, 17, v0
	s_waitcnt vmcnt(0)
	ds_write_b32 v118, v120
	s_waitcnt lgkmcnt(0)
	; wave barrier
	s_waitcnt lgkmcnt(0)
	s_and_saveexec_b64 s[6:7], vcc
	s_cbranch_execz .LBB121_730
; %bb.721:
	s_and_b64 vcc, exec, s[4:5]
	s_cbranch_vccnz .LBB121_723
; %bb.722:
	buffer_load_dword v120, v119, s[0:3], 0 offen
	ds_read_b32 v121, v118
	s_waitcnt vmcnt(0) lgkmcnt(0)
	v_mul_f32_e32 v120, v120, v121
	s_cbranch_execz .LBB121_724
	s_branch .LBB121_725
.LBB121_723:
                                        ; implicit-def: $vgpr120
.LBB121_724:
	ds_read_b32 v120, v118
.LBB121_725:
	v_cmp_ne_u32_e32 vcc, 16, v0
	s_and_saveexec_b64 s[8:9], vcc
	s_cbranch_execz .LBB121_729
; %bb.726:
	v_mov_b32_e32 v122, 0
	v_add_u32_e32 v121, 0xf4, v1
	v_add3_u32 v122, v1, v122, 4
	s_mov_b64 s[10:11], 0
	v_mov_b32_e32 v123, v0
.LBB121_727:                            ; =>This Inner Loop Header: Depth=1
	buffer_load_dword v124, v122, s[0:3], 0 offen
	ds_read_b32 v125, v121
	v_add_u32_e32 v123, 1, v123
	v_cmp_lt_u32_e32 vcc, 15, v123
	v_add_u32_e32 v121, 4, v121
	v_add_u32_e32 v122, 4, v122
	s_or_b64 s[10:11], vcc, s[10:11]
	s_waitcnt vmcnt(0) lgkmcnt(0)
	v_fmac_f32_e32 v120, v124, v125
	s_andn2_b64 exec, exec, s[10:11]
	s_cbranch_execnz .LBB121_727
; %bb.728:
	s_or_b64 exec, exec, s[10:11]
.LBB121_729:
	s_or_b64 exec, exec, s[8:9]
	v_mov_b32_e32 v121, 0
	ds_read_b32 v121, v121 offset:68
	s_waitcnt lgkmcnt(0)
	v_mul_f32_e32 v120, v120, v121
	buffer_store_dword v120, off, s[0:3], 0 offset:68
.LBB121_730:
	s_or_b64 exec, exec, s[6:7]
	buffer_load_dword v120, off, s[0:3], 0 offset:72
	v_cmp_gt_u32_e32 vcc, 18, v0
	s_waitcnt vmcnt(0)
	ds_write_b32 v118, v120
	s_waitcnt lgkmcnt(0)
	; wave barrier
	s_waitcnt lgkmcnt(0)
	s_and_saveexec_b64 s[6:7], vcc
	s_cbranch_execz .LBB121_740
; %bb.731:
	s_and_b64 vcc, exec, s[4:5]
	s_cbranch_vccnz .LBB121_733
; %bb.732:
	buffer_load_dword v120, v119, s[0:3], 0 offen
	ds_read_b32 v121, v118
	s_waitcnt vmcnt(0) lgkmcnt(0)
	v_mul_f32_e32 v120, v120, v121
	s_cbranch_execz .LBB121_734
	s_branch .LBB121_735
.LBB121_733:
                                        ; implicit-def: $vgpr120
.LBB121_734:
	ds_read_b32 v120, v118
.LBB121_735:
	v_cmp_ne_u32_e32 vcc, 17, v0
	s_and_saveexec_b64 s[8:9], vcc
	s_cbranch_execz .LBB121_739
; %bb.736:
	v_mov_b32_e32 v122, 0
	v_add_u32_e32 v121, 0xf4, v1
	v_add3_u32 v122, v1, v122, 4
	s_mov_b64 s[10:11], 0
	v_mov_b32_e32 v123, v0
.LBB121_737:                            ; =>This Inner Loop Header: Depth=1
	buffer_load_dword v124, v122, s[0:3], 0 offen
	ds_read_b32 v125, v121
	v_add_u32_e32 v123, 1, v123
	v_cmp_lt_u32_e32 vcc, 16, v123
	v_add_u32_e32 v121, 4, v121
	v_add_u32_e32 v122, 4, v122
	s_or_b64 s[10:11], vcc, s[10:11]
	s_waitcnt vmcnt(0) lgkmcnt(0)
	v_fmac_f32_e32 v120, v124, v125
	s_andn2_b64 exec, exec, s[10:11]
	s_cbranch_execnz .LBB121_737
; %bb.738:
	s_or_b64 exec, exec, s[10:11]
.LBB121_739:
	s_or_b64 exec, exec, s[8:9]
	v_mov_b32_e32 v121, 0
	ds_read_b32 v121, v121 offset:72
	s_waitcnt lgkmcnt(0)
	v_mul_f32_e32 v120, v120, v121
	buffer_store_dword v120, off, s[0:3], 0 offset:72
.LBB121_740:
	s_or_b64 exec, exec, s[6:7]
	buffer_load_dword v120, off, s[0:3], 0 offset:76
	v_cmp_gt_u32_e32 vcc, 19, v0
	s_waitcnt vmcnt(0)
	ds_write_b32 v118, v120
	s_waitcnt lgkmcnt(0)
	; wave barrier
	s_waitcnt lgkmcnt(0)
	s_and_saveexec_b64 s[6:7], vcc
	s_cbranch_execz .LBB121_750
; %bb.741:
	s_and_b64 vcc, exec, s[4:5]
	s_cbranch_vccnz .LBB121_743
; %bb.742:
	buffer_load_dword v120, v119, s[0:3], 0 offen
	ds_read_b32 v121, v118
	s_waitcnt vmcnt(0) lgkmcnt(0)
	v_mul_f32_e32 v120, v120, v121
	s_cbranch_execz .LBB121_744
	s_branch .LBB121_745
.LBB121_743:
                                        ; implicit-def: $vgpr120
.LBB121_744:
	ds_read_b32 v120, v118
.LBB121_745:
	v_cmp_ne_u32_e32 vcc, 18, v0
	s_and_saveexec_b64 s[8:9], vcc
	s_cbranch_execz .LBB121_749
; %bb.746:
	v_mov_b32_e32 v122, 0
	v_add_u32_e32 v121, 0xf4, v1
	v_add3_u32 v122, v1, v122, 4
	s_mov_b64 s[10:11], 0
	v_mov_b32_e32 v123, v0
.LBB121_747:                            ; =>This Inner Loop Header: Depth=1
	buffer_load_dword v124, v122, s[0:3], 0 offen
	ds_read_b32 v125, v121
	v_add_u32_e32 v123, 1, v123
	v_cmp_lt_u32_e32 vcc, 17, v123
	v_add_u32_e32 v121, 4, v121
	v_add_u32_e32 v122, 4, v122
	s_or_b64 s[10:11], vcc, s[10:11]
	s_waitcnt vmcnt(0) lgkmcnt(0)
	v_fmac_f32_e32 v120, v124, v125
	s_andn2_b64 exec, exec, s[10:11]
	s_cbranch_execnz .LBB121_747
; %bb.748:
	s_or_b64 exec, exec, s[10:11]
.LBB121_749:
	s_or_b64 exec, exec, s[8:9]
	v_mov_b32_e32 v121, 0
	ds_read_b32 v121, v121 offset:76
	s_waitcnt lgkmcnt(0)
	v_mul_f32_e32 v120, v120, v121
	buffer_store_dword v120, off, s[0:3], 0 offset:76
.LBB121_750:
	s_or_b64 exec, exec, s[6:7]
	buffer_load_dword v120, off, s[0:3], 0 offset:80
	v_cmp_gt_u32_e32 vcc, 20, v0
	s_waitcnt vmcnt(0)
	ds_write_b32 v118, v120
	s_waitcnt lgkmcnt(0)
	; wave barrier
	s_waitcnt lgkmcnt(0)
	s_and_saveexec_b64 s[6:7], vcc
	s_cbranch_execz .LBB121_760
; %bb.751:
	s_and_b64 vcc, exec, s[4:5]
	s_cbranch_vccnz .LBB121_753
; %bb.752:
	buffer_load_dword v120, v119, s[0:3], 0 offen
	ds_read_b32 v121, v118
	s_waitcnt vmcnt(0) lgkmcnt(0)
	v_mul_f32_e32 v120, v120, v121
	s_cbranch_execz .LBB121_754
	s_branch .LBB121_755
.LBB121_753:
                                        ; implicit-def: $vgpr120
.LBB121_754:
	ds_read_b32 v120, v118
.LBB121_755:
	v_cmp_ne_u32_e32 vcc, 19, v0
	s_and_saveexec_b64 s[8:9], vcc
	s_cbranch_execz .LBB121_759
; %bb.756:
	v_mov_b32_e32 v122, 0
	v_add_u32_e32 v121, 0xf4, v1
	v_add3_u32 v122, v1, v122, 4
	s_mov_b64 s[10:11], 0
	v_mov_b32_e32 v123, v0
.LBB121_757:                            ; =>This Inner Loop Header: Depth=1
	buffer_load_dword v124, v122, s[0:3], 0 offen
	ds_read_b32 v125, v121
	v_add_u32_e32 v123, 1, v123
	v_cmp_lt_u32_e32 vcc, 18, v123
	v_add_u32_e32 v121, 4, v121
	v_add_u32_e32 v122, 4, v122
	s_or_b64 s[10:11], vcc, s[10:11]
	s_waitcnt vmcnt(0) lgkmcnt(0)
	v_fmac_f32_e32 v120, v124, v125
	s_andn2_b64 exec, exec, s[10:11]
	s_cbranch_execnz .LBB121_757
; %bb.758:
	s_or_b64 exec, exec, s[10:11]
.LBB121_759:
	s_or_b64 exec, exec, s[8:9]
	v_mov_b32_e32 v121, 0
	ds_read_b32 v121, v121 offset:80
	s_waitcnt lgkmcnt(0)
	v_mul_f32_e32 v120, v120, v121
	buffer_store_dword v120, off, s[0:3], 0 offset:80
.LBB121_760:
	s_or_b64 exec, exec, s[6:7]
	buffer_load_dword v120, off, s[0:3], 0 offset:84
	v_cmp_gt_u32_e32 vcc, 21, v0
	s_waitcnt vmcnt(0)
	ds_write_b32 v118, v120
	s_waitcnt lgkmcnt(0)
	; wave barrier
	s_waitcnt lgkmcnt(0)
	s_and_saveexec_b64 s[6:7], vcc
	s_cbranch_execz .LBB121_770
; %bb.761:
	s_and_b64 vcc, exec, s[4:5]
	s_cbranch_vccnz .LBB121_763
; %bb.762:
	buffer_load_dword v120, v119, s[0:3], 0 offen
	ds_read_b32 v121, v118
	s_waitcnt vmcnt(0) lgkmcnt(0)
	v_mul_f32_e32 v120, v120, v121
	s_cbranch_execz .LBB121_764
	s_branch .LBB121_765
.LBB121_763:
                                        ; implicit-def: $vgpr120
.LBB121_764:
	ds_read_b32 v120, v118
.LBB121_765:
	v_cmp_ne_u32_e32 vcc, 20, v0
	s_and_saveexec_b64 s[8:9], vcc
	s_cbranch_execz .LBB121_769
; %bb.766:
	v_mov_b32_e32 v122, 0
	v_add_u32_e32 v121, 0xf4, v1
	v_add3_u32 v122, v1, v122, 4
	s_mov_b64 s[10:11], 0
	v_mov_b32_e32 v123, v0
.LBB121_767:                            ; =>This Inner Loop Header: Depth=1
	buffer_load_dword v124, v122, s[0:3], 0 offen
	ds_read_b32 v125, v121
	v_add_u32_e32 v123, 1, v123
	v_cmp_lt_u32_e32 vcc, 19, v123
	v_add_u32_e32 v121, 4, v121
	v_add_u32_e32 v122, 4, v122
	s_or_b64 s[10:11], vcc, s[10:11]
	s_waitcnt vmcnt(0) lgkmcnt(0)
	v_fmac_f32_e32 v120, v124, v125
	s_andn2_b64 exec, exec, s[10:11]
	s_cbranch_execnz .LBB121_767
; %bb.768:
	s_or_b64 exec, exec, s[10:11]
.LBB121_769:
	s_or_b64 exec, exec, s[8:9]
	v_mov_b32_e32 v121, 0
	ds_read_b32 v121, v121 offset:84
	s_waitcnt lgkmcnt(0)
	v_mul_f32_e32 v120, v120, v121
	buffer_store_dword v120, off, s[0:3], 0 offset:84
.LBB121_770:
	s_or_b64 exec, exec, s[6:7]
	buffer_load_dword v120, off, s[0:3], 0 offset:88
	v_cmp_gt_u32_e32 vcc, 22, v0
	s_waitcnt vmcnt(0)
	ds_write_b32 v118, v120
	s_waitcnt lgkmcnt(0)
	; wave barrier
	s_waitcnt lgkmcnt(0)
	s_and_saveexec_b64 s[6:7], vcc
	s_cbranch_execz .LBB121_780
; %bb.771:
	s_and_b64 vcc, exec, s[4:5]
	s_cbranch_vccnz .LBB121_773
; %bb.772:
	buffer_load_dword v120, v119, s[0:3], 0 offen
	ds_read_b32 v121, v118
	s_waitcnt vmcnt(0) lgkmcnt(0)
	v_mul_f32_e32 v120, v120, v121
	s_cbranch_execz .LBB121_774
	s_branch .LBB121_775
.LBB121_773:
                                        ; implicit-def: $vgpr120
.LBB121_774:
	ds_read_b32 v120, v118
.LBB121_775:
	v_cmp_ne_u32_e32 vcc, 21, v0
	s_and_saveexec_b64 s[8:9], vcc
	s_cbranch_execz .LBB121_779
; %bb.776:
	v_mov_b32_e32 v122, 0
	v_add_u32_e32 v121, 0xf4, v1
	v_add3_u32 v122, v1, v122, 4
	s_mov_b64 s[10:11], 0
	v_mov_b32_e32 v123, v0
.LBB121_777:                            ; =>This Inner Loop Header: Depth=1
	buffer_load_dword v124, v122, s[0:3], 0 offen
	ds_read_b32 v125, v121
	v_add_u32_e32 v123, 1, v123
	v_cmp_lt_u32_e32 vcc, 20, v123
	v_add_u32_e32 v121, 4, v121
	v_add_u32_e32 v122, 4, v122
	s_or_b64 s[10:11], vcc, s[10:11]
	s_waitcnt vmcnt(0) lgkmcnt(0)
	v_fmac_f32_e32 v120, v124, v125
	s_andn2_b64 exec, exec, s[10:11]
	s_cbranch_execnz .LBB121_777
; %bb.778:
	s_or_b64 exec, exec, s[10:11]
.LBB121_779:
	s_or_b64 exec, exec, s[8:9]
	v_mov_b32_e32 v121, 0
	ds_read_b32 v121, v121 offset:88
	s_waitcnt lgkmcnt(0)
	v_mul_f32_e32 v120, v120, v121
	buffer_store_dword v120, off, s[0:3], 0 offset:88
.LBB121_780:
	s_or_b64 exec, exec, s[6:7]
	buffer_load_dword v120, off, s[0:3], 0 offset:92
	v_cmp_gt_u32_e32 vcc, 23, v0
	s_waitcnt vmcnt(0)
	ds_write_b32 v118, v120
	s_waitcnt lgkmcnt(0)
	; wave barrier
	s_waitcnt lgkmcnt(0)
	s_and_saveexec_b64 s[6:7], vcc
	s_cbranch_execz .LBB121_790
; %bb.781:
	s_and_b64 vcc, exec, s[4:5]
	s_cbranch_vccnz .LBB121_783
; %bb.782:
	buffer_load_dword v120, v119, s[0:3], 0 offen
	ds_read_b32 v121, v118
	s_waitcnt vmcnt(0) lgkmcnt(0)
	v_mul_f32_e32 v120, v120, v121
	s_cbranch_execz .LBB121_784
	s_branch .LBB121_785
.LBB121_783:
                                        ; implicit-def: $vgpr120
.LBB121_784:
	ds_read_b32 v120, v118
.LBB121_785:
	v_cmp_ne_u32_e32 vcc, 22, v0
	s_and_saveexec_b64 s[8:9], vcc
	s_cbranch_execz .LBB121_789
; %bb.786:
	v_mov_b32_e32 v122, 0
	v_add_u32_e32 v121, 0xf4, v1
	v_add3_u32 v122, v1, v122, 4
	s_mov_b64 s[10:11], 0
	v_mov_b32_e32 v123, v0
.LBB121_787:                            ; =>This Inner Loop Header: Depth=1
	buffer_load_dword v124, v122, s[0:3], 0 offen
	ds_read_b32 v125, v121
	v_add_u32_e32 v123, 1, v123
	v_cmp_lt_u32_e32 vcc, 21, v123
	v_add_u32_e32 v121, 4, v121
	v_add_u32_e32 v122, 4, v122
	s_or_b64 s[10:11], vcc, s[10:11]
	s_waitcnt vmcnt(0) lgkmcnt(0)
	v_fmac_f32_e32 v120, v124, v125
	s_andn2_b64 exec, exec, s[10:11]
	s_cbranch_execnz .LBB121_787
; %bb.788:
	s_or_b64 exec, exec, s[10:11]
.LBB121_789:
	s_or_b64 exec, exec, s[8:9]
	v_mov_b32_e32 v121, 0
	ds_read_b32 v121, v121 offset:92
	s_waitcnt lgkmcnt(0)
	v_mul_f32_e32 v120, v120, v121
	buffer_store_dword v120, off, s[0:3], 0 offset:92
.LBB121_790:
	s_or_b64 exec, exec, s[6:7]
	buffer_load_dword v120, off, s[0:3], 0 offset:96
	v_cmp_gt_u32_e32 vcc, 24, v0
	s_waitcnt vmcnt(0)
	ds_write_b32 v118, v120
	s_waitcnt lgkmcnt(0)
	; wave barrier
	s_waitcnt lgkmcnt(0)
	s_and_saveexec_b64 s[6:7], vcc
	s_cbranch_execz .LBB121_800
; %bb.791:
	s_and_b64 vcc, exec, s[4:5]
	s_cbranch_vccnz .LBB121_793
; %bb.792:
	buffer_load_dword v120, v119, s[0:3], 0 offen
	ds_read_b32 v121, v118
	s_waitcnt vmcnt(0) lgkmcnt(0)
	v_mul_f32_e32 v120, v120, v121
	s_cbranch_execz .LBB121_794
	s_branch .LBB121_795
.LBB121_793:
                                        ; implicit-def: $vgpr120
.LBB121_794:
	ds_read_b32 v120, v118
.LBB121_795:
	v_cmp_ne_u32_e32 vcc, 23, v0
	s_and_saveexec_b64 s[8:9], vcc
	s_cbranch_execz .LBB121_799
; %bb.796:
	v_mov_b32_e32 v122, 0
	v_add_u32_e32 v121, 0xf4, v1
	v_add3_u32 v122, v1, v122, 4
	s_mov_b64 s[10:11], 0
	v_mov_b32_e32 v123, v0
.LBB121_797:                            ; =>This Inner Loop Header: Depth=1
	buffer_load_dword v124, v122, s[0:3], 0 offen
	ds_read_b32 v125, v121
	v_add_u32_e32 v123, 1, v123
	v_cmp_lt_u32_e32 vcc, 22, v123
	v_add_u32_e32 v121, 4, v121
	v_add_u32_e32 v122, 4, v122
	s_or_b64 s[10:11], vcc, s[10:11]
	s_waitcnt vmcnt(0) lgkmcnt(0)
	v_fmac_f32_e32 v120, v124, v125
	s_andn2_b64 exec, exec, s[10:11]
	s_cbranch_execnz .LBB121_797
; %bb.798:
	s_or_b64 exec, exec, s[10:11]
.LBB121_799:
	s_or_b64 exec, exec, s[8:9]
	v_mov_b32_e32 v121, 0
	ds_read_b32 v121, v121 offset:96
	s_waitcnt lgkmcnt(0)
	v_mul_f32_e32 v120, v120, v121
	buffer_store_dword v120, off, s[0:3], 0 offset:96
.LBB121_800:
	s_or_b64 exec, exec, s[6:7]
	buffer_load_dword v120, off, s[0:3], 0 offset:100
	v_cmp_gt_u32_e32 vcc, 25, v0
	s_waitcnt vmcnt(0)
	ds_write_b32 v118, v120
	s_waitcnt lgkmcnt(0)
	; wave barrier
	s_waitcnt lgkmcnt(0)
	s_and_saveexec_b64 s[6:7], vcc
	s_cbranch_execz .LBB121_810
; %bb.801:
	s_and_b64 vcc, exec, s[4:5]
	s_cbranch_vccnz .LBB121_803
; %bb.802:
	buffer_load_dword v120, v119, s[0:3], 0 offen
	ds_read_b32 v121, v118
	s_waitcnt vmcnt(0) lgkmcnt(0)
	v_mul_f32_e32 v120, v120, v121
	s_cbranch_execz .LBB121_804
	s_branch .LBB121_805
.LBB121_803:
                                        ; implicit-def: $vgpr120
.LBB121_804:
	ds_read_b32 v120, v118
.LBB121_805:
	v_cmp_ne_u32_e32 vcc, 24, v0
	s_and_saveexec_b64 s[8:9], vcc
	s_cbranch_execz .LBB121_809
; %bb.806:
	v_mov_b32_e32 v122, 0
	v_add_u32_e32 v121, 0xf4, v1
	v_add3_u32 v122, v1, v122, 4
	s_mov_b64 s[10:11], 0
	v_mov_b32_e32 v123, v0
.LBB121_807:                            ; =>This Inner Loop Header: Depth=1
	buffer_load_dword v124, v122, s[0:3], 0 offen
	ds_read_b32 v125, v121
	v_add_u32_e32 v123, 1, v123
	v_cmp_lt_u32_e32 vcc, 23, v123
	v_add_u32_e32 v121, 4, v121
	v_add_u32_e32 v122, 4, v122
	s_or_b64 s[10:11], vcc, s[10:11]
	s_waitcnt vmcnt(0) lgkmcnt(0)
	v_fmac_f32_e32 v120, v124, v125
	s_andn2_b64 exec, exec, s[10:11]
	s_cbranch_execnz .LBB121_807
; %bb.808:
	s_or_b64 exec, exec, s[10:11]
.LBB121_809:
	s_or_b64 exec, exec, s[8:9]
	v_mov_b32_e32 v121, 0
	ds_read_b32 v121, v121 offset:100
	s_waitcnt lgkmcnt(0)
	v_mul_f32_e32 v120, v120, v121
	buffer_store_dword v120, off, s[0:3], 0 offset:100
.LBB121_810:
	s_or_b64 exec, exec, s[6:7]
	buffer_load_dword v120, off, s[0:3], 0 offset:104
	v_cmp_gt_u32_e32 vcc, 26, v0
	s_waitcnt vmcnt(0)
	ds_write_b32 v118, v120
	s_waitcnt lgkmcnt(0)
	; wave barrier
	s_waitcnt lgkmcnt(0)
	s_and_saveexec_b64 s[6:7], vcc
	s_cbranch_execz .LBB121_820
; %bb.811:
	s_and_b64 vcc, exec, s[4:5]
	s_cbranch_vccnz .LBB121_813
; %bb.812:
	buffer_load_dword v120, v119, s[0:3], 0 offen
	ds_read_b32 v121, v118
	s_waitcnt vmcnt(0) lgkmcnt(0)
	v_mul_f32_e32 v120, v120, v121
	s_cbranch_execz .LBB121_814
	s_branch .LBB121_815
.LBB121_813:
                                        ; implicit-def: $vgpr120
.LBB121_814:
	ds_read_b32 v120, v118
.LBB121_815:
	v_cmp_ne_u32_e32 vcc, 25, v0
	s_and_saveexec_b64 s[8:9], vcc
	s_cbranch_execz .LBB121_819
; %bb.816:
	v_mov_b32_e32 v122, 0
	v_add_u32_e32 v121, 0xf4, v1
	v_add3_u32 v122, v1, v122, 4
	s_mov_b64 s[10:11], 0
	v_mov_b32_e32 v123, v0
.LBB121_817:                            ; =>This Inner Loop Header: Depth=1
	buffer_load_dword v124, v122, s[0:3], 0 offen
	ds_read_b32 v125, v121
	v_add_u32_e32 v123, 1, v123
	v_cmp_lt_u32_e32 vcc, 24, v123
	v_add_u32_e32 v121, 4, v121
	v_add_u32_e32 v122, 4, v122
	s_or_b64 s[10:11], vcc, s[10:11]
	s_waitcnt vmcnt(0) lgkmcnt(0)
	v_fmac_f32_e32 v120, v124, v125
	s_andn2_b64 exec, exec, s[10:11]
	s_cbranch_execnz .LBB121_817
; %bb.818:
	s_or_b64 exec, exec, s[10:11]
.LBB121_819:
	s_or_b64 exec, exec, s[8:9]
	v_mov_b32_e32 v121, 0
	ds_read_b32 v121, v121 offset:104
	s_waitcnt lgkmcnt(0)
	v_mul_f32_e32 v120, v120, v121
	buffer_store_dword v120, off, s[0:3], 0 offset:104
.LBB121_820:
	s_or_b64 exec, exec, s[6:7]
	buffer_load_dword v120, off, s[0:3], 0 offset:108
	v_cmp_gt_u32_e32 vcc, 27, v0
	s_waitcnt vmcnt(0)
	ds_write_b32 v118, v120
	s_waitcnt lgkmcnt(0)
	; wave barrier
	s_waitcnt lgkmcnt(0)
	s_and_saveexec_b64 s[6:7], vcc
	s_cbranch_execz .LBB121_830
; %bb.821:
	s_and_b64 vcc, exec, s[4:5]
	s_cbranch_vccnz .LBB121_823
; %bb.822:
	buffer_load_dword v120, v119, s[0:3], 0 offen
	ds_read_b32 v121, v118
	s_waitcnt vmcnt(0) lgkmcnt(0)
	v_mul_f32_e32 v120, v120, v121
	s_cbranch_execz .LBB121_824
	s_branch .LBB121_825
.LBB121_823:
                                        ; implicit-def: $vgpr120
.LBB121_824:
	ds_read_b32 v120, v118
.LBB121_825:
	v_cmp_ne_u32_e32 vcc, 26, v0
	s_and_saveexec_b64 s[8:9], vcc
	s_cbranch_execz .LBB121_829
; %bb.826:
	v_mov_b32_e32 v122, 0
	v_add_u32_e32 v121, 0xf4, v1
	v_add3_u32 v122, v1, v122, 4
	s_mov_b64 s[10:11], 0
	v_mov_b32_e32 v123, v0
.LBB121_827:                            ; =>This Inner Loop Header: Depth=1
	buffer_load_dword v124, v122, s[0:3], 0 offen
	ds_read_b32 v125, v121
	v_add_u32_e32 v123, 1, v123
	v_cmp_lt_u32_e32 vcc, 25, v123
	v_add_u32_e32 v121, 4, v121
	v_add_u32_e32 v122, 4, v122
	s_or_b64 s[10:11], vcc, s[10:11]
	s_waitcnt vmcnt(0) lgkmcnt(0)
	v_fmac_f32_e32 v120, v124, v125
	s_andn2_b64 exec, exec, s[10:11]
	s_cbranch_execnz .LBB121_827
; %bb.828:
	s_or_b64 exec, exec, s[10:11]
.LBB121_829:
	s_or_b64 exec, exec, s[8:9]
	v_mov_b32_e32 v121, 0
	ds_read_b32 v121, v121 offset:108
	s_waitcnt lgkmcnt(0)
	v_mul_f32_e32 v120, v120, v121
	buffer_store_dword v120, off, s[0:3], 0 offset:108
.LBB121_830:
	s_or_b64 exec, exec, s[6:7]
	buffer_load_dword v120, off, s[0:3], 0 offset:112
	v_cmp_gt_u32_e32 vcc, 28, v0
	s_waitcnt vmcnt(0)
	ds_write_b32 v118, v120
	s_waitcnt lgkmcnt(0)
	; wave barrier
	s_waitcnt lgkmcnt(0)
	s_and_saveexec_b64 s[6:7], vcc
	s_cbranch_execz .LBB121_840
; %bb.831:
	s_and_b64 vcc, exec, s[4:5]
	s_cbranch_vccnz .LBB121_833
; %bb.832:
	buffer_load_dword v120, v119, s[0:3], 0 offen
	ds_read_b32 v121, v118
	s_waitcnt vmcnt(0) lgkmcnt(0)
	v_mul_f32_e32 v120, v120, v121
	s_cbranch_execz .LBB121_834
	s_branch .LBB121_835
.LBB121_833:
                                        ; implicit-def: $vgpr120
.LBB121_834:
	ds_read_b32 v120, v118
.LBB121_835:
	v_cmp_ne_u32_e32 vcc, 27, v0
	s_and_saveexec_b64 s[8:9], vcc
	s_cbranch_execz .LBB121_839
; %bb.836:
	v_mov_b32_e32 v122, 0
	v_add_u32_e32 v121, 0xf4, v1
	v_add3_u32 v122, v1, v122, 4
	s_mov_b64 s[10:11], 0
	v_mov_b32_e32 v123, v0
.LBB121_837:                            ; =>This Inner Loop Header: Depth=1
	buffer_load_dword v124, v122, s[0:3], 0 offen
	ds_read_b32 v125, v121
	v_add_u32_e32 v123, 1, v123
	v_cmp_lt_u32_e32 vcc, 26, v123
	v_add_u32_e32 v121, 4, v121
	v_add_u32_e32 v122, 4, v122
	s_or_b64 s[10:11], vcc, s[10:11]
	s_waitcnt vmcnt(0) lgkmcnt(0)
	v_fmac_f32_e32 v120, v124, v125
	s_andn2_b64 exec, exec, s[10:11]
	s_cbranch_execnz .LBB121_837
; %bb.838:
	s_or_b64 exec, exec, s[10:11]
.LBB121_839:
	s_or_b64 exec, exec, s[8:9]
	v_mov_b32_e32 v121, 0
	ds_read_b32 v121, v121 offset:112
	s_waitcnt lgkmcnt(0)
	v_mul_f32_e32 v120, v120, v121
	buffer_store_dword v120, off, s[0:3], 0 offset:112
.LBB121_840:
	s_or_b64 exec, exec, s[6:7]
	buffer_load_dword v120, off, s[0:3], 0 offset:116
	v_cmp_gt_u32_e32 vcc, 29, v0
	s_waitcnt vmcnt(0)
	ds_write_b32 v118, v120
	s_waitcnt lgkmcnt(0)
	; wave barrier
	s_waitcnt lgkmcnt(0)
	s_and_saveexec_b64 s[6:7], vcc
	s_cbranch_execz .LBB121_850
; %bb.841:
	s_and_b64 vcc, exec, s[4:5]
	s_cbranch_vccnz .LBB121_843
; %bb.842:
	buffer_load_dword v120, v119, s[0:3], 0 offen
	ds_read_b32 v121, v118
	s_waitcnt vmcnt(0) lgkmcnt(0)
	v_mul_f32_e32 v120, v120, v121
	s_cbranch_execz .LBB121_844
	s_branch .LBB121_845
.LBB121_843:
                                        ; implicit-def: $vgpr120
.LBB121_844:
	ds_read_b32 v120, v118
.LBB121_845:
	v_cmp_ne_u32_e32 vcc, 28, v0
	s_and_saveexec_b64 s[8:9], vcc
	s_cbranch_execz .LBB121_849
; %bb.846:
	v_mov_b32_e32 v122, 0
	v_add_u32_e32 v121, 0xf4, v1
	v_add3_u32 v122, v1, v122, 4
	s_mov_b64 s[10:11], 0
	v_mov_b32_e32 v123, v0
.LBB121_847:                            ; =>This Inner Loop Header: Depth=1
	buffer_load_dword v124, v122, s[0:3], 0 offen
	ds_read_b32 v125, v121
	v_add_u32_e32 v123, 1, v123
	v_cmp_lt_u32_e32 vcc, 27, v123
	v_add_u32_e32 v121, 4, v121
	v_add_u32_e32 v122, 4, v122
	s_or_b64 s[10:11], vcc, s[10:11]
	s_waitcnt vmcnt(0) lgkmcnt(0)
	v_fmac_f32_e32 v120, v124, v125
	s_andn2_b64 exec, exec, s[10:11]
	s_cbranch_execnz .LBB121_847
; %bb.848:
	s_or_b64 exec, exec, s[10:11]
.LBB121_849:
	s_or_b64 exec, exec, s[8:9]
	v_mov_b32_e32 v121, 0
	ds_read_b32 v121, v121 offset:116
	s_waitcnt lgkmcnt(0)
	v_mul_f32_e32 v120, v120, v121
	buffer_store_dword v120, off, s[0:3], 0 offset:116
.LBB121_850:
	s_or_b64 exec, exec, s[6:7]
	buffer_load_dword v120, off, s[0:3], 0 offset:120
	v_cmp_gt_u32_e32 vcc, 30, v0
	s_waitcnt vmcnt(0)
	ds_write_b32 v118, v120
	s_waitcnt lgkmcnt(0)
	; wave barrier
	s_waitcnt lgkmcnt(0)
	s_and_saveexec_b64 s[6:7], vcc
	s_cbranch_execz .LBB121_860
; %bb.851:
	s_and_b64 vcc, exec, s[4:5]
	s_cbranch_vccnz .LBB121_853
; %bb.852:
	buffer_load_dword v120, v119, s[0:3], 0 offen
	ds_read_b32 v121, v118
	s_waitcnt vmcnt(0) lgkmcnt(0)
	v_mul_f32_e32 v120, v120, v121
	s_cbranch_execz .LBB121_854
	s_branch .LBB121_855
.LBB121_853:
                                        ; implicit-def: $vgpr120
.LBB121_854:
	ds_read_b32 v120, v118
.LBB121_855:
	v_cmp_ne_u32_e32 vcc, 29, v0
	s_and_saveexec_b64 s[8:9], vcc
	s_cbranch_execz .LBB121_859
; %bb.856:
	v_mov_b32_e32 v122, 0
	v_add_u32_e32 v121, 0xf4, v1
	v_add3_u32 v122, v1, v122, 4
	s_mov_b64 s[10:11], 0
	v_mov_b32_e32 v123, v0
.LBB121_857:                            ; =>This Inner Loop Header: Depth=1
	buffer_load_dword v124, v122, s[0:3], 0 offen
	ds_read_b32 v125, v121
	v_add_u32_e32 v123, 1, v123
	v_cmp_lt_u32_e32 vcc, 28, v123
	v_add_u32_e32 v121, 4, v121
	v_add_u32_e32 v122, 4, v122
	s_or_b64 s[10:11], vcc, s[10:11]
	s_waitcnt vmcnt(0) lgkmcnt(0)
	v_fmac_f32_e32 v120, v124, v125
	s_andn2_b64 exec, exec, s[10:11]
	s_cbranch_execnz .LBB121_857
; %bb.858:
	s_or_b64 exec, exec, s[10:11]
.LBB121_859:
	s_or_b64 exec, exec, s[8:9]
	v_mov_b32_e32 v121, 0
	ds_read_b32 v121, v121 offset:120
	s_waitcnt lgkmcnt(0)
	v_mul_f32_e32 v120, v120, v121
	buffer_store_dword v120, off, s[0:3], 0 offset:120
.LBB121_860:
	s_or_b64 exec, exec, s[6:7]
	buffer_load_dword v120, off, s[0:3], 0 offset:124
	v_cmp_gt_u32_e32 vcc, 31, v0
	s_waitcnt vmcnt(0)
	ds_write_b32 v118, v120
	s_waitcnt lgkmcnt(0)
	; wave barrier
	s_waitcnt lgkmcnt(0)
	s_and_saveexec_b64 s[6:7], vcc
	s_cbranch_execz .LBB121_870
; %bb.861:
	s_and_b64 vcc, exec, s[4:5]
	s_cbranch_vccnz .LBB121_863
; %bb.862:
	buffer_load_dword v120, v119, s[0:3], 0 offen
	ds_read_b32 v121, v118
	s_waitcnt vmcnt(0) lgkmcnt(0)
	v_mul_f32_e32 v120, v120, v121
	s_cbranch_execz .LBB121_864
	s_branch .LBB121_865
.LBB121_863:
                                        ; implicit-def: $vgpr120
.LBB121_864:
	ds_read_b32 v120, v118
.LBB121_865:
	v_cmp_ne_u32_e32 vcc, 30, v0
	s_and_saveexec_b64 s[8:9], vcc
	s_cbranch_execz .LBB121_869
; %bb.866:
	v_mov_b32_e32 v122, 0
	v_add_u32_e32 v121, 0xf4, v1
	v_add3_u32 v122, v1, v122, 4
	s_mov_b64 s[10:11], 0
	v_mov_b32_e32 v123, v0
.LBB121_867:                            ; =>This Inner Loop Header: Depth=1
	buffer_load_dword v124, v122, s[0:3], 0 offen
	ds_read_b32 v125, v121
	v_add_u32_e32 v123, 1, v123
	v_cmp_lt_u32_e32 vcc, 29, v123
	v_add_u32_e32 v121, 4, v121
	v_add_u32_e32 v122, 4, v122
	s_or_b64 s[10:11], vcc, s[10:11]
	s_waitcnt vmcnt(0) lgkmcnt(0)
	v_fmac_f32_e32 v120, v124, v125
	s_andn2_b64 exec, exec, s[10:11]
	s_cbranch_execnz .LBB121_867
; %bb.868:
	s_or_b64 exec, exec, s[10:11]
.LBB121_869:
	s_or_b64 exec, exec, s[8:9]
	v_mov_b32_e32 v121, 0
	ds_read_b32 v121, v121 offset:124
	s_waitcnt lgkmcnt(0)
	v_mul_f32_e32 v120, v120, v121
	buffer_store_dword v120, off, s[0:3], 0 offset:124
.LBB121_870:
	s_or_b64 exec, exec, s[6:7]
	buffer_load_dword v120, off, s[0:3], 0 offset:128
	v_cmp_gt_u32_e32 vcc, 32, v0
	s_waitcnt vmcnt(0)
	ds_write_b32 v118, v120
	s_waitcnt lgkmcnt(0)
	; wave barrier
	s_waitcnt lgkmcnt(0)
	s_and_saveexec_b64 s[6:7], vcc
	s_cbranch_execz .LBB121_880
; %bb.871:
	s_and_b64 vcc, exec, s[4:5]
	s_cbranch_vccnz .LBB121_873
; %bb.872:
	buffer_load_dword v120, v119, s[0:3], 0 offen
	ds_read_b32 v121, v118
	s_waitcnt vmcnt(0) lgkmcnt(0)
	v_mul_f32_e32 v120, v120, v121
	s_cbranch_execz .LBB121_874
	s_branch .LBB121_875
.LBB121_873:
                                        ; implicit-def: $vgpr120
.LBB121_874:
	ds_read_b32 v120, v118
.LBB121_875:
	v_cmp_ne_u32_e32 vcc, 31, v0
	s_and_saveexec_b64 s[8:9], vcc
	s_cbranch_execz .LBB121_879
; %bb.876:
	v_mov_b32_e32 v122, 0
	v_add_u32_e32 v121, 0xf4, v1
	v_add3_u32 v122, v1, v122, 4
	s_mov_b64 s[10:11], 0
	v_mov_b32_e32 v123, v0
.LBB121_877:                            ; =>This Inner Loop Header: Depth=1
	buffer_load_dword v124, v122, s[0:3], 0 offen
	ds_read_b32 v125, v121
	v_add_u32_e32 v123, 1, v123
	v_cmp_lt_u32_e32 vcc, 30, v123
	v_add_u32_e32 v121, 4, v121
	v_add_u32_e32 v122, 4, v122
	s_or_b64 s[10:11], vcc, s[10:11]
	s_waitcnt vmcnt(0) lgkmcnt(0)
	v_fmac_f32_e32 v120, v124, v125
	s_andn2_b64 exec, exec, s[10:11]
	s_cbranch_execnz .LBB121_877
; %bb.878:
	s_or_b64 exec, exec, s[10:11]
.LBB121_879:
	s_or_b64 exec, exec, s[8:9]
	v_mov_b32_e32 v121, 0
	ds_read_b32 v121, v121 offset:128
	s_waitcnt lgkmcnt(0)
	v_mul_f32_e32 v120, v120, v121
	buffer_store_dword v120, off, s[0:3], 0 offset:128
.LBB121_880:
	s_or_b64 exec, exec, s[6:7]
	buffer_load_dword v120, off, s[0:3], 0 offset:132
	v_cmp_gt_u32_e32 vcc, 33, v0
	s_waitcnt vmcnt(0)
	ds_write_b32 v118, v120
	s_waitcnt lgkmcnt(0)
	; wave barrier
	s_waitcnt lgkmcnt(0)
	s_and_saveexec_b64 s[6:7], vcc
	s_cbranch_execz .LBB121_890
; %bb.881:
	s_and_b64 vcc, exec, s[4:5]
	s_cbranch_vccnz .LBB121_883
; %bb.882:
	buffer_load_dword v120, v119, s[0:3], 0 offen
	ds_read_b32 v121, v118
	s_waitcnt vmcnt(0) lgkmcnt(0)
	v_mul_f32_e32 v120, v120, v121
	s_cbranch_execz .LBB121_884
	s_branch .LBB121_885
.LBB121_883:
                                        ; implicit-def: $vgpr120
.LBB121_884:
	ds_read_b32 v120, v118
.LBB121_885:
	v_cmp_ne_u32_e32 vcc, 32, v0
	s_and_saveexec_b64 s[8:9], vcc
	s_cbranch_execz .LBB121_889
; %bb.886:
	v_mov_b32_e32 v122, 0
	v_add_u32_e32 v121, 0xf4, v1
	v_add3_u32 v122, v1, v122, 4
	s_mov_b64 s[10:11], 0
	v_mov_b32_e32 v123, v0
.LBB121_887:                            ; =>This Inner Loop Header: Depth=1
	buffer_load_dword v124, v122, s[0:3], 0 offen
	ds_read_b32 v125, v121
	v_add_u32_e32 v123, 1, v123
	v_cmp_lt_u32_e32 vcc, 31, v123
	v_add_u32_e32 v121, 4, v121
	v_add_u32_e32 v122, 4, v122
	s_or_b64 s[10:11], vcc, s[10:11]
	s_waitcnt vmcnt(0) lgkmcnt(0)
	v_fmac_f32_e32 v120, v124, v125
	s_andn2_b64 exec, exec, s[10:11]
	s_cbranch_execnz .LBB121_887
; %bb.888:
	s_or_b64 exec, exec, s[10:11]
.LBB121_889:
	s_or_b64 exec, exec, s[8:9]
	v_mov_b32_e32 v121, 0
	ds_read_b32 v121, v121 offset:132
	s_waitcnt lgkmcnt(0)
	v_mul_f32_e32 v120, v120, v121
	buffer_store_dword v120, off, s[0:3], 0 offset:132
.LBB121_890:
	s_or_b64 exec, exec, s[6:7]
	buffer_load_dword v120, off, s[0:3], 0 offset:136
	v_cmp_gt_u32_e32 vcc, 34, v0
	s_waitcnt vmcnt(0)
	ds_write_b32 v118, v120
	s_waitcnt lgkmcnt(0)
	; wave barrier
	s_waitcnt lgkmcnt(0)
	s_and_saveexec_b64 s[6:7], vcc
	s_cbranch_execz .LBB121_900
; %bb.891:
	s_and_b64 vcc, exec, s[4:5]
	s_cbranch_vccnz .LBB121_893
; %bb.892:
	buffer_load_dword v120, v119, s[0:3], 0 offen
	ds_read_b32 v121, v118
	s_waitcnt vmcnt(0) lgkmcnt(0)
	v_mul_f32_e32 v120, v120, v121
	s_cbranch_execz .LBB121_894
	s_branch .LBB121_895
.LBB121_893:
                                        ; implicit-def: $vgpr120
.LBB121_894:
	ds_read_b32 v120, v118
.LBB121_895:
	v_cmp_ne_u32_e32 vcc, 33, v0
	s_and_saveexec_b64 s[8:9], vcc
	s_cbranch_execz .LBB121_899
; %bb.896:
	v_mov_b32_e32 v122, 0
	v_add_u32_e32 v121, 0xf4, v1
	v_add3_u32 v122, v1, v122, 4
	s_mov_b64 s[10:11], 0
	v_mov_b32_e32 v123, v0
.LBB121_897:                            ; =>This Inner Loop Header: Depth=1
	buffer_load_dword v124, v122, s[0:3], 0 offen
	ds_read_b32 v125, v121
	v_add_u32_e32 v123, 1, v123
	v_cmp_lt_u32_e32 vcc, 32, v123
	v_add_u32_e32 v121, 4, v121
	v_add_u32_e32 v122, 4, v122
	s_or_b64 s[10:11], vcc, s[10:11]
	s_waitcnt vmcnt(0) lgkmcnt(0)
	v_fmac_f32_e32 v120, v124, v125
	s_andn2_b64 exec, exec, s[10:11]
	s_cbranch_execnz .LBB121_897
; %bb.898:
	s_or_b64 exec, exec, s[10:11]
.LBB121_899:
	s_or_b64 exec, exec, s[8:9]
	v_mov_b32_e32 v121, 0
	ds_read_b32 v121, v121 offset:136
	s_waitcnt lgkmcnt(0)
	v_mul_f32_e32 v120, v120, v121
	buffer_store_dword v120, off, s[0:3], 0 offset:136
.LBB121_900:
	s_or_b64 exec, exec, s[6:7]
	buffer_load_dword v120, off, s[0:3], 0 offset:140
	v_cmp_gt_u32_e32 vcc, 35, v0
	s_waitcnt vmcnt(0)
	ds_write_b32 v118, v120
	s_waitcnt lgkmcnt(0)
	; wave barrier
	s_waitcnt lgkmcnt(0)
	s_and_saveexec_b64 s[6:7], vcc
	s_cbranch_execz .LBB121_910
; %bb.901:
	s_and_b64 vcc, exec, s[4:5]
	s_cbranch_vccnz .LBB121_903
; %bb.902:
	buffer_load_dword v120, v119, s[0:3], 0 offen
	ds_read_b32 v121, v118
	s_waitcnt vmcnt(0) lgkmcnt(0)
	v_mul_f32_e32 v120, v120, v121
	s_cbranch_execz .LBB121_904
	s_branch .LBB121_905
.LBB121_903:
                                        ; implicit-def: $vgpr120
.LBB121_904:
	ds_read_b32 v120, v118
.LBB121_905:
	v_cmp_ne_u32_e32 vcc, 34, v0
	s_and_saveexec_b64 s[8:9], vcc
	s_cbranch_execz .LBB121_909
; %bb.906:
	v_mov_b32_e32 v122, 0
	v_add_u32_e32 v121, 0xf4, v1
	v_add3_u32 v122, v1, v122, 4
	s_mov_b64 s[10:11], 0
	v_mov_b32_e32 v123, v0
.LBB121_907:                            ; =>This Inner Loop Header: Depth=1
	buffer_load_dword v124, v122, s[0:3], 0 offen
	ds_read_b32 v125, v121
	v_add_u32_e32 v123, 1, v123
	v_cmp_lt_u32_e32 vcc, 33, v123
	v_add_u32_e32 v121, 4, v121
	v_add_u32_e32 v122, 4, v122
	s_or_b64 s[10:11], vcc, s[10:11]
	s_waitcnt vmcnt(0) lgkmcnt(0)
	v_fmac_f32_e32 v120, v124, v125
	s_andn2_b64 exec, exec, s[10:11]
	s_cbranch_execnz .LBB121_907
; %bb.908:
	s_or_b64 exec, exec, s[10:11]
.LBB121_909:
	s_or_b64 exec, exec, s[8:9]
	v_mov_b32_e32 v121, 0
	ds_read_b32 v121, v121 offset:140
	s_waitcnt lgkmcnt(0)
	v_mul_f32_e32 v120, v120, v121
	buffer_store_dword v120, off, s[0:3], 0 offset:140
.LBB121_910:
	s_or_b64 exec, exec, s[6:7]
	buffer_load_dword v120, off, s[0:3], 0 offset:144
	v_cmp_gt_u32_e32 vcc, 36, v0
	s_waitcnt vmcnt(0)
	ds_write_b32 v118, v120
	s_waitcnt lgkmcnt(0)
	; wave barrier
	s_waitcnt lgkmcnt(0)
	s_and_saveexec_b64 s[6:7], vcc
	s_cbranch_execz .LBB121_920
; %bb.911:
	s_and_b64 vcc, exec, s[4:5]
	s_cbranch_vccnz .LBB121_913
; %bb.912:
	buffer_load_dword v120, v119, s[0:3], 0 offen
	ds_read_b32 v121, v118
	s_waitcnt vmcnt(0) lgkmcnt(0)
	v_mul_f32_e32 v120, v120, v121
	s_cbranch_execz .LBB121_914
	s_branch .LBB121_915
.LBB121_913:
                                        ; implicit-def: $vgpr120
.LBB121_914:
	ds_read_b32 v120, v118
.LBB121_915:
	v_cmp_ne_u32_e32 vcc, 35, v0
	s_and_saveexec_b64 s[8:9], vcc
	s_cbranch_execz .LBB121_919
; %bb.916:
	v_mov_b32_e32 v122, 0
	v_add_u32_e32 v121, 0xf4, v1
	v_add3_u32 v122, v1, v122, 4
	s_mov_b64 s[10:11], 0
	v_mov_b32_e32 v123, v0
.LBB121_917:                            ; =>This Inner Loop Header: Depth=1
	buffer_load_dword v124, v122, s[0:3], 0 offen
	ds_read_b32 v125, v121
	v_add_u32_e32 v123, 1, v123
	v_cmp_lt_u32_e32 vcc, 34, v123
	v_add_u32_e32 v121, 4, v121
	v_add_u32_e32 v122, 4, v122
	s_or_b64 s[10:11], vcc, s[10:11]
	s_waitcnt vmcnt(0) lgkmcnt(0)
	v_fmac_f32_e32 v120, v124, v125
	s_andn2_b64 exec, exec, s[10:11]
	s_cbranch_execnz .LBB121_917
; %bb.918:
	s_or_b64 exec, exec, s[10:11]
.LBB121_919:
	s_or_b64 exec, exec, s[8:9]
	v_mov_b32_e32 v121, 0
	ds_read_b32 v121, v121 offset:144
	s_waitcnt lgkmcnt(0)
	v_mul_f32_e32 v120, v120, v121
	buffer_store_dword v120, off, s[0:3], 0 offset:144
.LBB121_920:
	s_or_b64 exec, exec, s[6:7]
	buffer_load_dword v120, off, s[0:3], 0 offset:148
	v_cmp_gt_u32_e32 vcc, 37, v0
	s_waitcnt vmcnt(0)
	ds_write_b32 v118, v120
	s_waitcnt lgkmcnt(0)
	; wave barrier
	s_waitcnt lgkmcnt(0)
	s_and_saveexec_b64 s[6:7], vcc
	s_cbranch_execz .LBB121_930
; %bb.921:
	s_and_b64 vcc, exec, s[4:5]
	s_cbranch_vccnz .LBB121_923
; %bb.922:
	buffer_load_dword v120, v119, s[0:3], 0 offen
	ds_read_b32 v121, v118
	s_waitcnt vmcnt(0) lgkmcnt(0)
	v_mul_f32_e32 v120, v120, v121
	s_cbranch_execz .LBB121_924
	s_branch .LBB121_925
.LBB121_923:
                                        ; implicit-def: $vgpr120
.LBB121_924:
	ds_read_b32 v120, v118
.LBB121_925:
	v_cmp_ne_u32_e32 vcc, 36, v0
	s_and_saveexec_b64 s[8:9], vcc
	s_cbranch_execz .LBB121_929
; %bb.926:
	v_mov_b32_e32 v122, 0
	v_add_u32_e32 v121, 0xf4, v1
	v_add3_u32 v122, v1, v122, 4
	s_mov_b64 s[10:11], 0
	v_mov_b32_e32 v123, v0
.LBB121_927:                            ; =>This Inner Loop Header: Depth=1
	buffer_load_dword v124, v122, s[0:3], 0 offen
	ds_read_b32 v125, v121
	v_add_u32_e32 v123, 1, v123
	v_cmp_lt_u32_e32 vcc, 35, v123
	v_add_u32_e32 v121, 4, v121
	v_add_u32_e32 v122, 4, v122
	s_or_b64 s[10:11], vcc, s[10:11]
	s_waitcnt vmcnt(0) lgkmcnt(0)
	v_fmac_f32_e32 v120, v124, v125
	s_andn2_b64 exec, exec, s[10:11]
	s_cbranch_execnz .LBB121_927
; %bb.928:
	s_or_b64 exec, exec, s[10:11]
.LBB121_929:
	s_or_b64 exec, exec, s[8:9]
	v_mov_b32_e32 v121, 0
	ds_read_b32 v121, v121 offset:148
	s_waitcnt lgkmcnt(0)
	v_mul_f32_e32 v120, v120, v121
	buffer_store_dword v120, off, s[0:3], 0 offset:148
.LBB121_930:
	s_or_b64 exec, exec, s[6:7]
	buffer_load_dword v120, off, s[0:3], 0 offset:152
	v_cmp_gt_u32_e32 vcc, 38, v0
	s_waitcnt vmcnt(0)
	ds_write_b32 v118, v120
	s_waitcnt lgkmcnt(0)
	; wave barrier
	s_waitcnt lgkmcnt(0)
	s_and_saveexec_b64 s[6:7], vcc
	s_cbranch_execz .LBB121_940
; %bb.931:
	s_and_b64 vcc, exec, s[4:5]
	s_cbranch_vccnz .LBB121_933
; %bb.932:
	buffer_load_dword v120, v119, s[0:3], 0 offen
	ds_read_b32 v121, v118
	s_waitcnt vmcnt(0) lgkmcnt(0)
	v_mul_f32_e32 v120, v120, v121
	s_cbranch_execz .LBB121_934
	s_branch .LBB121_935
.LBB121_933:
                                        ; implicit-def: $vgpr120
.LBB121_934:
	ds_read_b32 v120, v118
.LBB121_935:
	v_cmp_ne_u32_e32 vcc, 37, v0
	s_and_saveexec_b64 s[8:9], vcc
	s_cbranch_execz .LBB121_939
; %bb.936:
	v_mov_b32_e32 v122, 0
	v_add_u32_e32 v121, 0xf4, v1
	v_add3_u32 v122, v1, v122, 4
	s_mov_b64 s[10:11], 0
	v_mov_b32_e32 v123, v0
.LBB121_937:                            ; =>This Inner Loop Header: Depth=1
	buffer_load_dword v124, v122, s[0:3], 0 offen
	ds_read_b32 v125, v121
	v_add_u32_e32 v123, 1, v123
	v_cmp_lt_u32_e32 vcc, 36, v123
	v_add_u32_e32 v121, 4, v121
	v_add_u32_e32 v122, 4, v122
	s_or_b64 s[10:11], vcc, s[10:11]
	s_waitcnt vmcnt(0) lgkmcnt(0)
	v_fmac_f32_e32 v120, v124, v125
	s_andn2_b64 exec, exec, s[10:11]
	s_cbranch_execnz .LBB121_937
; %bb.938:
	s_or_b64 exec, exec, s[10:11]
.LBB121_939:
	s_or_b64 exec, exec, s[8:9]
	v_mov_b32_e32 v121, 0
	ds_read_b32 v121, v121 offset:152
	s_waitcnt lgkmcnt(0)
	v_mul_f32_e32 v120, v120, v121
	buffer_store_dword v120, off, s[0:3], 0 offset:152
.LBB121_940:
	s_or_b64 exec, exec, s[6:7]
	buffer_load_dword v120, off, s[0:3], 0 offset:156
	v_cmp_gt_u32_e32 vcc, 39, v0
	s_waitcnt vmcnt(0)
	ds_write_b32 v118, v120
	s_waitcnt lgkmcnt(0)
	; wave barrier
	s_waitcnt lgkmcnt(0)
	s_and_saveexec_b64 s[6:7], vcc
	s_cbranch_execz .LBB121_950
; %bb.941:
	s_and_b64 vcc, exec, s[4:5]
	s_cbranch_vccnz .LBB121_943
; %bb.942:
	buffer_load_dword v120, v119, s[0:3], 0 offen
	ds_read_b32 v121, v118
	s_waitcnt vmcnt(0) lgkmcnt(0)
	v_mul_f32_e32 v120, v120, v121
	s_cbranch_execz .LBB121_944
	s_branch .LBB121_945
.LBB121_943:
                                        ; implicit-def: $vgpr120
.LBB121_944:
	ds_read_b32 v120, v118
.LBB121_945:
	v_cmp_ne_u32_e32 vcc, 38, v0
	s_and_saveexec_b64 s[8:9], vcc
	s_cbranch_execz .LBB121_949
; %bb.946:
	v_mov_b32_e32 v122, 0
	v_add_u32_e32 v121, 0xf4, v1
	v_add3_u32 v122, v1, v122, 4
	s_mov_b64 s[10:11], 0
	v_mov_b32_e32 v123, v0
.LBB121_947:                            ; =>This Inner Loop Header: Depth=1
	buffer_load_dword v124, v122, s[0:3], 0 offen
	ds_read_b32 v125, v121
	v_add_u32_e32 v123, 1, v123
	v_cmp_lt_u32_e32 vcc, 37, v123
	v_add_u32_e32 v121, 4, v121
	v_add_u32_e32 v122, 4, v122
	s_or_b64 s[10:11], vcc, s[10:11]
	s_waitcnt vmcnt(0) lgkmcnt(0)
	v_fmac_f32_e32 v120, v124, v125
	s_andn2_b64 exec, exec, s[10:11]
	s_cbranch_execnz .LBB121_947
; %bb.948:
	s_or_b64 exec, exec, s[10:11]
.LBB121_949:
	s_or_b64 exec, exec, s[8:9]
	v_mov_b32_e32 v121, 0
	ds_read_b32 v121, v121 offset:156
	s_waitcnt lgkmcnt(0)
	v_mul_f32_e32 v120, v120, v121
	buffer_store_dword v120, off, s[0:3], 0 offset:156
.LBB121_950:
	s_or_b64 exec, exec, s[6:7]
	buffer_load_dword v120, off, s[0:3], 0 offset:160
	v_cmp_gt_u32_e32 vcc, 40, v0
	s_waitcnt vmcnt(0)
	ds_write_b32 v118, v120
	s_waitcnt lgkmcnt(0)
	; wave barrier
	s_waitcnt lgkmcnt(0)
	s_and_saveexec_b64 s[6:7], vcc
	s_cbranch_execz .LBB121_960
; %bb.951:
	s_and_b64 vcc, exec, s[4:5]
	s_cbranch_vccnz .LBB121_953
; %bb.952:
	buffer_load_dword v120, v119, s[0:3], 0 offen
	ds_read_b32 v121, v118
	s_waitcnt vmcnt(0) lgkmcnt(0)
	v_mul_f32_e32 v120, v120, v121
	s_cbranch_execz .LBB121_954
	s_branch .LBB121_955
.LBB121_953:
                                        ; implicit-def: $vgpr120
.LBB121_954:
	ds_read_b32 v120, v118
.LBB121_955:
	v_cmp_ne_u32_e32 vcc, 39, v0
	s_and_saveexec_b64 s[8:9], vcc
	s_cbranch_execz .LBB121_959
; %bb.956:
	v_mov_b32_e32 v122, 0
	v_add_u32_e32 v121, 0xf4, v1
	v_add3_u32 v122, v1, v122, 4
	s_mov_b64 s[10:11], 0
	v_mov_b32_e32 v123, v0
.LBB121_957:                            ; =>This Inner Loop Header: Depth=1
	buffer_load_dword v124, v122, s[0:3], 0 offen
	ds_read_b32 v125, v121
	v_add_u32_e32 v123, 1, v123
	v_cmp_lt_u32_e32 vcc, 38, v123
	v_add_u32_e32 v121, 4, v121
	v_add_u32_e32 v122, 4, v122
	s_or_b64 s[10:11], vcc, s[10:11]
	s_waitcnt vmcnt(0) lgkmcnt(0)
	v_fmac_f32_e32 v120, v124, v125
	s_andn2_b64 exec, exec, s[10:11]
	s_cbranch_execnz .LBB121_957
; %bb.958:
	s_or_b64 exec, exec, s[10:11]
.LBB121_959:
	s_or_b64 exec, exec, s[8:9]
	v_mov_b32_e32 v121, 0
	ds_read_b32 v121, v121 offset:160
	s_waitcnt lgkmcnt(0)
	v_mul_f32_e32 v120, v120, v121
	buffer_store_dword v120, off, s[0:3], 0 offset:160
.LBB121_960:
	s_or_b64 exec, exec, s[6:7]
	buffer_load_dword v120, off, s[0:3], 0 offset:164
	v_cmp_gt_u32_e32 vcc, 41, v0
	s_waitcnt vmcnt(0)
	ds_write_b32 v118, v120
	s_waitcnt lgkmcnt(0)
	; wave barrier
	s_waitcnt lgkmcnt(0)
	s_and_saveexec_b64 s[6:7], vcc
	s_cbranch_execz .LBB121_970
; %bb.961:
	s_and_b64 vcc, exec, s[4:5]
	s_cbranch_vccnz .LBB121_963
; %bb.962:
	buffer_load_dword v120, v119, s[0:3], 0 offen
	ds_read_b32 v121, v118
	s_waitcnt vmcnt(0) lgkmcnt(0)
	v_mul_f32_e32 v120, v120, v121
	s_cbranch_execz .LBB121_964
	s_branch .LBB121_965
.LBB121_963:
                                        ; implicit-def: $vgpr120
.LBB121_964:
	ds_read_b32 v120, v118
.LBB121_965:
	v_cmp_ne_u32_e32 vcc, 40, v0
	s_and_saveexec_b64 s[8:9], vcc
	s_cbranch_execz .LBB121_969
; %bb.966:
	v_mov_b32_e32 v122, 0
	v_add_u32_e32 v121, 0xf4, v1
	v_add3_u32 v122, v1, v122, 4
	s_mov_b64 s[10:11], 0
	v_mov_b32_e32 v123, v0
.LBB121_967:                            ; =>This Inner Loop Header: Depth=1
	buffer_load_dword v124, v122, s[0:3], 0 offen
	ds_read_b32 v125, v121
	v_add_u32_e32 v123, 1, v123
	v_cmp_lt_u32_e32 vcc, 39, v123
	v_add_u32_e32 v121, 4, v121
	v_add_u32_e32 v122, 4, v122
	s_or_b64 s[10:11], vcc, s[10:11]
	s_waitcnt vmcnt(0) lgkmcnt(0)
	v_fmac_f32_e32 v120, v124, v125
	s_andn2_b64 exec, exec, s[10:11]
	s_cbranch_execnz .LBB121_967
; %bb.968:
	s_or_b64 exec, exec, s[10:11]
.LBB121_969:
	s_or_b64 exec, exec, s[8:9]
	v_mov_b32_e32 v121, 0
	ds_read_b32 v121, v121 offset:164
	s_waitcnt lgkmcnt(0)
	v_mul_f32_e32 v120, v120, v121
	buffer_store_dword v120, off, s[0:3], 0 offset:164
.LBB121_970:
	s_or_b64 exec, exec, s[6:7]
	buffer_load_dword v120, off, s[0:3], 0 offset:168
	v_cmp_gt_u32_e32 vcc, 42, v0
	s_waitcnt vmcnt(0)
	ds_write_b32 v118, v120
	s_waitcnt lgkmcnt(0)
	; wave barrier
	s_waitcnt lgkmcnt(0)
	s_and_saveexec_b64 s[6:7], vcc
	s_cbranch_execz .LBB121_980
; %bb.971:
	s_and_b64 vcc, exec, s[4:5]
	s_cbranch_vccnz .LBB121_973
; %bb.972:
	buffer_load_dword v120, v119, s[0:3], 0 offen
	ds_read_b32 v121, v118
	s_waitcnt vmcnt(0) lgkmcnt(0)
	v_mul_f32_e32 v120, v120, v121
	s_cbranch_execz .LBB121_974
	s_branch .LBB121_975
.LBB121_973:
                                        ; implicit-def: $vgpr120
.LBB121_974:
	ds_read_b32 v120, v118
.LBB121_975:
	v_cmp_ne_u32_e32 vcc, 41, v0
	s_and_saveexec_b64 s[8:9], vcc
	s_cbranch_execz .LBB121_979
; %bb.976:
	v_mov_b32_e32 v122, 0
	v_add_u32_e32 v121, 0xf4, v1
	v_add3_u32 v122, v1, v122, 4
	s_mov_b64 s[10:11], 0
	v_mov_b32_e32 v123, v0
.LBB121_977:                            ; =>This Inner Loop Header: Depth=1
	buffer_load_dword v124, v122, s[0:3], 0 offen
	ds_read_b32 v125, v121
	v_add_u32_e32 v123, 1, v123
	v_cmp_lt_u32_e32 vcc, 40, v123
	v_add_u32_e32 v121, 4, v121
	v_add_u32_e32 v122, 4, v122
	s_or_b64 s[10:11], vcc, s[10:11]
	s_waitcnt vmcnt(0) lgkmcnt(0)
	v_fmac_f32_e32 v120, v124, v125
	s_andn2_b64 exec, exec, s[10:11]
	s_cbranch_execnz .LBB121_977
; %bb.978:
	s_or_b64 exec, exec, s[10:11]
.LBB121_979:
	s_or_b64 exec, exec, s[8:9]
	v_mov_b32_e32 v121, 0
	ds_read_b32 v121, v121 offset:168
	s_waitcnt lgkmcnt(0)
	v_mul_f32_e32 v120, v120, v121
	buffer_store_dword v120, off, s[0:3], 0 offset:168
.LBB121_980:
	s_or_b64 exec, exec, s[6:7]
	buffer_load_dword v120, off, s[0:3], 0 offset:172
	v_cmp_gt_u32_e32 vcc, 43, v0
	s_waitcnt vmcnt(0)
	ds_write_b32 v118, v120
	s_waitcnt lgkmcnt(0)
	; wave barrier
	s_waitcnt lgkmcnt(0)
	s_and_saveexec_b64 s[6:7], vcc
	s_cbranch_execz .LBB121_990
; %bb.981:
	s_and_b64 vcc, exec, s[4:5]
	s_cbranch_vccnz .LBB121_983
; %bb.982:
	buffer_load_dword v120, v119, s[0:3], 0 offen
	ds_read_b32 v121, v118
	s_waitcnt vmcnt(0) lgkmcnt(0)
	v_mul_f32_e32 v120, v120, v121
	s_cbranch_execz .LBB121_984
	s_branch .LBB121_985
.LBB121_983:
                                        ; implicit-def: $vgpr120
.LBB121_984:
	ds_read_b32 v120, v118
.LBB121_985:
	v_cmp_ne_u32_e32 vcc, 42, v0
	s_and_saveexec_b64 s[8:9], vcc
	s_cbranch_execz .LBB121_989
; %bb.986:
	v_mov_b32_e32 v122, 0
	v_add_u32_e32 v121, 0xf4, v1
	v_add3_u32 v122, v1, v122, 4
	s_mov_b64 s[10:11], 0
	v_mov_b32_e32 v123, v0
.LBB121_987:                            ; =>This Inner Loop Header: Depth=1
	buffer_load_dword v124, v122, s[0:3], 0 offen
	ds_read_b32 v125, v121
	v_add_u32_e32 v123, 1, v123
	v_cmp_lt_u32_e32 vcc, 41, v123
	v_add_u32_e32 v121, 4, v121
	v_add_u32_e32 v122, 4, v122
	s_or_b64 s[10:11], vcc, s[10:11]
	s_waitcnt vmcnt(0) lgkmcnt(0)
	v_fmac_f32_e32 v120, v124, v125
	s_andn2_b64 exec, exec, s[10:11]
	s_cbranch_execnz .LBB121_987
; %bb.988:
	s_or_b64 exec, exec, s[10:11]
.LBB121_989:
	s_or_b64 exec, exec, s[8:9]
	v_mov_b32_e32 v121, 0
	ds_read_b32 v121, v121 offset:172
	s_waitcnt lgkmcnt(0)
	v_mul_f32_e32 v120, v120, v121
	buffer_store_dword v120, off, s[0:3], 0 offset:172
.LBB121_990:
	s_or_b64 exec, exec, s[6:7]
	buffer_load_dword v120, off, s[0:3], 0 offset:176
	v_cmp_gt_u32_e32 vcc, 44, v0
	s_waitcnt vmcnt(0)
	ds_write_b32 v118, v120
	s_waitcnt lgkmcnt(0)
	; wave barrier
	s_waitcnt lgkmcnt(0)
	s_and_saveexec_b64 s[6:7], vcc
	s_cbranch_execz .LBB121_1000
; %bb.991:
	s_and_b64 vcc, exec, s[4:5]
	s_cbranch_vccnz .LBB121_993
; %bb.992:
	buffer_load_dword v120, v119, s[0:3], 0 offen
	ds_read_b32 v121, v118
	s_waitcnt vmcnt(0) lgkmcnt(0)
	v_mul_f32_e32 v120, v120, v121
	s_cbranch_execz .LBB121_994
	s_branch .LBB121_995
.LBB121_993:
                                        ; implicit-def: $vgpr120
.LBB121_994:
	ds_read_b32 v120, v118
.LBB121_995:
	v_cmp_ne_u32_e32 vcc, 43, v0
	s_and_saveexec_b64 s[8:9], vcc
	s_cbranch_execz .LBB121_999
; %bb.996:
	v_mov_b32_e32 v122, 0
	v_add_u32_e32 v121, 0xf4, v1
	v_add3_u32 v122, v1, v122, 4
	s_mov_b64 s[10:11], 0
	v_mov_b32_e32 v123, v0
.LBB121_997:                            ; =>This Inner Loop Header: Depth=1
	buffer_load_dword v124, v122, s[0:3], 0 offen
	ds_read_b32 v125, v121
	v_add_u32_e32 v123, 1, v123
	v_cmp_lt_u32_e32 vcc, 42, v123
	v_add_u32_e32 v121, 4, v121
	v_add_u32_e32 v122, 4, v122
	s_or_b64 s[10:11], vcc, s[10:11]
	s_waitcnt vmcnt(0) lgkmcnt(0)
	v_fmac_f32_e32 v120, v124, v125
	s_andn2_b64 exec, exec, s[10:11]
	s_cbranch_execnz .LBB121_997
; %bb.998:
	s_or_b64 exec, exec, s[10:11]
.LBB121_999:
	s_or_b64 exec, exec, s[8:9]
	v_mov_b32_e32 v121, 0
	ds_read_b32 v121, v121 offset:176
	s_waitcnt lgkmcnt(0)
	v_mul_f32_e32 v120, v120, v121
	buffer_store_dword v120, off, s[0:3], 0 offset:176
.LBB121_1000:
	s_or_b64 exec, exec, s[6:7]
	buffer_load_dword v120, off, s[0:3], 0 offset:180
	v_cmp_gt_u32_e32 vcc, 45, v0
	s_waitcnt vmcnt(0)
	ds_write_b32 v118, v120
	s_waitcnt lgkmcnt(0)
	; wave barrier
	s_waitcnt lgkmcnt(0)
	s_and_saveexec_b64 s[6:7], vcc
	s_cbranch_execz .LBB121_1010
; %bb.1001:
	s_and_b64 vcc, exec, s[4:5]
	s_cbranch_vccnz .LBB121_1003
; %bb.1002:
	buffer_load_dword v120, v119, s[0:3], 0 offen
	ds_read_b32 v121, v118
	s_waitcnt vmcnt(0) lgkmcnt(0)
	v_mul_f32_e32 v120, v120, v121
	s_cbranch_execz .LBB121_1004
	s_branch .LBB121_1005
.LBB121_1003:
                                        ; implicit-def: $vgpr120
.LBB121_1004:
	ds_read_b32 v120, v118
.LBB121_1005:
	v_cmp_ne_u32_e32 vcc, 44, v0
	s_and_saveexec_b64 s[8:9], vcc
	s_cbranch_execz .LBB121_1009
; %bb.1006:
	v_mov_b32_e32 v122, 0
	v_add_u32_e32 v121, 0xf4, v1
	v_add3_u32 v122, v1, v122, 4
	s_mov_b64 s[10:11], 0
	v_mov_b32_e32 v123, v0
.LBB121_1007:                           ; =>This Inner Loop Header: Depth=1
	buffer_load_dword v124, v122, s[0:3], 0 offen
	ds_read_b32 v125, v121
	v_add_u32_e32 v123, 1, v123
	v_cmp_lt_u32_e32 vcc, 43, v123
	v_add_u32_e32 v121, 4, v121
	v_add_u32_e32 v122, 4, v122
	s_or_b64 s[10:11], vcc, s[10:11]
	s_waitcnt vmcnt(0) lgkmcnt(0)
	v_fmac_f32_e32 v120, v124, v125
	s_andn2_b64 exec, exec, s[10:11]
	s_cbranch_execnz .LBB121_1007
; %bb.1008:
	s_or_b64 exec, exec, s[10:11]
.LBB121_1009:
	s_or_b64 exec, exec, s[8:9]
	v_mov_b32_e32 v121, 0
	ds_read_b32 v121, v121 offset:180
	s_waitcnt lgkmcnt(0)
	v_mul_f32_e32 v120, v120, v121
	buffer_store_dword v120, off, s[0:3], 0 offset:180
.LBB121_1010:
	s_or_b64 exec, exec, s[6:7]
	buffer_load_dword v120, off, s[0:3], 0 offset:184
	v_cmp_gt_u32_e32 vcc, 46, v0
	s_waitcnt vmcnt(0)
	ds_write_b32 v118, v120
	s_waitcnt lgkmcnt(0)
	; wave barrier
	s_waitcnt lgkmcnt(0)
	s_and_saveexec_b64 s[6:7], vcc
	s_cbranch_execz .LBB121_1020
; %bb.1011:
	s_and_b64 vcc, exec, s[4:5]
	s_cbranch_vccnz .LBB121_1013
; %bb.1012:
	buffer_load_dword v120, v119, s[0:3], 0 offen
	ds_read_b32 v121, v118
	s_waitcnt vmcnt(0) lgkmcnt(0)
	v_mul_f32_e32 v120, v120, v121
	s_cbranch_execz .LBB121_1014
	s_branch .LBB121_1015
.LBB121_1013:
                                        ; implicit-def: $vgpr120
.LBB121_1014:
	ds_read_b32 v120, v118
.LBB121_1015:
	v_cmp_ne_u32_e32 vcc, 45, v0
	s_and_saveexec_b64 s[8:9], vcc
	s_cbranch_execz .LBB121_1019
; %bb.1016:
	v_mov_b32_e32 v122, 0
	v_add_u32_e32 v121, 0xf4, v1
	v_add3_u32 v122, v1, v122, 4
	s_mov_b64 s[10:11], 0
	v_mov_b32_e32 v123, v0
.LBB121_1017:                           ; =>This Inner Loop Header: Depth=1
	buffer_load_dword v124, v122, s[0:3], 0 offen
	ds_read_b32 v125, v121
	v_add_u32_e32 v123, 1, v123
	v_cmp_lt_u32_e32 vcc, 44, v123
	v_add_u32_e32 v121, 4, v121
	v_add_u32_e32 v122, 4, v122
	s_or_b64 s[10:11], vcc, s[10:11]
	s_waitcnt vmcnt(0) lgkmcnt(0)
	v_fmac_f32_e32 v120, v124, v125
	s_andn2_b64 exec, exec, s[10:11]
	s_cbranch_execnz .LBB121_1017
; %bb.1018:
	s_or_b64 exec, exec, s[10:11]
.LBB121_1019:
	s_or_b64 exec, exec, s[8:9]
	v_mov_b32_e32 v121, 0
	ds_read_b32 v121, v121 offset:184
	s_waitcnt lgkmcnt(0)
	v_mul_f32_e32 v120, v120, v121
	buffer_store_dword v120, off, s[0:3], 0 offset:184
.LBB121_1020:
	;; [unrolled: 56-line block ×11, first 2 shown]
	s_or_b64 exec, exec, s[6:7]
	buffer_load_dword v120, off, s[0:3], 0 offset:224
	v_cmp_gt_u32_e64 s[6:7], 56, v0
	s_waitcnt vmcnt(0)
	ds_write_b32 v118, v120
	s_waitcnt lgkmcnt(0)
	; wave barrier
	s_waitcnt lgkmcnt(0)
	s_and_saveexec_b64 s[8:9], s[6:7]
	s_cbranch_execz .LBB121_1120
; %bb.1111:
	s_and_b64 vcc, exec, s[4:5]
	s_cbranch_vccnz .LBB121_1113
; %bb.1112:
	buffer_load_dword v120, v119, s[0:3], 0 offen
	ds_read_b32 v121, v118
	s_waitcnt vmcnt(0) lgkmcnt(0)
	v_mul_f32_e32 v120, v120, v121
	s_cbranch_execz .LBB121_1114
	s_branch .LBB121_1115
.LBB121_1113:
                                        ; implicit-def: $vgpr120
.LBB121_1114:
	ds_read_b32 v120, v118
.LBB121_1115:
	v_cmp_ne_u32_e32 vcc, 55, v0
	s_and_saveexec_b64 s[10:11], vcc
	s_cbranch_execz .LBB121_1119
; %bb.1116:
	v_mov_b32_e32 v122, 0
	v_add_u32_e32 v121, 0xf4, v1
	v_add3_u32 v122, v1, v122, 4
	s_mov_b64 s[12:13], 0
	v_mov_b32_e32 v123, v0
.LBB121_1117:                           ; =>This Inner Loop Header: Depth=1
	buffer_load_dword v124, v122, s[0:3], 0 offen
	ds_read_b32 v125, v121
	v_add_u32_e32 v123, 1, v123
	v_cmp_lt_u32_e32 vcc, 54, v123
	v_add_u32_e32 v121, 4, v121
	v_add_u32_e32 v122, 4, v122
	s_or_b64 s[12:13], vcc, s[12:13]
	s_waitcnt vmcnt(0) lgkmcnt(0)
	v_fmac_f32_e32 v120, v124, v125
	s_andn2_b64 exec, exec, s[12:13]
	s_cbranch_execnz .LBB121_1117
; %bb.1118:
	s_or_b64 exec, exec, s[12:13]
.LBB121_1119:
	s_or_b64 exec, exec, s[10:11]
	v_mov_b32_e32 v121, 0
	ds_read_b32 v121, v121 offset:224
	s_waitcnt lgkmcnt(0)
	v_mul_f32_e32 v120, v120, v121
	buffer_store_dword v120, off, s[0:3], 0 offset:224
.LBB121_1120:
	s_or_b64 exec, exec, s[8:9]
	buffer_load_dword v120, off, s[0:3], 0 offset:228
	v_cmp_ne_u32_e32 vcc, 57, v0
	s_waitcnt vmcnt(0)
	ds_write_b32 v118, v120
	s_waitcnt lgkmcnt(0)
	; wave barrier
	s_waitcnt lgkmcnt(0)
	s_and_saveexec_b64 s[8:9], vcc
	s_cbranch_execz .LBB121_1130
; %bb.1121:
	s_and_b64 vcc, exec, s[4:5]
	s_cbranch_vccnz .LBB121_1123
; %bb.1122:
	buffer_load_dword v119, v119, s[0:3], 0 offen
	ds_read_b32 v120, v118
	s_waitcnt vmcnt(0) lgkmcnt(0)
	v_mul_f32_e32 v119, v119, v120
	s_cbranch_execz .LBB121_1124
	s_branch .LBB121_1125
.LBB121_1123:
                                        ; implicit-def: $vgpr119
.LBB121_1124:
	ds_read_b32 v119, v118
.LBB121_1125:
	s_and_saveexec_b64 s[4:5], s[6:7]
	s_cbranch_execz .LBB121_1129
; %bb.1126:
	v_mov_b32_e32 v120, 0
	v_add_u32_e32 v118, 0xf4, v1
	v_add3_u32 v1, v1, v120, 4
	s_mov_b64 s[6:7], 0
.LBB121_1127:                           ; =>This Inner Loop Header: Depth=1
	buffer_load_dword v120, v1, s[0:3], 0 offen
	ds_read_b32 v121, v118
	v_add_u32_e32 v0, 1, v0
	v_cmp_lt_u32_e32 vcc, 55, v0
	v_add_u32_e32 v118, 4, v118
	v_add_u32_e32 v1, 4, v1
	s_or_b64 s[6:7], vcc, s[6:7]
	s_waitcnt vmcnt(0) lgkmcnt(0)
	v_fmac_f32_e32 v119, v120, v121
	s_andn2_b64 exec, exec, s[6:7]
	s_cbranch_execnz .LBB121_1127
; %bb.1128:
	s_or_b64 exec, exec, s[6:7]
.LBB121_1129:
	s_or_b64 exec, exec, s[4:5]
	v_mov_b32_e32 v0, 0
	ds_read_b32 v0, v0 offset:228
	s_waitcnt lgkmcnt(0)
	v_mul_f32_e32 v0, v119, v0
	buffer_store_dword v0, off, s[0:3], 0 offset:228
.LBB121_1130:
	s_or_b64 exec, exec, s[8:9]
.LBB121_1131:
	buffer_load_dword v0, off, s[0:3], 0
	buffer_load_dword v1, off, s[0:3], 0 offset:4
	buffer_load_dword v118, off, s[0:3], 0 offset:8
	;; [unrolled: 1-line block ×47, first 2 shown]
	s_waitcnt vmcnt(47)
	global_store_dword v[110:111], v0, off
	s_waitcnt vmcnt(47)
	global_store_dword v[114:115], v1, off
	;; [unrolled: 2-line block ×3, first 2 shown]
	buffer_load_dword v0, off, s[0:3], 0 offset:192
	buffer_load_dword v1, off, s[0:3], 0 offset:196
	s_nop 0
	buffer_load_dword v4, off, s[0:3], 0 offset:200
	buffer_load_dword v5, off, s[0:3], 0 offset:204
	;; [unrolled: 1-line block ×6, first 2 shown]
	s_waitcnt vmcnt(55)
	global_store_dword v[2:3], v119, off
	buffer_load_dword v2, off, s[0:3], 0 offset:224
	s_nop 0
	buffer_load_dword v3, off, s[0:3], 0 offset:228
	s_waitcnt vmcnt(57)
	global_store_dword v[6:7], v120, off
	s_waitcnt vmcnt(57)
	global_store_dword v[8:9], v121, off
	;; [unrolled: 2-line block ×54, first 2 shown]
.LBB121_1132:
	s_endpgm
	.section	.rodata,"a",@progbits
	.p2align	6, 0x0
	.amdhsa_kernel _ZN9rocsolver6v33100L18trti2_kernel_smallILi58EfPKPfEEv13rocblas_fill_17rocblas_diagonal_T1_iil
		.amdhsa_group_segment_fixed_size 472
		.amdhsa_private_segment_fixed_size 240
		.amdhsa_kernarg_size 32
		.amdhsa_user_sgpr_count 8
		.amdhsa_user_sgpr_private_segment_buffer 1
		.amdhsa_user_sgpr_dispatch_ptr 0
		.amdhsa_user_sgpr_queue_ptr 0
		.amdhsa_user_sgpr_kernarg_segment_ptr 1
		.amdhsa_user_sgpr_dispatch_id 0
		.amdhsa_user_sgpr_flat_scratch_init 1
		.amdhsa_user_sgpr_kernarg_preload_length 0
		.amdhsa_user_sgpr_kernarg_preload_offset 0
		.amdhsa_user_sgpr_private_segment_size 0
		.amdhsa_uses_dynamic_stack 0
		.amdhsa_system_sgpr_private_segment_wavefront_offset 1
		.amdhsa_system_sgpr_workgroup_id_x 1
		.amdhsa_system_sgpr_workgroup_id_y 0
		.amdhsa_system_sgpr_workgroup_id_z 0
		.amdhsa_system_sgpr_workgroup_info 0
		.amdhsa_system_vgpr_workitem_id 0
		.amdhsa_next_free_vgpr 164
		.amdhsa_next_free_sgpr 16
		.amdhsa_accum_offset 164
		.amdhsa_reserve_vcc 1
		.amdhsa_reserve_flat_scratch 0
		.amdhsa_float_round_mode_32 0
		.amdhsa_float_round_mode_16_64 0
		.amdhsa_float_denorm_mode_32 3
		.amdhsa_float_denorm_mode_16_64 3
		.amdhsa_dx10_clamp 1
		.amdhsa_ieee_mode 1
		.amdhsa_fp16_overflow 0
		.amdhsa_tg_split 0
		.amdhsa_exception_fp_ieee_invalid_op 0
		.amdhsa_exception_fp_denorm_src 0
		.amdhsa_exception_fp_ieee_div_zero 0
		.amdhsa_exception_fp_ieee_overflow 0
		.amdhsa_exception_fp_ieee_underflow 0
		.amdhsa_exception_fp_ieee_inexact 0
		.amdhsa_exception_int_div_zero 0
	.end_amdhsa_kernel
	.section	.text._ZN9rocsolver6v33100L18trti2_kernel_smallILi58EfPKPfEEv13rocblas_fill_17rocblas_diagonal_T1_iil,"axG",@progbits,_ZN9rocsolver6v33100L18trti2_kernel_smallILi58EfPKPfEEv13rocblas_fill_17rocblas_diagonal_T1_iil,comdat
.Lfunc_end121:
	.size	_ZN9rocsolver6v33100L18trti2_kernel_smallILi58EfPKPfEEv13rocblas_fill_17rocblas_diagonal_T1_iil, .Lfunc_end121-_ZN9rocsolver6v33100L18trti2_kernel_smallILi58EfPKPfEEv13rocblas_fill_17rocblas_diagonal_T1_iil
                                        ; -- End function
	.section	.AMDGPU.csdata,"",@progbits
; Kernel info:
; codeLenInByte = 28484
; NumSgprs: 20
; NumVgprs: 164
; NumAgprs: 0
; TotalNumVgprs: 164
; ScratchSize: 240
; MemoryBound: 0
; FloatMode: 240
; IeeeMode: 1
; LDSByteSize: 472 bytes/workgroup (compile time only)
; SGPRBlocks: 2
; VGPRBlocks: 20
; NumSGPRsForWavesPerEU: 20
; NumVGPRsForWavesPerEU: 164
; AccumOffset: 164
; Occupancy: 3
; WaveLimiterHint : 1
; COMPUTE_PGM_RSRC2:SCRATCH_EN: 1
; COMPUTE_PGM_RSRC2:USER_SGPR: 8
; COMPUTE_PGM_RSRC2:TRAP_HANDLER: 0
; COMPUTE_PGM_RSRC2:TGID_X_EN: 1
; COMPUTE_PGM_RSRC2:TGID_Y_EN: 0
; COMPUTE_PGM_RSRC2:TGID_Z_EN: 0
; COMPUTE_PGM_RSRC2:TIDIG_COMP_CNT: 0
; COMPUTE_PGM_RSRC3_GFX90A:ACCUM_OFFSET: 40
; COMPUTE_PGM_RSRC3_GFX90A:TG_SPLIT: 0
	.section	.text._ZN9rocsolver6v33100L18trti2_kernel_smallILi59EfPKPfEEv13rocblas_fill_17rocblas_diagonal_T1_iil,"axG",@progbits,_ZN9rocsolver6v33100L18trti2_kernel_smallILi59EfPKPfEEv13rocblas_fill_17rocblas_diagonal_T1_iil,comdat
	.globl	_ZN9rocsolver6v33100L18trti2_kernel_smallILi59EfPKPfEEv13rocblas_fill_17rocblas_diagonal_T1_iil ; -- Begin function _ZN9rocsolver6v33100L18trti2_kernel_smallILi59EfPKPfEEv13rocblas_fill_17rocblas_diagonal_T1_iil
	.p2align	8
	.type	_ZN9rocsolver6v33100L18trti2_kernel_smallILi59EfPKPfEEv13rocblas_fill_17rocblas_diagonal_T1_iil,@function
_ZN9rocsolver6v33100L18trti2_kernel_smallILi59EfPKPfEEv13rocblas_fill_17rocblas_diagonal_T1_iil: ; @_ZN9rocsolver6v33100L18trti2_kernel_smallILi59EfPKPfEEv13rocblas_fill_17rocblas_diagonal_T1_iil
; %bb.0:
	s_add_u32 s0, s0, s9
	s_addc_u32 s1, s1, 0
	v_cmp_gt_u32_e32 vcc, 59, v0
	s_and_saveexec_b64 s[6:7], vcc
	s_cbranch_execz .LBB122_1152
; %bb.1:
	s_load_dwordx2 s[6:7], s[4:5], 0x10
	s_load_dwordx4 s[12:15], s[4:5], 0x0
	s_ashr_i32 s9, s8, 31
	s_lshl_b64 s[4:5], s[8:9], 3
	v_lshlrev_b32_e32 v1, 2, v0
	s_waitcnt lgkmcnt(0)
	s_ashr_i32 s9, s6, 31
	s_add_u32 s4, s14, s4
	s_addc_u32 s5, s15, s5
	s_load_dwordx2 s[4:5], s[4:5], 0x0
	s_mov_b32 s8, s6
	s_lshl_b64 s[8:9], s[8:9], 2
	s_waitcnt lgkmcnt(0)
	s_add_u32 s4, s4, s8
	s_addc_u32 s5, s5, s9
	v_mov_b32_e32 v2, s5
	v_add_co_u32_e32 v4, vcc, s4, v1
	s_ashr_i32 s9, s7, 31
	s_mov_b32 s8, s7
	s_add_i32 s6, s7, s7
	v_addc_co_u32_e32 v5, vcc, 0, v2, vcc
	s_lshl_b64 s[8:9], s[8:9], 2
	v_add_u32_e32 v8, s6, v0
	v_mov_b32_e32 v3, s9
	v_add_co_u32_e32 v2, vcc, s8, v4
	v_ashrrev_i32_e32 v9, 31, v8
	v_addc_co_u32_e32 v3, vcc, v5, v3, vcc
	v_lshlrev_b64 v[6:7], 2, v[8:9]
	v_add_u32_e32 v10, s7, v8
	v_mov_b32_e32 v9, s5
	v_add_co_u32_e32 v6, vcc, s4, v6
	v_ashrrev_i32_e32 v11, 31, v10
	v_addc_co_u32_e32 v7, vcc, v9, v7, vcc
	v_lshlrev_b64 v[8:9], 2, v[10:11]
	v_add_u32_e32 v12, s7, v10
	v_mov_b32_e32 v11, s5
	v_add_co_u32_e32 v8, vcc, s4, v8
	v_ashrrev_i32_e32 v13, 31, v12
	v_addc_co_u32_e32 v9, vcc, v11, v9, vcc
	v_lshlrev_b64 v[10:11], 2, v[12:13]
	v_add_u32_e32 v14, s7, v12
	v_mov_b32_e32 v13, s5
	v_add_co_u32_e32 v10, vcc, s4, v10
	v_ashrrev_i32_e32 v15, 31, v14
	v_addc_co_u32_e32 v11, vcc, v13, v11, vcc
	v_lshlrev_b64 v[12:13], 2, v[14:15]
	v_add_u32_e32 v16, s7, v14
	v_mov_b32_e32 v15, s5
	v_add_co_u32_e32 v12, vcc, s4, v12
	v_ashrrev_i32_e32 v17, 31, v16
	v_addc_co_u32_e32 v13, vcc, v15, v13, vcc
	v_lshlrev_b64 v[14:15], 2, v[16:17]
	v_add_u32_e32 v18, s7, v16
	v_mov_b32_e32 v17, s5
	v_add_co_u32_e32 v14, vcc, s4, v14
	v_ashrrev_i32_e32 v19, 31, v18
	v_addc_co_u32_e32 v15, vcc, v17, v15, vcc
	v_lshlrev_b64 v[16:17], 2, v[18:19]
	v_add_u32_e32 v20, s7, v18
	v_mov_b32_e32 v19, s5
	v_add_co_u32_e32 v16, vcc, s4, v16
	v_ashrrev_i32_e32 v21, 31, v20
	v_addc_co_u32_e32 v17, vcc, v19, v17, vcc
	v_lshlrev_b64 v[18:19], 2, v[20:21]
	v_mov_b32_e32 v21, s5
	v_add_co_u32_e32 v18, vcc, s4, v18
	global_load_dword v33, v1, s[4:5]
	v_addc_co_u32_e32 v19, vcc, v21, v19, vcc
	global_load_dword v35, v[2:3], off
	global_load_dword v37, v[6:7], off
	;; [unrolled: 1-line block ×8, first 2 shown]
	v_add_u32_e32 v22, s7, v20
	v_ashrrev_i32_e32 v23, 31, v22
	v_lshlrev_b64 v[20:21], 2, v[22:23]
	v_add_u32_e32 v24, s7, v22
	v_mov_b32_e32 v23, s5
	v_add_co_u32_e32 v20, vcc, s4, v20
	v_ashrrev_i32_e32 v25, 31, v24
	v_addc_co_u32_e32 v21, vcc, v23, v21, vcc
	v_lshlrev_b64 v[22:23], 2, v[24:25]
	v_add_u32_e32 v26, s7, v24
	v_mov_b32_e32 v25, s5
	v_add_co_u32_e32 v22, vcc, s4, v22
	v_ashrrev_i32_e32 v27, 31, v26
	v_addc_co_u32_e32 v23, vcc, v25, v23, vcc
	;; [unrolled: 6-line block ×4, first 2 shown]
	v_lshlrev_b64 v[28:29], 2, v[30:31]
	v_mov_b32_e32 v31, s5
	v_add_co_u32_e32 v28, vcc, s4, v28
	v_addc_co_u32_e32 v29, vcc, v31, v29, vcc
	global_load_dword v53, v[20:21], off
	global_load_dword v51, v[22:23], off
	;; [unrolled: 1-line block ×5, first 2 shown]
	v_add_u32_e32 v32, s7, v30
	v_add_u32_e32 v34, s7, v32
	;; [unrolled: 1-line block ×45, first 2 shown]
	v_ashrrev_i32_e32 v31, 31, v30
	v_lshlrev_b64 v[30:31], 2, v[30:31]
	v_mov_b32_e32 v61, s5
	v_add_co_u32_e32 v30, vcc, s4, v30
	v_addc_co_u32_e32 v31, vcc, v61, v31, vcc
	global_load_dword v120, v[30:31], off
	s_waitcnt vmcnt(14)
	buffer_store_dword v33, off, s[0:3], 0
	s_waitcnt vmcnt(14)
	buffer_store_dword v35, off, s[0:3], 0 offset:4
	s_waitcnt vmcnt(14)
	buffer_store_dword v37, off, s[0:3], 0 offset:8
	;; [unrolled: 2-line block ×8, first 2 shown]
	v_ashrrev_i32_e32 v33, 31, v32
	v_lshlrev_b64 v[32:33], 2, v[32:33]
	v_mov_b32_e32 v35, s5
	v_add_co_u32_e32 v32, vcc, s4, v32
	v_addc_co_u32_e32 v33, vcc, v35, v33, vcc
	v_ashrrev_i32_e32 v35, 31, v34
	v_lshlrev_b64 v[34:35], 2, v[34:35]
	v_mov_b32_e32 v37, s5
	v_add_co_u32_e32 v34, vcc, s4, v34
	v_addc_co_u32_e32 v35, vcc, v37, v35, vcc
	;; [unrolled: 5-line block ×8, first 2 shown]
	v_ashrrev_i32_e32 v49, 31, v48
	v_lshlrev_b64 v[48:49], 2, v[48:49]
	global_load_dword v121, v[32:33], off
	global_load_dword v122, v[34:35], off
	global_load_dword v123, v[36:37], off
	s_waitcnt vmcnt(17)
	buffer_store_dword v53, off, s[0:3], 0 offset:36
	s_waitcnt vmcnt(16)
	buffer_store_dword v59, off, s[0:3], 0 offset:44
	buffer_store_dword v51, off, s[0:3], 0 offset:40
	s_waitcnt vmcnt(17)
	buffer_store_dword v55, off, s[0:3], 0 offset:48
	s_waitcnt vmcnt(17)
	buffer_store_dword v57, off, s[0:3], 0 offset:52
	v_mov_b32_e32 v51, s5
	v_add_co_u32_e32 v48, vcc, s4, v48
	v_addc_co_u32_e32 v49, vcc, v51, v49, vcc
	v_ashrrev_i32_e32 v51, 31, v50
	v_lshlrev_b64 v[50:51], 2, v[50:51]
	v_mov_b32_e32 v53, s5
	v_add_co_u32_e32 v50, vcc, s4, v50
	v_addc_co_u32_e32 v51, vcc, v53, v51, vcc
	v_ashrrev_i32_e32 v53, 31, v52
	v_lshlrev_b64 v[52:53], 2, v[52:53]
	;; [unrolled: 5-line block ×5, first 2 shown]
	v_add_co_u32_e32 v58, vcc, s4, v58
	v_addc_co_u32_e32 v59, vcc, v61, v59, vcc
	v_ashrrev_i32_e32 v61, 31, v60
	v_lshlrev_b64 v[60:61], 2, v[60:61]
	v_mov_b32_e32 v63, s5
	v_add_co_u32_e32 v60, vcc, s4, v60
	v_addc_co_u32_e32 v61, vcc, v63, v61, vcc
	v_ashrrev_i32_e32 v63, 31, v62
	v_lshlrev_b64 v[62:63], 2, v[62:63]
	v_mov_b32_e32 v65, s5
	;; [unrolled: 5-line block ×30, first 2 shown]
	v_add_co_u32_e32 v118, vcc, s4, v118
	global_load_dword v124, v[38:39], off
	global_load_dword v125, v[40:41], off
	;; [unrolled: 1-line block ×32, first 2 shown]
	v_addc_co_u32_e32 v119, vcc, v149, v119, vcc
	global_load_dword v157, v[102:103], off
	global_load_dword v158, v[104:105], off
	;; [unrolled: 1-line block ×8, first 2 shown]
	s_cmpk_lg_i32 s13, 0x84
	s_waitcnt vmcnt(47)
	buffer_store_dword v121, off, s[0:3], 0 offset:56
	global_load_dword v121, v[116:117], off
	v_mov_b32_e32 v149, 0
	s_waitcnt vmcnt(48)
	buffer_store_dword v122, off, s[0:3], 0 offset:60
	s_waitcnt vmcnt(48)
	buffer_store_dword v123, off, s[0:3], 0 offset:64
	;; [unrolled: 2-line block ×6, first 2 shown]
	buffer_store_dword v127, off, s[0:3], 0 offset:80
	s_waitcnt vmcnt(42)
	buffer_store_dword v130, off, s[0:3], 0 offset:92
	buffer_store_dword v129, off, s[0:3], 0 offset:88
	s_waitcnt vmcnt(42)
	buffer_store_dword v132, off, s[0:3], 0 offset:100
	;; [unrolled: 3-line block ×18, first 2 shown]
	s_waitcnt vmcnt(42)
	buffer_store_dword v121, off, s[0:3], 0 offset:224
	buffer_store_dword v120, off, s[0:3], 0 offset:232
	s_cselect_b64 s[10:11], -1, 0
	s_cmpk_eq_i32 s13, 0x84
	v_mov_b32_e32 v120, -1.0
	s_cbranch_scc1 .LBB122_3
; %bb.2:
	v_lshl_add_u32 v120, v0, 2, v149
	buffer_load_dword v121, v120, s[0:3], 0 offen
	s_waitcnt vmcnt(0)
	v_div_scale_f32 v122, s[4:5], v121, v121, 1.0
	v_rcp_f32_e32 v123, v122
	v_div_scale_f32 v124, vcc, 1.0, v121, 1.0
	v_fma_f32 v125, -v122, v123, 1.0
	v_fmac_f32_e32 v123, v125, v123
	v_mul_f32_e32 v125, v124, v123
	v_fma_f32 v126, -v122, v125, v124
	v_fmac_f32_e32 v125, v126, v123
	v_fma_f32 v122, -v122, v125, v124
	v_div_fmas_f32 v122, v122, v123, v125
	v_div_fixup_f32 v121, v122, v121, 1.0
	buffer_store_dword v121, v120, s[0:3], 0 offen
	v_xor_b32_e32 v120, 0x80000000, v121
.LBB122_3:
	ds_write_b32 v1, v120
	s_cmpk_eq_i32 s12, 0x79
	v_add_u32_e32 v120, 0xf0, v1
	v_add_u32_e32 v121, 0, v1
	s_mov_b64 s[4:5], -1
	s_cbranch_scc1 .LBB122_577
; %bb.4:
	buffer_load_dword v122, off, s[0:3], 0 offset:228
	v_cmp_eq_u32_e64 s[4:5], 58, v0
	s_waitcnt vmcnt(0)
	ds_write_b32 v120, v122
	s_waitcnt lgkmcnt(0)
	; wave barrier
	s_waitcnt lgkmcnt(0)
	s_and_saveexec_b64 s[6:7], s[4:5]
	s_cbranch_execz .LBB122_10
; %bb.5:
	s_and_b64 vcc, exec, s[10:11]
	s_cbranch_vccz .LBB122_7
; %bb.6:
	buffer_load_dword v122, v121, s[0:3], 0 offen
	ds_read_b32 v123, v120
	s_waitcnt vmcnt(0) lgkmcnt(0)
	v_mul_f32_e32 v122, v122, v123
	s_cbranch_execz .LBB122_8
	s_branch .LBB122_9
.LBB122_7:
                                        ; implicit-def: $vgpr122
.LBB122_8:
	ds_read_b32 v122, v120
.LBB122_9:
	v_mov_b32_e32 v123, 0
	ds_read_b32 v123, v123 offset:228
	s_waitcnt lgkmcnt(0)
	v_mul_f32_e32 v122, v122, v123
	buffer_store_dword v122, off, s[0:3], 0 offset:228
.LBB122_10:
	s_or_b64 exec, exec, s[6:7]
	buffer_load_dword v150, off, s[0:3], 0 offset:224
	v_or_b32_e32 v122, 8, v149
	v_add_u32_e32 v123, 16, v149
	v_add_u32_e32 v124, 24, v149
	;; [unrolled: 1-line block ×27, first 2 shown]
	v_cmp_lt_u32_e64 s[8:9], 56, v0
	s_waitcnt vmcnt(0)
	ds_write_b32 v120, v150
	s_waitcnt lgkmcnt(0)
	; wave barrier
	s_waitcnt lgkmcnt(0)
	s_and_saveexec_b64 s[6:7], s[8:9]
	s_cbranch_execz .LBB122_16
; %bb.11:
	s_andn2_b64 vcc, exec, s[10:11]
	s_cbranch_vccnz .LBB122_13
; %bb.12:
	buffer_load_dword v150, v121, s[0:3], 0 offen
	ds_read_b32 v151, v120
	s_waitcnt vmcnt(0) lgkmcnt(0)
	v_mul_f32_e32 v150, v150, v151
	s_cbranch_execz .LBB122_14
	s_branch .LBB122_15
.LBB122_13:
                                        ; implicit-def: $vgpr150
.LBB122_14:
	ds_read_b32 v150, v120
.LBB122_15:
	buffer_load_dword v151, off, s[0:3], 0 offset:228
	v_mov_b32_e32 v152, 0
	ds_read2_b32 v[152:153], v152 offset0:56 offset1:117
	s_waitcnt vmcnt(0) lgkmcnt(0)
	v_fma_f32 v151, v151, v153, v150
	v_cndmask_b32_e64 v150, v150, v151, s[4:5]
	v_mul_f32_e32 v150, v150, v152
	buffer_store_dword v150, off, s[0:3], 0 offset:224
.LBB122_16:
	s_or_b64 exec, exec, s[6:7]
	buffer_load_dword v150, off, s[0:3], 0 offset:220
	v_cmp_lt_u32_e64 s[6:7], 55, v0
	s_waitcnt vmcnt(0)
	ds_write_b32 v120, v150
	s_waitcnt lgkmcnt(0)
	; wave barrier
	s_waitcnt lgkmcnt(0)
	s_and_saveexec_b64 s[4:5], s[6:7]
	s_cbranch_execz .LBB122_26
; %bb.17:
	s_andn2_b64 vcc, exec, s[10:11]
	s_cbranch_vccnz .LBB122_19
; %bb.18:
	buffer_load_dword v150, v121, s[0:3], 0 offen
	ds_read_b32 v151, v120
	s_waitcnt vmcnt(0) lgkmcnt(0)
	v_mul_f32_e32 v150, v150, v151
	s_cbranch_execz .LBB122_20
	s_branch .LBB122_21
.LBB122_19:
                                        ; implicit-def: $vgpr150
.LBB122_20:
	ds_read_b32 v150, v120
.LBB122_21:
	s_and_saveexec_b64 s[12:13], s[8:9]
	s_cbranch_execz .LBB122_25
; %bb.22:
	v_subrev_u32_e32 v151, 56, v0
	s_movk_i32 s14, 0x1d0
	s_mov_b64 s[8:9], 0
.LBB122_23:                             ; =>This Inner Loop Header: Depth=1
	buffer_load_dword v152, v149, s[0:3], 0 offen
	v_mov_b32_e32 v153, s14
	ds_read_b32 v153, v153
	v_add_u32_e32 v151, -1, v151
	s_add_i32 s14, s14, 4
	v_cmp_eq_u32_e32 vcc, 0, v151
	v_add_u32_e32 v149, 4, v149
	s_or_b64 s[8:9], vcc, s[8:9]
	s_waitcnt vmcnt(0) lgkmcnt(0)
	v_fmac_f32_e32 v150, v152, v153
	s_andn2_b64 exec, exec, s[8:9]
	s_cbranch_execnz .LBB122_23
; %bb.24:
	s_or_b64 exec, exec, s[8:9]
.LBB122_25:
	s_or_b64 exec, exec, s[12:13]
	v_mov_b32_e32 v149, 0
	ds_read_b32 v149, v149 offset:220
	s_waitcnt lgkmcnt(0)
	v_mul_f32_e32 v149, v150, v149
	buffer_store_dword v149, off, s[0:3], 0 offset:220
.LBB122_26:
	s_or_b64 exec, exec, s[4:5]
	buffer_load_dword v149, off, s[0:3], 0 offset:216
	v_cmp_lt_u32_e64 s[4:5], 54, v0
	s_waitcnt vmcnt(0)
	ds_write_b32 v120, v149
	s_waitcnt lgkmcnt(0)
	; wave barrier
	s_waitcnt lgkmcnt(0)
	s_and_saveexec_b64 s[8:9], s[4:5]
	s_cbranch_execz .LBB122_36
; %bb.27:
	s_andn2_b64 vcc, exec, s[10:11]
	s_cbranch_vccnz .LBB122_29
; %bb.28:
	buffer_load_dword v149, v121, s[0:3], 0 offen
	ds_read_b32 v150, v120
	s_waitcnt vmcnt(0) lgkmcnt(0)
	v_mul_f32_e32 v149, v149, v150
	s_cbranch_execz .LBB122_30
	s_branch .LBB122_31
.LBB122_29:
                                        ; implicit-def: $vgpr149
.LBB122_30:
	ds_read_b32 v149, v120
.LBB122_31:
	s_and_saveexec_b64 s[12:13], s[6:7]
	s_cbranch_execz .LBB122_35
; %bb.32:
	v_mov_b32_e32 v150, 0
	v_add_u32_e32 v150, 0xdc, v150
	v_subrev_u32_e32 v151, 55, v0
	s_movk_i32 s14, 0x1cc
	s_mov_b64 s[6:7], 0
.LBB122_33:                             ; =>This Inner Loop Header: Depth=1
	buffer_load_dword v152, v150, s[0:3], 0 offen
	v_mov_b32_e32 v153, s14
	ds_read_b32 v153, v153
	v_add_u32_e32 v151, -1, v151
	s_add_i32 s14, s14, 4
	v_cmp_eq_u32_e32 vcc, 0, v151
	v_add_u32_e32 v150, 4, v150
	s_or_b64 s[6:7], vcc, s[6:7]
	s_waitcnt vmcnt(0) lgkmcnt(0)
	v_fmac_f32_e32 v149, v152, v153
	s_andn2_b64 exec, exec, s[6:7]
	s_cbranch_execnz .LBB122_33
; %bb.34:
	s_or_b64 exec, exec, s[6:7]
.LBB122_35:
	s_or_b64 exec, exec, s[12:13]
	v_mov_b32_e32 v150, 0
	ds_read_b32 v150, v150 offset:216
	s_waitcnt lgkmcnt(0)
	v_mul_f32_e32 v149, v149, v150
	buffer_store_dword v149, off, s[0:3], 0 offset:216
.LBB122_36:
	s_or_b64 exec, exec, s[8:9]
	buffer_load_dword v149, off, s[0:3], 0 offset:212
	v_cmp_lt_u32_e64 s[6:7], 53, v0
	s_waitcnt vmcnt(0)
	ds_write_b32 v120, v149
	s_waitcnt lgkmcnt(0)
	; wave barrier
	s_waitcnt lgkmcnt(0)
	s_and_saveexec_b64 s[8:9], s[6:7]
	s_cbranch_execz .LBB122_46
; %bb.37:
	s_andn2_b64 vcc, exec, s[10:11]
	s_cbranch_vccnz .LBB122_39
; %bb.38:
	buffer_load_dword v149, v121, s[0:3], 0 offen
	ds_read_b32 v150, v120
	s_waitcnt vmcnt(0) lgkmcnt(0)
	v_mul_f32_e32 v149, v149, v150
	s_cbranch_execz .LBB122_40
	s_branch .LBB122_41
.LBB122_39:
                                        ; implicit-def: $vgpr149
.LBB122_40:
	ds_read_b32 v149, v120
.LBB122_41:
	s_and_saveexec_b64 s[12:13], s[4:5]
	s_cbranch_execz .LBB122_45
; %bb.42:
	v_subrev_u32_e32 v150, 54, v0
	s_movk_i32 s14, 0x1c8
	s_mov_b64 s[4:5], 0
.LBB122_43:                             ; =>This Inner Loop Header: Depth=1
	buffer_load_dword v151, v148, s[0:3], 0 offen
	v_mov_b32_e32 v152, s14
	ds_read_b32 v152, v152
	v_add_u32_e32 v150, -1, v150
	s_add_i32 s14, s14, 4
	v_cmp_eq_u32_e32 vcc, 0, v150
	v_add_u32_e32 v148, 4, v148
	s_or_b64 s[4:5], vcc, s[4:5]
	s_waitcnt vmcnt(0) lgkmcnt(0)
	v_fmac_f32_e32 v149, v151, v152
	s_andn2_b64 exec, exec, s[4:5]
	s_cbranch_execnz .LBB122_43
; %bb.44:
	s_or_b64 exec, exec, s[4:5]
.LBB122_45:
	s_or_b64 exec, exec, s[12:13]
	v_mov_b32_e32 v148, 0
	ds_read_b32 v148, v148 offset:212
	s_waitcnt lgkmcnt(0)
	v_mul_f32_e32 v148, v149, v148
	buffer_store_dword v148, off, s[0:3], 0 offset:212
.LBB122_46:
	s_or_b64 exec, exec, s[8:9]
	buffer_load_dword v148, off, s[0:3], 0 offset:208
	v_cmp_lt_u32_e64 s[4:5], 52, v0
	s_waitcnt vmcnt(0)
	ds_write_b32 v120, v148
	s_waitcnt lgkmcnt(0)
	; wave barrier
	s_waitcnt lgkmcnt(0)
	s_and_saveexec_b64 s[8:9], s[4:5]
	s_cbranch_execz .LBB122_56
; %bb.47:
	s_andn2_b64 vcc, exec, s[10:11]
	s_cbranch_vccnz .LBB122_49
; %bb.48:
	buffer_load_dword v148, v121, s[0:3], 0 offen
	ds_read_b32 v149, v120
	s_waitcnt vmcnt(0) lgkmcnt(0)
	v_mul_f32_e32 v148, v148, v149
	s_cbranch_execz .LBB122_50
	s_branch .LBB122_51
.LBB122_49:
                                        ; implicit-def: $vgpr148
.LBB122_50:
	ds_read_b32 v148, v120
.LBB122_51:
	s_and_saveexec_b64 s[12:13], s[6:7]
	s_cbranch_execz .LBB122_55
; %bb.52:
	v_mov_b32_e32 v149, 0
	v_add_u32_e32 v149, 0xd4, v149
	v_subrev_u32_e32 v150, 53, v0
	s_movk_i32 s14, 0x1c4
	s_mov_b64 s[6:7], 0
.LBB122_53:                             ; =>This Inner Loop Header: Depth=1
	buffer_load_dword v151, v149, s[0:3], 0 offen
	v_mov_b32_e32 v152, s14
	ds_read_b32 v152, v152
	v_add_u32_e32 v150, -1, v150
	s_add_i32 s14, s14, 4
	v_cmp_eq_u32_e32 vcc, 0, v150
	v_add_u32_e32 v149, 4, v149
	s_or_b64 s[6:7], vcc, s[6:7]
	s_waitcnt vmcnt(0) lgkmcnt(0)
	v_fmac_f32_e32 v148, v151, v152
	s_andn2_b64 exec, exec, s[6:7]
	s_cbranch_execnz .LBB122_53
; %bb.54:
	s_or_b64 exec, exec, s[6:7]
.LBB122_55:
	s_or_b64 exec, exec, s[12:13]
	v_mov_b32_e32 v149, 0
	ds_read_b32 v149, v149 offset:208
	s_waitcnt lgkmcnt(0)
	v_mul_f32_e32 v148, v148, v149
	buffer_store_dword v148, off, s[0:3], 0 offset:208
.LBB122_56:
	s_or_b64 exec, exec, s[8:9]
	buffer_load_dword v148, off, s[0:3], 0 offset:204
	v_cmp_lt_u32_e64 s[6:7], 51, v0
	s_waitcnt vmcnt(0)
	ds_write_b32 v120, v148
	s_waitcnt lgkmcnt(0)
	; wave barrier
	s_waitcnt lgkmcnt(0)
	s_and_saveexec_b64 s[8:9], s[6:7]
	s_cbranch_execz .LBB122_66
; %bb.57:
	s_andn2_b64 vcc, exec, s[10:11]
	s_cbranch_vccnz .LBB122_59
; %bb.58:
	buffer_load_dword v148, v121, s[0:3], 0 offen
	ds_read_b32 v149, v120
	s_waitcnt vmcnt(0) lgkmcnt(0)
	v_mul_f32_e32 v148, v148, v149
	s_cbranch_execz .LBB122_60
	s_branch .LBB122_61
.LBB122_59:
                                        ; implicit-def: $vgpr148
.LBB122_60:
	ds_read_b32 v148, v120
.LBB122_61:
	s_and_saveexec_b64 s[12:13], s[4:5]
	s_cbranch_execz .LBB122_65
; %bb.62:
	v_subrev_u32_e32 v149, 52, v0
	s_movk_i32 s14, 0x1c0
	s_mov_b64 s[4:5], 0
.LBB122_63:                             ; =>This Inner Loop Header: Depth=1
	buffer_load_dword v150, v147, s[0:3], 0 offen
	v_mov_b32_e32 v151, s14
	ds_read_b32 v151, v151
	v_add_u32_e32 v149, -1, v149
	s_add_i32 s14, s14, 4
	v_cmp_eq_u32_e32 vcc, 0, v149
	v_add_u32_e32 v147, 4, v147
	s_or_b64 s[4:5], vcc, s[4:5]
	s_waitcnt vmcnt(0) lgkmcnt(0)
	v_fmac_f32_e32 v148, v150, v151
	s_andn2_b64 exec, exec, s[4:5]
	s_cbranch_execnz .LBB122_63
; %bb.64:
	s_or_b64 exec, exec, s[4:5]
.LBB122_65:
	s_or_b64 exec, exec, s[12:13]
	v_mov_b32_e32 v147, 0
	ds_read_b32 v147, v147 offset:204
	s_waitcnt lgkmcnt(0)
	v_mul_f32_e32 v147, v148, v147
	buffer_store_dword v147, off, s[0:3], 0 offset:204
.LBB122_66:
	s_or_b64 exec, exec, s[8:9]
	buffer_load_dword v147, off, s[0:3], 0 offset:200
	v_cmp_lt_u32_e64 s[4:5], 50, v0
	s_waitcnt vmcnt(0)
	ds_write_b32 v120, v147
	s_waitcnt lgkmcnt(0)
	; wave barrier
	s_waitcnt lgkmcnt(0)
	s_and_saveexec_b64 s[8:9], s[4:5]
	s_cbranch_execz .LBB122_76
; %bb.67:
	s_andn2_b64 vcc, exec, s[10:11]
	s_cbranch_vccnz .LBB122_69
; %bb.68:
	buffer_load_dword v147, v121, s[0:3], 0 offen
	ds_read_b32 v148, v120
	s_waitcnt vmcnt(0) lgkmcnt(0)
	v_mul_f32_e32 v147, v147, v148
	s_cbranch_execz .LBB122_70
	s_branch .LBB122_71
.LBB122_69:
                                        ; implicit-def: $vgpr147
.LBB122_70:
	ds_read_b32 v147, v120
.LBB122_71:
	s_and_saveexec_b64 s[12:13], s[6:7]
	s_cbranch_execz .LBB122_75
; %bb.72:
	v_mov_b32_e32 v148, 0
	v_add_u32_e32 v148, 0xcc, v148
	v_subrev_u32_e32 v149, 51, v0
	s_movk_i32 s14, 0x1bc
	s_mov_b64 s[6:7], 0
.LBB122_73:                             ; =>This Inner Loop Header: Depth=1
	buffer_load_dword v150, v148, s[0:3], 0 offen
	v_mov_b32_e32 v151, s14
	ds_read_b32 v151, v151
	v_add_u32_e32 v149, -1, v149
	s_add_i32 s14, s14, 4
	v_cmp_eq_u32_e32 vcc, 0, v149
	v_add_u32_e32 v148, 4, v148
	s_or_b64 s[6:7], vcc, s[6:7]
	s_waitcnt vmcnt(0) lgkmcnt(0)
	v_fmac_f32_e32 v147, v150, v151
	s_andn2_b64 exec, exec, s[6:7]
	s_cbranch_execnz .LBB122_73
; %bb.74:
	s_or_b64 exec, exec, s[6:7]
.LBB122_75:
	s_or_b64 exec, exec, s[12:13]
	v_mov_b32_e32 v148, 0
	ds_read_b32 v148, v148 offset:200
	s_waitcnt lgkmcnt(0)
	v_mul_f32_e32 v147, v147, v148
	buffer_store_dword v147, off, s[0:3], 0 offset:200
.LBB122_76:
	s_or_b64 exec, exec, s[8:9]
	buffer_load_dword v147, off, s[0:3], 0 offset:196
	v_cmp_lt_u32_e64 s[6:7], 49, v0
	s_waitcnt vmcnt(0)
	ds_write_b32 v120, v147
	s_waitcnt lgkmcnt(0)
	; wave barrier
	s_waitcnt lgkmcnt(0)
	s_and_saveexec_b64 s[8:9], s[6:7]
	s_cbranch_execz .LBB122_86
; %bb.77:
	s_andn2_b64 vcc, exec, s[10:11]
	s_cbranch_vccnz .LBB122_79
; %bb.78:
	buffer_load_dword v147, v121, s[0:3], 0 offen
	ds_read_b32 v148, v120
	s_waitcnt vmcnt(0) lgkmcnt(0)
	v_mul_f32_e32 v147, v147, v148
	s_cbranch_execz .LBB122_80
	s_branch .LBB122_81
.LBB122_79:
                                        ; implicit-def: $vgpr147
.LBB122_80:
	ds_read_b32 v147, v120
.LBB122_81:
	s_and_saveexec_b64 s[12:13], s[4:5]
	s_cbranch_execz .LBB122_85
; %bb.82:
	v_subrev_u32_e32 v148, 50, v0
	s_movk_i32 s14, 0x1b8
	s_mov_b64 s[4:5], 0
.LBB122_83:                             ; =>This Inner Loop Header: Depth=1
	buffer_load_dword v149, v146, s[0:3], 0 offen
	v_mov_b32_e32 v150, s14
	ds_read_b32 v150, v150
	v_add_u32_e32 v148, -1, v148
	s_add_i32 s14, s14, 4
	v_cmp_eq_u32_e32 vcc, 0, v148
	v_add_u32_e32 v146, 4, v146
	s_or_b64 s[4:5], vcc, s[4:5]
	s_waitcnt vmcnt(0) lgkmcnt(0)
	v_fmac_f32_e32 v147, v149, v150
	s_andn2_b64 exec, exec, s[4:5]
	s_cbranch_execnz .LBB122_83
; %bb.84:
	s_or_b64 exec, exec, s[4:5]
.LBB122_85:
	s_or_b64 exec, exec, s[12:13]
	v_mov_b32_e32 v146, 0
	ds_read_b32 v146, v146 offset:196
	s_waitcnt lgkmcnt(0)
	v_mul_f32_e32 v146, v147, v146
	buffer_store_dword v146, off, s[0:3], 0 offset:196
.LBB122_86:
	s_or_b64 exec, exec, s[8:9]
	buffer_load_dword v146, off, s[0:3], 0 offset:192
	v_cmp_lt_u32_e64 s[4:5], 48, v0
	s_waitcnt vmcnt(0)
	ds_write_b32 v120, v146
	s_waitcnt lgkmcnt(0)
	; wave barrier
	s_waitcnt lgkmcnt(0)
	s_and_saveexec_b64 s[8:9], s[4:5]
	s_cbranch_execz .LBB122_96
; %bb.87:
	s_andn2_b64 vcc, exec, s[10:11]
	s_cbranch_vccnz .LBB122_89
; %bb.88:
	buffer_load_dword v146, v121, s[0:3], 0 offen
	ds_read_b32 v147, v120
	s_waitcnt vmcnt(0) lgkmcnt(0)
	v_mul_f32_e32 v146, v146, v147
	s_cbranch_execz .LBB122_90
	s_branch .LBB122_91
.LBB122_89:
                                        ; implicit-def: $vgpr146
.LBB122_90:
	ds_read_b32 v146, v120
.LBB122_91:
	s_and_saveexec_b64 s[12:13], s[6:7]
	s_cbranch_execz .LBB122_95
; %bb.92:
	v_mov_b32_e32 v147, 0
	v_add_u32_e32 v147, 0xc4, v147
	v_subrev_u32_e32 v148, 49, v0
	s_movk_i32 s14, 0x1b4
	s_mov_b64 s[6:7], 0
.LBB122_93:                             ; =>This Inner Loop Header: Depth=1
	buffer_load_dword v149, v147, s[0:3], 0 offen
	v_mov_b32_e32 v150, s14
	ds_read_b32 v150, v150
	v_add_u32_e32 v148, -1, v148
	s_add_i32 s14, s14, 4
	v_cmp_eq_u32_e32 vcc, 0, v148
	v_add_u32_e32 v147, 4, v147
	s_or_b64 s[6:7], vcc, s[6:7]
	s_waitcnt vmcnt(0) lgkmcnt(0)
	v_fmac_f32_e32 v146, v149, v150
	s_andn2_b64 exec, exec, s[6:7]
	s_cbranch_execnz .LBB122_93
; %bb.94:
	s_or_b64 exec, exec, s[6:7]
.LBB122_95:
	s_or_b64 exec, exec, s[12:13]
	v_mov_b32_e32 v147, 0
	ds_read_b32 v147, v147 offset:192
	s_waitcnt lgkmcnt(0)
	v_mul_f32_e32 v146, v146, v147
	buffer_store_dword v146, off, s[0:3], 0 offset:192
.LBB122_96:
	s_or_b64 exec, exec, s[8:9]
	buffer_load_dword v146, off, s[0:3], 0 offset:188
	v_cmp_lt_u32_e64 s[6:7], 47, v0
	s_waitcnt vmcnt(0)
	ds_write_b32 v120, v146
	s_waitcnt lgkmcnt(0)
	; wave barrier
	s_waitcnt lgkmcnt(0)
	s_and_saveexec_b64 s[8:9], s[6:7]
	s_cbranch_execz .LBB122_106
; %bb.97:
	s_andn2_b64 vcc, exec, s[10:11]
	s_cbranch_vccnz .LBB122_99
; %bb.98:
	buffer_load_dword v146, v121, s[0:3], 0 offen
	ds_read_b32 v147, v120
	s_waitcnt vmcnt(0) lgkmcnt(0)
	v_mul_f32_e32 v146, v146, v147
	s_cbranch_execz .LBB122_100
	s_branch .LBB122_101
.LBB122_99:
                                        ; implicit-def: $vgpr146
.LBB122_100:
	ds_read_b32 v146, v120
.LBB122_101:
	s_and_saveexec_b64 s[12:13], s[4:5]
	s_cbranch_execz .LBB122_105
; %bb.102:
	v_subrev_u32_e32 v147, 48, v0
	s_movk_i32 s14, 0x1b0
	s_mov_b64 s[4:5], 0
.LBB122_103:                            ; =>This Inner Loop Header: Depth=1
	buffer_load_dword v148, v145, s[0:3], 0 offen
	v_mov_b32_e32 v149, s14
	ds_read_b32 v149, v149
	v_add_u32_e32 v147, -1, v147
	s_add_i32 s14, s14, 4
	v_cmp_eq_u32_e32 vcc, 0, v147
	v_add_u32_e32 v145, 4, v145
	s_or_b64 s[4:5], vcc, s[4:5]
	s_waitcnt vmcnt(0) lgkmcnt(0)
	v_fmac_f32_e32 v146, v148, v149
	s_andn2_b64 exec, exec, s[4:5]
	s_cbranch_execnz .LBB122_103
; %bb.104:
	s_or_b64 exec, exec, s[4:5]
.LBB122_105:
	s_or_b64 exec, exec, s[12:13]
	v_mov_b32_e32 v145, 0
	ds_read_b32 v145, v145 offset:188
	s_waitcnt lgkmcnt(0)
	v_mul_f32_e32 v145, v146, v145
	buffer_store_dword v145, off, s[0:3], 0 offset:188
.LBB122_106:
	s_or_b64 exec, exec, s[8:9]
	buffer_load_dword v145, off, s[0:3], 0 offset:184
	v_cmp_lt_u32_e64 s[4:5], 46, v0
	s_waitcnt vmcnt(0)
	ds_write_b32 v120, v145
	s_waitcnt lgkmcnt(0)
	; wave barrier
	s_waitcnt lgkmcnt(0)
	s_and_saveexec_b64 s[8:9], s[4:5]
	s_cbranch_execz .LBB122_116
; %bb.107:
	s_andn2_b64 vcc, exec, s[10:11]
	s_cbranch_vccnz .LBB122_109
; %bb.108:
	buffer_load_dword v145, v121, s[0:3], 0 offen
	ds_read_b32 v146, v120
	s_waitcnt vmcnt(0) lgkmcnt(0)
	v_mul_f32_e32 v145, v145, v146
	s_cbranch_execz .LBB122_110
	s_branch .LBB122_111
.LBB122_109:
                                        ; implicit-def: $vgpr145
.LBB122_110:
	ds_read_b32 v145, v120
.LBB122_111:
	s_and_saveexec_b64 s[12:13], s[6:7]
	s_cbranch_execz .LBB122_115
; %bb.112:
	v_mov_b32_e32 v146, 0
	v_add_u32_e32 v146, 0xbc, v146
	v_subrev_u32_e32 v147, 47, v0
	s_movk_i32 s14, 0x1ac
	s_mov_b64 s[6:7], 0
.LBB122_113:                            ; =>This Inner Loop Header: Depth=1
	buffer_load_dword v148, v146, s[0:3], 0 offen
	v_mov_b32_e32 v149, s14
	ds_read_b32 v149, v149
	v_add_u32_e32 v147, -1, v147
	s_add_i32 s14, s14, 4
	v_cmp_eq_u32_e32 vcc, 0, v147
	v_add_u32_e32 v146, 4, v146
	s_or_b64 s[6:7], vcc, s[6:7]
	s_waitcnt vmcnt(0) lgkmcnt(0)
	v_fmac_f32_e32 v145, v148, v149
	s_andn2_b64 exec, exec, s[6:7]
	s_cbranch_execnz .LBB122_113
; %bb.114:
	s_or_b64 exec, exec, s[6:7]
.LBB122_115:
	s_or_b64 exec, exec, s[12:13]
	v_mov_b32_e32 v146, 0
	ds_read_b32 v146, v146 offset:184
	s_waitcnt lgkmcnt(0)
	v_mul_f32_e32 v145, v145, v146
	buffer_store_dword v145, off, s[0:3], 0 offset:184
.LBB122_116:
	s_or_b64 exec, exec, s[8:9]
	buffer_load_dword v145, off, s[0:3], 0 offset:180
	v_cmp_lt_u32_e64 s[6:7], 45, v0
	s_waitcnt vmcnt(0)
	ds_write_b32 v120, v145
	s_waitcnt lgkmcnt(0)
	; wave barrier
	s_waitcnt lgkmcnt(0)
	s_and_saveexec_b64 s[8:9], s[6:7]
	s_cbranch_execz .LBB122_126
; %bb.117:
	s_andn2_b64 vcc, exec, s[10:11]
	s_cbranch_vccnz .LBB122_119
; %bb.118:
	buffer_load_dword v145, v121, s[0:3], 0 offen
	ds_read_b32 v146, v120
	s_waitcnt vmcnt(0) lgkmcnt(0)
	v_mul_f32_e32 v145, v145, v146
	s_cbranch_execz .LBB122_120
	s_branch .LBB122_121
.LBB122_119:
                                        ; implicit-def: $vgpr145
.LBB122_120:
	ds_read_b32 v145, v120
.LBB122_121:
	s_and_saveexec_b64 s[12:13], s[4:5]
	s_cbranch_execz .LBB122_125
; %bb.122:
	v_subrev_u32_e32 v146, 46, v0
	s_movk_i32 s14, 0x1a8
	s_mov_b64 s[4:5], 0
.LBB122_123:                            ; =>This Inner Loop Header: Depth=1
	buffer_load_dword v147, v144, s[0:3], 0 offen
	v_mov_b32_e32 v148, s14
	ds_read_b32 v148, v148
	v_add_u32_e32 v146, -1, v146
	s_add_i32 s14, s14, 4
	v_cmp_eq_u32_e32 vcc, 0, v146
	v_add_u32_e32 v144, 4, v144
	s_or_b64 s[4:5], vcc, s[4:5]
	s_waitcnt vmcnt(0) lgkmcnt(0)
	v_fmac_f32_e32 v145, v147, v148
	s_andn2_b64 exec, exec, s[4:5]
	s_cbranch_execnz .LBB122_123
; %bb.124:
	s_or_b64 exec, exec, s[4:5]
.LBB122_125:
	s_or_b64 exec, exec, s[12:13]
	v_mov_b32_e32 v144, 0
	ds_read_b32 v144, v144 offset:180
	s_waitcnt lgkmcnt(0)
	v_mul_f32_e32 v144, v145, v144
	buffer_store_dword v144, off, s[0:3], 0 offset:180
.LBB122_126:
	s_or_b64 exec, exec, s[8:9]
	buffer_load_dword v144, off, s[0:3], 0 offset:176
	v_cmp_lt_u32_e64 s[4:5], 44, v0
	s_waitcnt vmcnt(0)
	ds_write_b32 v120, v144
	s_waitcnt lgkmcnt(0)
	; wave barrier
	s_waitcnt lgkmcnt(0)
	s_and_saveexec_b64 s[8:9], s[4:5]
	s_cbranch_execz .LBB122_136
; %bb.127:
	s_andn2_b64 vcc, exec, s[10:11]
	s_cbranch_vccnz .LBB122_129
; %bb.128:
	buffer_load_dword v144, v121, s[0:3], 0 offen
	ds_read_b32 v145, v120
	s_waitcnt vmcnt(0) lgkmcnt(0)
	v_mul_f32_e32 v144, v144, v145
	s_cbranch_execz .LBB122_130
	s_branch .LBB122_131
.LBB122_129:
                                        ; implicit-def: $vgpr144
.LBB122_130:
	ds_read_b32 v144, v120
.LBB122_131:
	s_and_saveexec_b64 s[12:13], s[6:7]
	s_cbranch_execz .LBB122_135
; %bb.132:
	v_mov_b32_e32 v145, 0
	v_add_u32_e32 v145, 0xb4, v145
	v_subrev_u32_e32 v146, 45, v0
	s_movk_i32 s14, 0x1a4
	s_mov_b64 s[6:7], 0
.LBB122_133:                            ; =>This Inner Loop Header: Depth=1
	buffer_load_dword v147, v145, s[0:3], 0 offen
	v_mov_b32_e32 v148, s14
	ds_read_b32 v148, v148
	v_add_u32_e32 v146, -1, v146
	s_add_i32 s14, s14, 4
	v_cmp_eq_u32_e32 vcc, 0, v146
	v_add_u32_e32 v145, 4, v145
	s_or_b64 s[6:7], vcc, s[6:7]
	s_waitcnt vmcnt(0) lgkmcnt(0)
	v_fmac_f32_e32 v144, v147, v148
	s_andn2_b64 exec, exec, s[6:7]
	s_cbranch_execnz .LBB122_133
; %bb.134:
	s_or_b64 exec, exec, s[6:7]
.LBB122_135:
	s_or_b64 exec, exec, s[12:13]
	v_mov_b32_e32 v145, 0
	ds_read_b32 v145, v145 offset:176
	s_waitcnt lgkmcnt(0)
	v_mul_f32_e32 v144, v144, v145
	buffer_store_dword v144, off, s[0:3], 0 offset:176
.LBB122_136:
	s_or_b64 exec, exec, s[8:9]
	buffer_load_dword v144, off, s[0:3], 0 offset:172
	v_cmp_lt_u32_e64 s[6:7], 43, v0
	s_waitcnt vmcnt(0)
	ds_write_b32 v120, v144
	s_waitcnt lgkmcnt(0)
	; wave barrier
	s_waitcnt lgkmcnt(0)
	s_and_saveexec_b64 s[8:9], s[6:7]
	s_cbranch_execz .LBB122_146
; %bb.137:
	s_andn2_b64 vcc, exec, s[10:11]
	s_cbranch_vccnz .LBB122_139
; %bb.138:
	buffer_load_dword v144, v121, s[0:3], 0 offen
	ds_read_b32 v145, v120
	s_waitcnt vmcnt(0) lgkmcnt(0)
	v_mul_f32_e32 v144, v144, v145
	s_cbranch_execz .LBB122_140
	s_branch .LBB122_141
.LBB122_139:
                                        ; implicit-def: $vgpr144
.LBB122_140:
	ds_read_b32 v144, v120
.LBB122_141:
	s_and_saveexec_b64 s[12:13], s[4:5]
	s_cbranch_execz .LBB122_145
; %bb.142:
	v_subrev_u32_e32 v145, 44, v0
	s_movk_i32 s14, 0x1a0
	s_mov_b64 s[4:5], 0
.LBB122_143:                            ; =>This Inner Loop Header: Depth=1
	buffer_load_dword v146, v143, s[0:3], 0 offen
	v_mov_b32_e32 v147, s14
	ds_read_b32 v147, v147
	v_add_u32_e32 v145, -1, v145
	s_add_i32 s14, s14, 4
	v_cmp_eq_u32_e32 vcc, 0, v145
	v_add_u32_e32 v143, 4, v143
	s_or_b64 s[4:5], vcc, s[4:5]
	s_waitcnt vmcnt(0) lgkmcnt(0)
	v_fmac_f32_e32 v144, v146, v147
	s_andn2_b64 exec, exec, s[4:5]
	s_cbranch_execnz .LBB122_143
; %bb.144:
	s_or_b64 exec, exec, s[4:5]
.LBB122_145:
	s_or_b64 exec, exec, s[12:13]
	v_mov_b32_e32 v143, 0
	ds_read_b32 v143, v143 offset:172
	s_waitcnt lgkmcnt(0)
	v_mul_f32_e32 v143, v144, v143
	buffer_store_dword v143, off, s[0:3], 0 offset:172
.LBB122_146:
	s_or_b64 exec, exec, s[8:9]
	buffer_load_dword v143, off, s[0:3], 0 offset:168
	v_cmp_lt_u32_e64 s[4:5], 42, v0
	s_waitcnt vmcnt(0)
	ds_write_b32 v120, v143
	s_waitcnt lgkmcnt(0)
	; wave barrier
	s_waitcnt lgkmcnt(0)
	s_and_saveexec_b64 s[8:9], s[4:5]
	s_cbranch_execz .LBB122_156
; %bb.147:
	s_andn2_b64 vcc, exec, s[10:11]
	s_cbranch_vccnz .LBB122_149
; %bb.148:
	buffer_load_dword v143, v121, s[0:3], 0 offen
	ds_read_b32 v144, v120
	s_waitcnt vmcnt(0) lgkmcnt(0)
	v_mul_f32_e32 v143, v143, v144
	s_cbranch_execz .LBB122_150
	s_branch .LBB122_151
.LBB122_149:
                                        ; implicit-def: $vgpr143
.LBB122_150:
	ds_read_b32 v143, v120
.LBB122_151:
	s_and_saveexec_b64 s[12:13], s[6:7]
	s_cbranch_execz .LBB122_155
; %bb.152:
	v_mov_b32_e32 v144, 0
	v_add_u32_e32 v144, 0xac, v144
	v_subrev_u32_e32 v145, 43, v0
	s_movk_i32 s14, 0x19c
	s_mov_b64 s[6:7], 0
.LBB122_153:                            ; =>This Inner Loop Header: Depth=1
	buffer_load_dword v146, v144, s[0:3], 0 offen
	v_mov_b32_e32 v147, s14
	ds_read_b32 v147, v147
	v_add_u32_e32 v145, -1, v145
	s_add_i32 s14, s14, 4
	v_cmp_eq_u32_e32 vcc, 0, v145
	v_add_u32_e32 v144, 4, v144
	s_or_b64 s[6:7], vcc, s[6:7]
	s_waitcnt vmcnt(0) lgkmcnt(0)
	v_fmac_f32_e32 v143, v146, v147
	s_andn2_b64 exec, exec, s[6:7]
	s_cbranch_execnz .LBB122_153
; %bb.154:
	s_or_b64 exec, exec, s[6:7]
.LBB122_155:
	s_or_b64 exec, exec, s[12:13]
	v_mov_b32_e32 v144, 0
	ds_read_b32 v144, v144 offset:168
	s_waitcnt lgkmcnt(0)
	v_mul_f32_e32 v143, v143, v144
	buffer_store_dword v143, off, s[0:3], 0 offset:168
.LBB122_156:
	s_or_b64 exec, exec, s[8:9]
	buffer_load_dword v143, off, s[0:3], 0 offset:164
	v_cmp_lt_u32_e64 s[6:7], 41, v0
	s_waitcnt vmcnt(0)
	ds_write_b32 v120, v143
	s_waitcnt lgkmcnt(0)
	; wave barrier
	s_waitcnt lgkmcnt(0)
	s_and_saveexec_b64 s[8:9], s[6:7]
	s_cbranch_execz .LBB122_166
; %bb.157:
	s_andn2_b64 vcc, exec, s[10:11]
	s_cbranch_vccnz .LBB122_159
; %bb.158:
	buffer_load_dword v143, v121, s[0:3], 0 offen
	ds_read_b32 v144, v120
	s_waitcnt vmcnt(0) lgkmcnt(0)
	v_mul_f32_e32 v143, v143, v144
	s_cbranch_execz .LBB122_160
	s_branch .LBB122_161
.LBB122_159:
                                        ; implicit-def: $vgpr143
.LBB122_160:
	ds_read_b32 v143, v120
.LBB122_161:
	s_and_saveexec_b64 s[12:13], s[4:5]
	s_cbranch_execz .LBB122_165
; %bb.162:
	v_subrev_u32_e32 v144, 42, v0
	s_movk_i32 s14, 0x198
	s_mov_b64 s[4:5], 0
.LBB122_163:                            ; =>This Inner Loop Header: Depth=1
	buffer_load_dword v145, v142, s[0:3], 0 offen
	v_mov_b32_e32 v146, s14
	ds_read_b32 v146, v146
	v_add_u32_e32 v144, -1, v144
	s_add_i32 s14, s14, 4
	v_cmp_eq_u32_e32 vcc, 0, v144
	v_add_u32_e32 v142, 4, v142
	s_or_b64 s[4:5], vcc, s[4:5]
	s_waitcnt vmcnt(0) lgkmcnt(0)
	v_fmac_f32_e32 v143, v145, v146
	s_andn2_b64 exec, exec, s[4:5]
	s_cbranch_execnz .LBB122_163
; %bb.164:
	s_or_b64 exec, exec, s[4:5]
.LBB122_165:
	s_or_b64 exec, exec, s[12:13]
	v_mov_b32_e32 v142, 0
	ds_read_b32 v142, v142 offset:164
	s_waitcnt lgkmcnt(0)
	v_mul_f32_e32 v142, v143, v142
	buffer_store_dword v142, off, s[0:3], 0 offset:164
.LBB122_166:
	s_or_b64 exec, exec, s[8:9]
	buffer_load_dword v142, off, s[0:3], 0 offset:160
	v_cmp_lt_u32_e64 s[4:5], 40, v0
	s_waitcnt vmcnt(0)
	ds_write_b32 v120, v142
	s_waitcnt lgkmcnt(0)
	; wave barrier
	s_waitcnt lgkmcnt(0)
	s_and_saveexec_b64 s[8:9], s[4:5]
	s_cbranch_execz .LBB122_176
; %bb.167:
	s_andn2_b64 vcc, exec, s[10:11]
	s_cbranch_vccnz .LBB122_169
; %bb.168:
	buffer_load_dword v142, v121, s[0:3], 0 offen
	ds_read_b32 v143, v120
	s_waitcnt vmcnt(0) lgkmcnt(0)
	v_mul_f32_e32 v142, v142, v143
	s_cbranch_execz .LBB122_170
	s_branch .LBB122_171
.LBB122_169:
                                        ; implicit-def: $vgpr142
.LBB122_170:
	ds_read_b32 v142, v120
.LBB122_171:
	s_and_saveexec_b64 s[12:13], s[6:7]
	s_cbranch_execz .LBB122_175
; %bb.172:
	v_mov_b32_e32 v143, 0
	v_add_u32_e32 v143, 0xa4, v143
	v_subrev_u32_e32 v144, 41, v0
	s_movk_i32 s14, 0x194
	s_mov_b64 s[6:7], 0
.LBB122_173:                            ; =>This Inner Loop Header: Depth=1
	buffer_load_dword v145, v143, s[0:3], 0 offen
	v_mov_b32_e32 v146, s14
	ds_read_b32 v146, v146
	v_add_u32_e32 v144, -1, v144
	s_add_i32 s14, s14, 4
	v_cmp_eq_u32_e32 vcc, 0, v144
	v_add_u32_e32 v143, 4, v143
	s_or_b64 s[6:7], vcc, s[6:7]
	s_waitcnt vmcnt(0) lgkmcnt(0)
	v_fmac_f32_e32 v142, v145, v146
	s_andn2_b64 exec, exec, s[6:7]
	s_cbranch_execnz .LBB122_173
; %bb.174:
	s_or_b64 exec, exec, s[6:7]
.LBB122_175:
	s_or_b64 exec, exec, s[12:13]
	v_mov_b32_e32 v143, 0
	ds_read_b32 v143, v143 offset:160
	s_waitcnt lgkmcnt(0)
	v_mul_f32_e32 v142, v142, v143
	buffer_store_dword v142, off, s[0:3], 0 offset:160
.LBB122_176:
	s_or_b64 exec, exec, s[8:9]
	buffer_load_dword v142, off, s[0:3], 0 offset:156
	v_cmp_lt_u32_e64 s[6:7], 39, v0
	s_waitcnt vmcnt(0)
	ds_write_b32 v120, v142
	s_waitcnt lgkmcnt(0)
	; wave barrier
	s_waitcnt lgkmcnt(0)
	s_and_saveexec_b64 s[8:9], s[6:7]
	s_cbranch_execz .LBB122_186
; %bb.177:
	s_andn2_b64 vcc, exec, s[10:11]
	s_cbranch_vccnz .LBB122_179
; %bb.178:
	buffer_load_dword v142, v121, s[0:3], 0 offen
	ds_read_b32 v143, v120
	s_waitcnt vmcnt(0) lgkmcnt(0)
	v_mul_f32_e32 v142, v142, v143
	s_cbranch_execz .LBB122_180
	s_branch .LBB122_181
.LBB122_179:
                                        ; implicit-def: $vgpr142
.LBB122_180:
	ds_read_b32 v142, v120
.LBB122_181:
	s_and_saveexec_b64 s[12:13], s[4:5]
	s_cbranch_execz .LBB122_185
; %bb.182:
	v_subrev_u32_e32 v143, 40, v0
	s_movk_i32 s14, 0x190
	s_mov_b64 s[4:5], 0
.LBB122_183:                            ; =>This Inner Loop Header: Depth=1
	buffer_load_dword v144, v141, s[0:3], 0 offen
	v_mov_b32_e32 v145, s14
	ds_read_b32 v145, v145
	v_add_u32_e32 v143, -1, v143
	s_add_i32 s14, s14, 4
	v_cmp_eq_u32_e32 vcc, 0, v143
	v_add_u32_e32 v141, 4, v141
	s_or_b64 s[4:5], vcc, s[4:5]
	s_waitcnt vmcnt(0) lgkmcnt(0)
	v_fmac_f32_e32 v142, v144, v145
	s_andn2_b64 exec, exec, s[4:5]
	s_cbranch_execnz .LBB122_183
; %bb.184:
	s_or_b64 exec, exec, s[4:5]
.LBB122_185:
	s_or_b64 exec, exec, s[12:13]
	v_mov_b32_e32 v141, 0
	ds_read_b32 v141, v141 offset:156
	s_waitcnt lgkmcnt(0)
	v_mul_f32_e32 v141, v142, v141
	buffer_store_dword v141, off, s[0:3], 0 offset:156
.LBB122_186:
	s_or_b64 exec, exec, s[8:9]
	buffer_load_dword v141, off, s[0:3], 0 offset:152
	v_cmp_lt_u32_e64 s[4:5], 38, v0
	s_waitcnt vmcnt(0)
	ds_write_b32 v120, v141
	s_waitcnt lgkmcnt(0)
	; wave barrier
	s_waitcnt lgkmcnt(0)
	s_and_saveexec_b64 s[8:9], s[4:5]
	s_cbranch_execz .LBB122_196
; %bb.187:
	s_andn2_b64 vcc, exec, s[10:11]
	s_cbranch_vccnz .LBB122_189
; %bb.188:
	buffer_load_dword v141, v121, s[0:3], 0 offen
	ds_read_b32 v142, v120
	s_waitcnt vmcnt(0) lgkmcnt(0)
	v_mul_f32_e32 v141, v141, v142
	s_cbranch_execz .LBB122_190
	s_branch .LBB122_191
.LBB122_189:
                                        ; implicit-def: $vgpr141
.LBB122_190:
	ds_read_b32 v141, v120
.LBB122_191:
	s_and_saveexec_b64 s[12:13], s[6:7]
	s_cbranch_execz .LBB122_195
; %bb.192:
	v_mov_b32_e32 v142, 0
	v_add_u32_e32 v142, 0x9c, v142
	v_subrev_u32_e32 v143, 39, v0
	s_movk_i32 s14, 0x18c
	s_mov_b64 s[6:7], 0
.LBB122_193:                            ; =>This Inner Loop Header: Depth=1
	buffer_load_dword v144, v142, s[0:3], 0 offen
	v_mov_b32_e32 v145, s14
	ds_read_b32 v145, v145
	v_add_u32_e32 v143, -1, v143
	s_add_i32 s14, s14, 4
	v_cmp_eq_u32_e32 vcc, 0, v143
	v_add_u32_e32 v142, 4, v142
	s_or_b64 s[6:7], vcc, s[6:7]
	s_waitcnt vmcnt(0) lgkmcnt(0)
	v_fmac_f32_e32 v141, v144, v145
	s_andn2_b64 exec, exec, s[6:7]
	s_cbranch_execnz .LBB122_193
; %bb.194:
	s_or_b64 exec, exec, s[6:7]
.LBB122_195:
	s_or_b64 exec, exec, s[12:13]
	v_mov_b32_e32 v142, 0
	ds_read_b32 v142, v142 offset:152
	s_waitcnt lgkmcnt(0)
	v_mul_f32_e32 v141, v141, v142
	buffer_store_dword v141, off, s[0:3], 0 offset:152
.LBB122_196:
	s_or_b64 exec, exec, s[8:9]
	buffer_load_dword v141, off, s[0:3], 0 offset:148
	v_cmp_lt_u32_e64 s[6:7], 37, v0
	s_waitcnt vmcnt(0)
	ds_write_b32 v120, v141
	s_waitcnt lgkmcnt(0)
	; wave barrier
	s_waitcnt lgkmcnt(0)
	s_and_saveexec_b64 s[8:9], s[6:7]
	s_cbranch_execz .LBB122_206
; %bb.197:
	s_andn2_b64 vcc, exec, s[10:11]
	s_cbranch_vccnz .LBB122_199
; %bb.198:
	buffer_load_dword v141, v121, s[0:3], 0 offen
	ds_read_b32 v142, v120
	s_waitcnt vmcnt(0) lgkmcnt(0)
	v_mul_f32_e32 v141, v141, v142
	s_cbranch_execz .LBB122_200
	s_branch .LBB122_201
.LBB122_199:
                                        ; implicit-def: $vgpr141
.LBB122_200:
	ds_read_b32 v141, v120
.LBB122_201:
	s_and_saveexec_b64 s[12:13], s[4:5]
	s_cbranch_execz .LBB122_205
; %bb.202:
	v_subrev_u32_e32 v142, 38, v0
	s_movk_i32 s14, 0x188
	s_mov_b64 s[4:5], 0
.LBB122_203:                            ; =>This Inner Loop Header: Depth=1
	buffer_load_dword v143, v140, s[0:3], 0 offen
	v_mov_b32_e32 v144, s14
	ds_read_b32 v144, v144
	v_add_u32_e32 v142, -1, v142
	s_add_i32 s14, s14, 4
	v_cmp_eq_u32_e32 vcc, 0, v142
	v_add_u32_e32 v140, 4, v140
	s_or_b64 s[4:5], vcc, s[4:5]
	s_waitcnt vmcnt(0) lgkmcnt(0)
	v_fmac_f32_e32 v141, v143, v144
	s_andn2_b64 exec, exec, s[4:5]
	s_cbranch_execnz .LBB122_203
; %bb.204:
	s_or_b64 exec, exec, s[4:5]
.LBB122_205:
	s_or_b64 exec, exec, s[12:13]
	v_mov_b32_e32 v140, 0
	ds_read_b32 v140, v140 offset:148
	s_waitcnt lgkmcnt(0)
	v_mul_f32_e32 v140, v141, v140
	buffer_store_dword v140, off, s[0:3], 0 offset:148
.LBB122_206:
	s_or_b64 exec, exec, s[8:9]
	buffer_load_dword v140, off, s[0:3], 0 offset:144
	v_cmp_lt_u32_e64 s[4:5], 36, v0
	s_waitcnt vmcnt(0)
	ds_write_b32 v120, v140
	s_waitcnt lgkmcnt(0)
	; wave barrier
	s_waitcnt lgkmcnt(0)
	s_and_saveexec_b64 s[8:9], s[4:5]
	s_cbranch_execz .LBB122_216
; %bb.207:
	s_andn2_b64 vcc, exec, s[10:11]
	s_cbranch_vccnz .LBB122_209
; %bb.208:
	buffer_load_dword v140, v121, s[0:3], 0 offen
	ds_read_b32 v141, v120
	s_waitcnt vmcnt(0) lgkmcnt(0)
	v_mul_f32_e32 v140, v140, v141
	s_cbranch_execz .LBB122_210
	s_branch .LBB122_211
.LBB122_209:
                                        ; implicit-def: $vgpr140
.LBB122_210:
	ds_read_b32 v140, v120
.LBB122_211:
	s_and_saveexec_b64 s[12:13], s[6:7]
	s_cbranch_execz .LBB122_215
; %bb.212:
	v_mov_b32_e32 v141, 0
	v_add_u32_e32 v141, 0x94, v141
	v_subrev_u32_e32 v142, 37, v0
	s_movk_i32 s14, 0x184
	s_mov_b64 s[6:7], 0
.LBB122_213:                            ; =>This Inner Loop Header: Depth=1
	buffer_load_dword v143, v141, s[0:3], 0 offen
	v_mov_b32_e32 v144, s14
	ds_read_b32 v144, v144
	v_add_u32_e32 v142, -1, v142
	s_add_i32 s14, s14, 4
	v_cmp_eq_u32_e32 vcc, 0, v142
	v_add_u32_e32 v141, 4, v141
	s_or_b64 s[6:7], vcc, s[6:7]
	s_waitcnt vmcnt(0) lgkmcnt(0)
	v_fmac_f32_e32 v140, v143, v144
	s_andn2_b64 exec, exec, s[6:7]
	s_cbranch_execnz .LBB122_213
; %bb.214:
	s_or_b64 exec, exec, s[6:7]
.LBB122_215:
	s_or_b64 exec, exec, s[12:13]
	v_mov_b32_e32 v141, 0
	ds_read_b32 v141, v141 offset:144
	s_waitcnt lgkmcnt(0)
	v_mul_f32_e32 v140, v140, v141
	buffer_store_dword v140, off, s[0:3], 0 offset:144
.LBB122_216:
	s_or_b64 exec, exec, s[8:9]
	buffer_load_dword v140, off, s[0:3], 0 offset:140
	v_cmp_lt_u32_e64 s[6:7], 35, v0
	s_waitcnt vmcnt(0)
	ds_write_b32 v120, v140
	s_waitcnt lgkmcnt(0)
	; wave barrier
	s_waitcnt lgkmcnt(0)
	s_and_saveexec_b64 s[8:9], s[6:7]
	s_cbranch_execz .LBB122_226
; %bb.217:
	s_andn2_b64 vcc, exec, s[10:11]
	s_cbranch_vccnz .LBB122_219
; %bb.218:
	buffer_load_dword v140, v121, s[0:3], 0 offen
	ds_read_b32 v141, v120
	s_waitcnt vmcnt(0) lgkmcnt(0)
	v_mul_f32_e32 v140, v140, v141
	s_cbranch_execz .LBB122_220
	s_branch .LBB122_221
.LBB122_219:
                                        ; implicit-def: $vgpr140
.LBB122_220:
	ds_read_b32 v140, v120
.LBB122_221:
	s_and_saveexec_b64 s[12:13], s[4:5]
	s_cbranch_execz .LBB122_225
; %bb.222:
	v_subrev_u32_e32 v141, 36, v0
	s_movk_i32 s14, 0x180
	s_mov_b64 s[4:5], 0
.LBB122_223:                            ; =>This Inner Loop Header: Depth=1
	buffer_load_dword v142, v139, s[0:3], 0 offen
	v_mov_b32_e32 v143, s14
	ds_read_b32 v143, v143
	v_add_u32_e32 v141, -1, v141
	s_add_i32 s14, s14, 4
	v_cmp_eq_u32_e32 vcc, 0, v141
	v_add_u32_e32 v139, 4, v139
	s_or_b64 s[4:5], vcc, s[4:5]
	s_waitcnt vmcnt(0) lgkmcnt(0)
	v_fmac_f32_e32 v140, v142, v143
	s_andn2_b64 exec, exec, s[4:5]
	s_cbranch_execnz .LBB122_223
; %bb.224:
	s_or_b64 exec, exec, s[4:5]
.LBB122_225:
	s_or_b64 exec, exec, s[12:13]
	v_mov_b32_e32 v139, 0
	ds_read_b32 v139, v139 offset:140
	s_waitcnt lgkmcnt(0)
	v_mul_f32_e32 v139, v140, v139
	buffer_store_dword v139, off, s[0:3], 0 offset:140
.LBB122_226:
	s_or_b64 exec, exec, s[8:9]
	buffer_load_dword v139, off, s[0:3], 0 offset:136
	v_cmp_lt_u32_e64 s[4:5], 34, v0
	s_waitcnt vmcnt(0)
	ds_write_b32 v120, v139
	s_waitcnt lgkmcnt(0)
	; wave barrier
	s_waitcnt lgkmcnt(0)
	s_and_saveexec_b64 s[8:9], s[4:5]
	s_cbranch_execz .LBB122_236
; %bb.227:
	s_andn2_b64 vcc, exec, s[10:11]
	s_cbranch_vccnz .LBB122_229
; %bb.228:
	buffer_load_dword v139, v121, s[0:3], 0 offen
	ds_read_b32 v140, v120
	s_waitcnt vmcnt(0) lgkmcnt(0)
	v_mul_f32_e32 v139, v139, v140
	s_cbranch_execz .LBB122_230
	s_branch .LBB122_231
.LBB122_229:
                                        ; implicit-def: $vgpr139
.LBB122_230:
	ds_read_b32 v139, v120
.LBB122_231:
	s_and_saveexec_b64 s[12:13], s[6:7]
	s_cbranch_execz .LBB122_235
; %bb.232:
	v_mov_b32_e32 v140, 0
	v_add_u32_e32 v140, 0x8c, v140
	v_subrev_u32_e32 v141, 35, v0
	s_movk_i32 s14, 0x17c
	s_mov_b64 s[6:7], 0
.LBB122_233:                            ; =>This Inner Loop Header: Depth=1
	buffer_load_dword v142, v140, s[0:3], 0 offen
	v_mov_b32_e32 v143, s14
	ds_read_b32 v143, v143
	v_add_u32_e32 v141, -1, v141
	s_add_i32 s14, s14, 4
	v_cmp_eq_u32_e32 vcc, 0, v141
	v_add_u32_e32 v140, 4, v140
	s_or_b64 s[6:7], vcc, s[6:7]
	s_waitcnt vmcnt(0) lgkmcnt(0)
	v_fmac_f32_e32 v139, v142, v143
	s_andn2_b64 exec, exec, s[6:7]
	s_cbranch_execnz .LBB122_233
; %bb.234:
	s_or_b64 exec, exec, s[6:7]
.LBB122_235:
	s_or_b64 exec, exec, s[12:13]
	v_mov_b32_e32 v140, 0
	ds_read_b32 v140, v140 offset:136
	s_waitcnt lgkmcnt(0)
	v_mul_f32_e32 v139, v139, v140
	buffer_store_dword v139, off, s[0:3], 0 offset:136
.LBB122_236:
	s_or_b64 exec, exec, s[8:9]
	buffer_load_dword v139, off, s[0:3], 0 offset:132
	v_cmp_lt_u32_e64 s[6:7], 33, v0
	s_waitcnt vmcnt(0)
	ds_write_b32 v120, v139
	s_waitcnt lgkmcnt(0)
	; wave barrier
	s_waitcnt lgkmcnt(0)
	s_and_saveexec_b64 s[8:9], s[6:7]
	s_cbranch_execz .LBB122_246
; %bb.237:
	s_andn2_b64 vcc, exec, s[10:11]
	s_cbranch_vccnz .LBB122_239
; %bb.238:
	buffer_load_dword v139, v121, s[0:3], 0 offen
	ds_read_b32 v140, v120
	s_waitcnt vmcnt(0) lgkmcnt(0)
	v_mul_f32_e32 v139, v139, v140
	s_cbranch_execz .LBB122_240
	s_branch .LBB122_241
.LBB122_239:
                                        ; implicit-def: $vgpr139
.LBB122_240:
	ds_read_b32 v139, v120
.LBB122_241:
	s_and_saveexec_b64 s[12:13], s[4:5]
	s_cbranch_execz .LBB122_245
; %bb.242:
	v_subrev_u32_e32 v140, 34, v0
	s_movk_i32 s14, 0x178
	s_mov_b64 s[4:5], 0
.LBB122_243:                            ; =>This Inner Loop Header: Depth=1
	buffer_load_dword v141, v138, s[0:3], 0 offen
	v_mov_b32_e32 v142, s14
	ds_read_b32 v142, v142
	v_add_u32_e32 v140, -1, v140
	s_add_i32 s14, s14, 4
	v_cmp_eq_u32_e32 vcc, 0, v140
	v_add_u32_e32 v138, 4, v138
	s_or_b64 s[4:5], vcc, s[4:5]
	s_waitcnt vmcnt(0) lgkmcnt(0)
	v_fmac_f32_e32 v139, v141, v142
	s_andn2_b64 exec, exec, s[4:5]
	s_cbranch_execnz .LBB122_243
; %bb.244:
	s_or_b64 exec, exec, s[4:5]
.LBB122_245:
	s_or_b64 exec, exec, s[12:13]
	v_mov_b32_e32 v138, 0
	ds_read_b32 v138, v138 offset:132
	s_waitcnt lgkmcnt(0)
	v_mul_f32_e32 v138, v139, v138
	buffer_store_dword v138, off, s[0:3], 0 offset:132
.LBB122_246:
	s_or_b64 exec, exec, s[8:9]
	buffer_load_dword v138, off, s[0:3], 0 offset:128
	v_cmp_lt_u32_e64 s[4:5], 32, v0
	s_waitcnt vmcnt(0)
	ds_write_b32 v120, v138
	s_waitcnt lgkmcnt(0)
	; wave barrier
	s_waitcnt lgkmcnt(0)
	s_and_saveexec_b64 s[8:9], s[4:5]
	s_cbranch_execz .LBB122_256
; %bb.247:
	s_andn2_b64 vcc, exec, s[10:11]
	s_cbranch_vccnz .LBB122_249
; %bb.248:
	buffer_load_dword v138, v121, s[0:3], 0 offen
	ds_read_b32 v139, v120
	s_waitcnt vmcnt(0) lgkmcnt(0)
	v_mul_f32_e32 v138, v138, v139
	s_cbranch_execz .LBB122_250
	s_branch .LBB122_251
.LBB122_249:
                                        ; implicit-def: $vgpr138
.LBB122_250:
	ds_read_b32 v138, v120
.LBB122_251:
	s_and_saveexec_b64 s[12:13], s[6:7]
	s_cbranch_execz .LBB122_255
; %bb.252:
	v_mov_b32_e32 v139, 0
	v_add_u32_e32 v139, 0x84, v139
	v_subrev_u32_e32 v140, 33, v0
	s_movk_i32 s14, 0x174
	s_mov_b64 s[6:7], 0
.LBB122_253:                            ; =>This Inner Loop Header: Depth=1
	buffer_load_dword v141, v139, s[0:3], 0 offen
	v_mov_b32_e32 v142, s14
	ds_read_b32 v142, v142
	v_add_u32_e32 v140, -1, v140
	s_add_i32 s14, s14, 4
	v_cmp_eq_u32_e32 vcc, 0, v140
	v_add_u32_e32 v139, 4, v139
	s_or_b64 s[6:7], vcc, s[6:7]
	s_waitcnt vmcnt(0) lgkmcnt(0)
	v_fmac_f32_e32 v138, v141, v142
	s_andn2_b64 exec, exec, s[6:7]
	s_cbranch_execnz .LBB122_253
; %bb.254:
	s_or_b64 exec, exec, s[6:7]
.LBB122_255:
	s_or_b64 exec, exec, s[12:13]
	v_mov_b32_e32 v139, 0
	ds_read_b32 v139, v139 offset:128
	s_waitcnt lgkmcnt(0)
	v_mul_f32_e32 v138, v138, v139
	buffer_store_dword v138, off, s[0:3], 0 offset:128
.LBB122_256:
	s_or_b64 exec, exec, s[8:9]
	buffer_load_dword v138, off, s[0:3], 0 offset:124
	v_cmp_lt_u32_e64 s[6:7], 31, v0
	s_waitcnt vmcnt(0)
	ds_write_b32 v120, v138
	s_waitcnt lgkmcnt(0)
	; wave barrier
	s_waitcnt lgkmcnt(0)
	s_and_saveexec_b64 s[8:9], s[6:7]
	s_cbranch_execz .LBB122_266
; %bb.257:
	s_andn2_b64 vcc, exec, s[10:11]
	s_cbranch_vccnz .LBB122_259
; %bb.258:
	buffer_load_dword v138, v121, s[0:3], 0 offen
	ds_read_b32 v139, v120
	s_waitcnt vmcnt(0) lgkmcnt(0)
	v_mul_f32_e32 v138, v138, v139
	s_cbranch_execz .LBB122_260
	s_branch .LBB122_261
.LBB122_259:
                                        ; implicit-def: $vgpr138
.LBB122_260:
	ds_read_b32 v138, v120
.LBB122_261:
	s_and_saveexec_b64 s[12:13], s[4:5]
	s_cbranch_execz .LBB122_265
; %bb.262:
	v_subrev_u32_e32 v139, 32, v0
	s_movk_i32 s14, 0x170
	s_mov_b64 s[4:5], 0
.LBB122_263:                            ; =>This Inner Loop Header: Depth=1
	buffer_load_dword v140, v137, s[0:3], 0 offen
	v_mov_b32_e32 v141, s14
	ds_read_b32 v141, v141
	v_add_u32_e32 v139, -1, v139
	s_add_i32 s14, s14, 4
	v_cmp_eq_u32_e32 vcc, 0, v139
	v_add_u32_e32 v137, 4, v137
	s_or_b64 s[4:5], vcc, s[4:5]
	s_waitcnt vmcnt(0) lgkmcnt(0)
	v_fmac_f32_e32 v138, v140, v141
	s_andn2_b64 exec, exec, s[4:5]
	s_cbranch_execnz .LBB122_263
; %bb.264:
	s_or_b64 exec, exec, s[4:5]
.LBB122_265:
	s_or_b64 exec, exec, s[12:13]
	v_mov_b32_e32 v137, 0
	ds_read_b32 v137, v137 offset:124
	s_waitcnt lgkmcnt(0)
	v_mul_f32_e32 v137, v138, v137
	buffer_store_dword v137, off, s[0:3], 0 offset:124
.LBB122_266:
	s_or_b64 exec, exec, s[8:9]
	buffer_load_dword v137, off, s[0:3], 0 offset:120
	v_cmp_lt_u32_e64 s[4:5], 30, v0
	s_waitcnt vmcnt(0)
	ds_write_b32 v120, v137
	s_waitcnt lgkmcnt(0)
	; wave barrier
	s_waitcnt lgkmcnt(0)
	s_and_saveexec_b64 s[8:9], s[4:5]
	s_cbranch_execz .LBB122_276
; %bb.267:
	s_andn2_b64 vcc, exec, s[10:11]
	s_cbranch_vccnz .LBB122_269
; %bb.268:
	buffer_load_dword v137, v121, s[0:3], 0 offen
	ds_read_b32 v138, v120
	s_waitcnt vmcnt(0) lgkmcnt(0)
	v_mul_f32_e32 v137, v137, v138
	s_cbranch_execz .LBB122_270
	s_branch .LBB122_271
.LBB122_269:
                                        ; implicit-def: $vgpr137
.LBB122_270:
	ds_read_b32 v137, v120
.LBB122_271:
	s_and_saveexec_b64 s[12:13], s[6:7]
	s_cbranch_execz .LBB122_275
; %bb.272:
	v_mov_b32_e32 v138, 0
	v_add_u32_e32 v138, 0x7c, v138
	v_subrev_u32_e32 v139, 31, v0
	s_movk_i32 s14, 0x16c
	s_mov_b64 s[6:7], 0
.LBB122_273:                            ; =>This Inner Loop Header: Depth=1
	buffer_load_dword v140, v138, s[0:3], 0 offen
	v_mov_b32_e32 v141, s14
	ds_read_b32 v141, v141
	v_add_u32_e32 v139, -1, v139
	s_add_i32 s14, s14, 4
	v_cmp_eq_u32_e32 vcc, 0, v139
	v_add_u32_e32 v138, 4, v138
	s_or_b64 s[6:7], vcc, s[6:7]
	s_waitcnt vmcnt(0) lgkmcnt(0)
	v_fmac_f32_e32 v137, v140, v141
	s_andn2_b64 exec, exec, s[6:7]
	s_cbranch_execnz .LBB122_273
; %bb.274:
	s_or_b64 exec, exec, s[6:7]
.LBB122_275:
	s_or_b64 exec, exec, s[12:13]
	v_mov_b32_e32 v138, 0
	ds_read_b32 v138, v138 offset:120
	s_waitcnt lgkmcnt(0)
	v_mul_f32_e32 v137, v137, v138
	buffer_store_dword v137, off, s[0:3], 0 offset:120
.LBB122_276:
	s_or_b64 exec, exec, s[8:9]
	buffer_load_dword v137, off, s[0:3], 0 offset:116
	v_cmp_lt_u32_e64 s[6:7], 29, v0
	s_waitcnt vmcnt(0)
	ds_write_b32 v120, v137
	s_waitcnt lgkmcnt(0)
	; wave barrier
	s_waitcnt lgkmcnt(0)
	s_and_saveexec_b64 s[8:9], s[6:7]
	s_cbranch_execz .LBB122_286
; %bb.277:
	s_andn2_b64 vcc, exec, s[10:11]
	s_cbranch_vccnz .LBB122_279
; %bb.278:
	buffer_load_dword v137, v121, s[0:3], 0 offen
	ds_read_b32 v138, v120
	s_waitcnt vmcnt(0) lgkmcnt(0)
	v_mul_f32_e32 v137, v137, v138
	s_cbranch_execz .LBB122_280
	s_branch .LBB122_281
.LBB122_279:
                                        ; implicit-def: $vgpr137
.LBB122_280:
	ds_read_b32 v137, v120
.LBB122_281:
	s_and_saveexec_b64 s[12:13], s[4:5]
	s_cbranch_execz .LBB122_285
; %bb.282:
	v_subrev_u32_e32 v138, 30, v0
	s_movk_i32 s14, 0x168
	s_mov_b64 s[4:5], 0
.LBB122_283:                            ; =>This Inner Loop Header: Depth=1
	buffer_load_dword v139, v136, s[0:3], 0 offen
	v_mov_b32_e32 v140, s14
	ds_read_b32 v140, v140
	v_add_u32_e32 v138, -1, v138
	s_add_i32 s14, s14, 4
	v_cmp_eq_u32_e32 vcc, 0, v138
	v_add_u32_e32 v136, 4, v136
	s_or_b64 s[4:5], vcc, s[4:5]
	s_waitcnt vmcnt(0) lgkmcnt(0)
	v_fmac_f32_e32 v137, v139, v140
	s_andn2_b64 exec, exec, s[4:5]
	s_cbranch_execnz .LBB122_283
; %bb.284:
	s_or_b64 exec, exec, s[4:5]
.LBB122_285:
	s_or_b64 exec, exec, s[12:13]
	v_mov_b32_e32 v136, 0
	ds_read_b32 v136, v136 offset:116
	s_waitcnt lgkmcnt(0)
	v_mul_f32_e32 v136, v137, v136
	buffer_store_dword v136, off, s[0:3], 0 offset:116
.LBB122_286:
	s_or_b64 exec, exec, s[8:9]
	buffer_load_dword v136, off, s[0:3], 0 offset:112
	v_cmp_lt_u32_e64 s[4:5], 28, v0
	s_waitcnt vmcnt(0)
	ds_write_b32 v120, v136
	s_waitcnt lgkmcnt(0)
	; wave barrier
	s_waitcnt lgkmcnt(0)
	s_and_saveexec_b64 s[8:9], s[4:5]
	s_cbranch_execz .LBB122_296
; %bb.287:
	s_andn2_b64 vcc, exec, s[10:11]
	s_cbranch_vccnz .LBB122_289
; %bb.288:
	buffer_load_dword v136, v121, s[0:3], 0 offen
	ds_read_b32 v137, v120
	s_waitcnt vmcnt(0) lgkmcnt(0)
	v_mul_f32_e32 v136, v136, v137
	s_cbranch_execz .LBB122_290
	s_branch .LBB122_291
.LBB122_289:
                                        ; implicit-def: $vgpr136
.LBB122_290:
	ds_read_b32 v136, v120
.LBB122_291:
	s_and_saveexec_b64 s[12:13], s[6:7]
	s_cbranch_execz .LBB122_295
; %bb.292:
	v_mov_b32_e32 v137, 0
	v_add_u32_e32 v137, 0x74, v137
	v_subrev_u32_e32 v138, 29, v0
	s_movk_i32 s14, 0x164
	s_mov_b64 s[6:7], 0
.LBB122_293:                            ; =>This Inner Loop Header: Depth=1
	buffer_load_dword v139, v137, s[0:3], 0 offen
	v_mov_b32_e32 v140, s14
	ds_read_b32 v140, v140
	v_add_u32_e32 v138, -1, v138
	s_add_i32 s14, s14, 4
	v_cmp_eq_u32_e32 vcc, 0, v138
	v_add_u32_e32 v137, 4, v137
	s_or_b64 s[6:7], vcc, s[6:7]
	s_waitcnt vmcnt(0) lgkmcnt(0)
	v_fmac_f32_e32 v136, v139, v140
	s_andn2_b64 exec, exec, s[6:7]
	s_cbranch_execnz .LBB122_293
; %bb.294:
	s_or_b64 exec, exec, s[6:7]
.LBB122_295:
	s_or_b64 exec, exec, s[12:13]
	v_mov_b32_e32 v137, 0
	ds_read_b32 v137, v137 offset:112
	s_waitcnt lgkmcnt(0)
	v_mul_f32_e32 v136, v136, v137
	buffer_store_dword v136, off, s[0:3], 0 offset:112
.LBB122_296:
	s_or_b64 exec, exec, s[8:9]
	buffer_load_dword v136, off, s[0:3], 0 offset:108
	v_cmp_lt_u32_e64 s[6:7], 27, v0
	s_waitcnt vmcnt(0)
	ds_write_b32 v120, v136
	s_waitcnt lgkmcnt(0)
	; wave barrier
	s_waitcnt lgkmcnt(0)
	s_and_saveexec_b64 s[8:9], s[6:7]
	s_cbranch_execz .LBB122_306
; %bb.297:
	s_andn2_b64 vcc, exec, s[10:11]
	s_cbranch_vccnz .LBB122_299
; %bb.298:
	buffer_load_dword v136, v121, s[0:3], 0 offen
	ds_read_b32 v137, v120
	s_waitcnt vmcnt(0) lgkmcnt(0)
	v_mul_f32_e32 v136, v136, v137
	s_cbranch_execz .LBB122_300
	s_branch .LBB122_301
.LBB122_299:
                                        ; implicit-def: $vgpr136
.LBB122_300:
	ds_read_b32 v136, v120
.LBB122_301:
	s_and_saveexec_b64 s[12:13], s[4:5]
	s_cbranch_execz .LBB122_305
; %bb.302:
	v_subrev_u32_e32 v137, 28, v0
	s_movk_i32 s14, 0x160
	s_mov_b64 s[4:5], 0
.LBB122_303:                            ; =>This Inner Loop Header: Depth=1
	buffer_load_dword v138, v135, s[0:3], 0 offen
	v_mov_b32_e32 v139, s14
	ds_read_b32 v139, v139
	v_add_u32_e32 v137, -1, v137
	s_add_i32 s14, s14, 4
	v_cmp_eq_u32_e32 vcc, 0, v137
	v_add_u32_e32 v135, 4, v135
	s_or_b64 s[4:5], vcc, s[4:5]
	s_waitcnt vmcnt(0) lgkmcnt(0)
	v_fmac_f32_e32 v136, v138, v139
	s_andn2_b64 exec, exec, s[4:5]
	s_cbranch_execnz .LBB122_303
; %bb.304:
	s_or_b64 exec, exec, s[4:5]
.LBB122_305:
	s_or_b64 exec, exec, s[12:13]
	v_mov_b32_e32 v135, 0
	ds_read_b32 v135, v135 offset:108
	s_waitcnt lgkmcnt(0)
	v_mul_f32_e32 v135, v136, v135
	buffer_store_dword v135, off, s[0:3], 0 offset:108
.LBB122_306:
	s_or_b64 exec, exec, s[8:9]
	buffer_load_dword v135, off, s[0:3], 0 offset:104
	v_cmp_lt_u32_e64 s[4:5], 26, v0
	s_waitcnt vmcnt(0)
	ds_write_b32 v120, v135
	s_waitcnt lgkmcnt(0)
	; wave barrier
	s_waitcnt lgkmcnt(0)
	s_and_saveexec_b64 s[8:9], s[4:5]
	s_cbranch_execz .LBB122_316
; %bb.307:
	s_andn2_b64 vcc, exec, s[10:11]
	s_cbranch_vccnz .LBB122_309
; %bb.308:
	buffer_load_dword v135, v121, s[0:3], 0 offen
	ds_read_b32 v136, v120
	s_waitcnt vmcnt(0) lgkmcnt(0)
	v_mul_f32_e32 v135, v135, v136
	s_cbranch_execz .LBB122_310
	s_branch .LBB122_311
.LBB122_309:
                                        ; implicit-def: $vgpr135
.LBB122_310:
	ds_read_b32 v135, v120
.LBB122_311:
	s_and_saveexec_b64 s[12:13], s[6:7]
	s_cbranch_execz .LBB122_315
; %bb.312:
	v_mov_b32_e32 v136, 0
	v_add_u32_e32 v136, 0x6c, v136
	v_subrev_u32_e32 v137, 27, v0
	s_movk_i32 s14, 0x15c
	s_mov_b64 s[6:7], 0
.LBB122_313:                            ; =>This Inner Loop Header: Depth=1
	buffer_load_dword v138, v136, s[0:3], 0 offen
	v_mov_b32_e32 v139, s14
	ds_read_b32 v139, v139
	v_add_u32_e32 v137, -1, v137
	s_add_i32 s14, s14, 4
	v_cmp_eq_u32_e32 vcc, 0, v137
	v_add_u32_e32 v136, 4, v136
	s_or_b64 s[6:7], vcc, s[6:7]
	s_waitcnt vmcnt(0) lgkmcnt(0)
	v_fmac_f32_e32 v135, v138, v139
	s_andn2_b64 exec, exec, s[6:7]
	s_cbranch_execnz .LBB122_313
; %bb.314:
	s_or_b64 exec, exec, s[6:7]
.LBB122_315:
	s_or_b64 exec, exec, s[12:13]
	v_mov_b32_e32 v136, 0
	ds_read_b32 v136, v136 offset:104
	s_waitcnt lgkmcnt(0)
	v_mul_f32_e32 v135, v135, v136
	buffer_store_dword v135, off, s[0:3], 0 offset:104
.LBB122_316:
	s_or_b64 exec, exec, s[8:9]
	buffer_load_dword v135, off, s[0:3], 0 offset:100
	v_cmp_lt_u32_e64 s[6:7], 25, v0
	s_waitcnt vmcnt(0)
	ds_write_b32 v120, v135
	s_waitcnt lgkmcnt(0)
	; wave barrier
	s_waitcnt lgkmcnt(0)
	s_and_saveexec_b64 s[8:9], s[6:7]
	s_cbranch_execz .LBB122_326
; %bb.317:
	s_andn2_b64 vcc, exec, s[10:11]
	s_cbranch_vccnz .LBB122_319
; %bb.318:
	buffer_load_dword v135, v121, s[0:3], 0 offen
	ds_read_b32 v136, v120
	s_waitcnt vmcnt(0) lgkmcnt(0)
	v_mul_f32_e32 v135, v135, v136
	s_cbranch_execz .LBB122_320
	s_branch .LBB122_321
.LBB122_319:
                                        ; implicit-def: $vgpr135
.LBB122_320:
	ds_read_b32 v135, v120
.LBB122_321:
	s_and_saveexec_b64 s[12:13], s[4:5]
	s_cbranch_execz .LBB122_325
; %bb.322:
	v_subrev_u32_e32 v136, 26, v0
	s_movk_i32 s14, 0x158
	s_mov_b64 s[4:5], 0
.LBB122_323:                            ; =>This Inner Loop Header: Depth=1
	buffer_load_dword v137, v134, s[0:3], 0 offen
	v_mov_b32_e32 v138, s14
	ds_read_b32 v138, v138
	v_add_u32_e32 v136, -1, v136
	s_add_i32 s14, s14, 4
	v_cmp_eq_u32_e32 vcc, 0, v136
	v_add_u32_e32 v134, 4, v134
	s_or_b64 s[4:5], vcc, s[4:5]
	s_waitcnt vmcnt(0) lgkmcnt(0)
	v_fmac_f32_e32 v135, v137, v138
	s_andn2_b64 exec, exec, s[4:5]
	s_cbranch_execnz .LBB122_323
; %bb.324:
	s_or_b64 exec, exec, s[4:5]
.LBB122_325:
	s_or_b64 exec, exec, s[12:13]
	v_mov_b32_e32 v134, 0
	ds_read_b32 v134, v134 offset:100
	s_waitcnt lgkmcnt(0)
	v_mul_f32_e32 v134, v135, v134
	buffer_store_dword v134, off, s[0:3], 0 offset:100
.LBB122_326:
	s_or_b64 exec, exec, s[8:9]
	buffer_load_dword v134, off, s[0:3], 0 offset:96
	v_cmp_lt_u32_e64 s[4:5], 24, v0
	s_waitcnt vmcnt(0)
	ds_write_b32 v120, v134
	s_waitcnt lgkmcnt(0)
	; wave barrier
	s_waitcnt lgkmcnt(0)
	s_and_saveexec_b64 s[8:9], s[4:5]
	s_cbranch_execz .LBB122_336
; %bb.327:
	s_andn2_b64 vcc, exec, s[10:11]
	s_cbranch_vccnz .LBB122_329
; %bb.328:
	buffer_load_dword v134, v121, s[0:3], 0 offen
	ds_read_b32 v135, v120
	s_waitcnt vmcnt(0) lgkmcnt(0)
	v_mul_f32_e32 v134, v134, v135
	s_cbranch_execz .LBB122_330
	s_branch .LBB122_331
.LBB122_329:
                                        ; implicit-def: $vgpr134
.LBB122_330:
	ds_read_b32 v134, v120
.LBB122_331:
	s_and_saveexec_b64 s[12:13], s[6:7]
	s_cbranch_execz .LBB122_335
; %bb.332:
	v_mov_b32_e32 v135, 0
	v_add_u32_e32 v135, 0x64, v135
	v_subrev_u32_e32 v136, 25, v0
	s_movk_i32 s14, 0x154
	s_mov_b64 s[6:7], 0
.LBB122_333:                            ; =>This Inner Loop Header: Depth=1
	buffer_load_dword v137, v135, s[0:3], 0 offen
	v_mov_b32_e32 v138, s14
	ds_read_b32 v138, v138
	v_add_u32_e32 v136, -1, v136
	s_add_i32 s14, s14, 4
	v_cmp_eq_u32_e32 vcc, 0, v136
	v_add_u32_e32 v135, 4, v135
	s_or_b64 s[6:7], vcc, s[6:7]
	s_waitcnt vmcnt(0) lgkmcnt(0)
	v_fmac_f32_e32 v134, v137, v138
	s_andn2_b64 exec, exec, s[6:7]
	s_cbranch_execnz .LBB122_333
; %bb.334:
	s_or_b64 exec, exec, s[6:7]
.LBB122_335:
	s_or_b64 exec, exec, s[12:13]
	v_mov_b32_e32 v135, 0
	ds_read_b32 v135, v135 offset:96
	s_waitcnt lgkmcnt(0)
	v_mul_f32_e32 v134, v134, v135
	buffer_store_dword v134, off, s[0:3], 0 offset:96
.LBB122_336:
	s_or_b64 exec, exec, s[8:9]
	buffer_load_dword v134, off, s[0:3], 0 offset:92
	v_cmp_lt_u32_e64 s[6:7], 23, v0
	s_waitcnt vmcnt(0)
	ds_write_b32 v120, v134
	s_waitcnt lgkmcnt(0)
	; wave barrier
	s_waitcnt lgkmcnt(0)
	s_and_saveexec_b64 s[8:9], s[6:7]
	s_cbranch_execz .LBB122_346
; %bb.337:
	s_andn2_b64 vcc, exec, s[10:11]
	s_cbranch_vccnz .LBB122_339
; %bb.338:
	buffer_load_dword v134, v121, s[0:3], 0 offen
	ds_read_b32 v135, v120
	s_waitcnt vmcnt(0) lgkmcnt(0)
	v_mul_f32_e32 v134, v134, v135
	s_cbranch_execz .LBB122_340
	s_branch .LBB122_341
.LBB122_339:
                                        ; implicit-def: $vgpr134
.LBB122_340:
	ds_read_b32 v134, v120
.LBB122_341:
	s_and_saveexec_b64 s[12:13], s[4:5]
	s_cbranch_execz .LBB122_345
; %bb.342:
	v_subrev_u32_e32 v135, 24, v0
	s_movk_i32 s14, 0x150
	s_mov_b64 s[4:5], 0
.LBB122_343:                            ; =>This Inner Loop Header: Depth=1
	buffer_load_dword v136, v133, s[0:3], 0 offen
	v_mov_b32_e32 v137, s14
	ds_read_b32 v137, v137
	v_add_u32_e32 v135, -1, v135
	s_add_i32 s14, s14, 4
	v_cmp_eq_u32_e32 vcc, 0, v135
	v_add_u32_e32 v133, 4, v133
	s_or_b64 s[4:5], vcc, s[4:5]
	s_waitcnt vmcnt(0) lgkmcnt(0)
	v_fmac_f32_e32 v134, v136, v137
	s_andn2_b64 exec, exec, s[4:5]
	s_cbranch_execnz .LBB122_343
; %bb.344:
	s_or_b64 exec, exec, s[4:5]
.LBB122_345:
	s_or_b64 exec, exec, s[12:13]
	v_mov_b32_e32 v133, 0
	ds_read_b32 v133, v133 offset:92
	s_waitcnt lgkmcnt(0)
	v_mul_f32_e32 v133, v134, v133
	buffer_store_dword v133, off, s[0:3], 0 offset:92
.LBB122_346:
	s_or_b64 exec, exec, s[8:9]
	buffer_load_dword v133, off, s[0:3], 0 offset:88
	v_cmp_lt_u32_e64 s[4:5], 22, v0
	s_waitcnt vmcnt(0)
	ds_write_b32 v120, v133
	s_waitcnt lgkmcnt(0)
	; wave barrier
	s_waitcnt lgkmcnt(0)
	s_and_saveexec_b64 s[8:9], s[4:5]
	s_cbranch_execz .LBB122_356
; %bb.347:
	s_andn2_b64 vcc, exec, s[10:11]
	s_cbranch_vccnz .LBB122_349
; %bb.348:
	buffer_load_dword v133, v121, s[0:3], 0 offen
	ds_read_b32 v134, v120
	s_waitcnt vmcnt(0) lgkmcnt(0)
	v_mul_f32_e32 v133, v133, v134
	s_cbranch_execz .LBB122_350
	s_branch .LBB122_351
.LBB122_349:
                                        ; implicit-def: $vgpr133
.LBB122_350:
	ds_read_b32 v133, v120
.LBB122_351:
	s_and_saveexec_b64 s[12:13], s[6:7]
	s_cbranch_execz .LBB122_355
; %bb.352:
	v_mov_b32_e32 v134, 0
	v_add_u32_e32 v134, 0x5c, v134
	v_subrev_u32_e32 v135, 23, v0
	s_movk_i32 s14, 0x14c
	s_mov_b64 s[6:7], 0
.LBB122_353:                            ; =>This Inner Loop Header: Depth=1
	buffer_load_dword v136, v134, s[0:3], 0 offen
	v_mov_b32_e32 v137, s14
	ds_read_b32 v137, v137
	v_add_u32_e32 v135, -1, v135
	s_add_i32 s14, s14, 4
	v_cmp_eq_u32_e32 vcc, 0, v135
	v_add_u32_e32 v134, 4, v134
	s_or_b64 s[6:7], vcc, s[6:7]
	s_waitcnt vmcnt(0) lgkmcnt(0)
	v_fmac_f32_e32 v133, v136, v137
	s_andn2_b64 exec, exec, s[6:7]
	s_cbranch_execnz .LBB122_353
; %bb.354:
	s_or_b64 exec, exec, s[6:7]
.LBB122_355:
	s_or_b64 exec, exec, s[12:13]
	v_mov_b32_e32 v134, 0
	ds_read_b32 v134, v134 offset:88
	s_waitcnt lgkmcnt(0)
	v_mul_f32_e32 v133, v133, v134
	buffer_store_dword v133, off, s[0:3], 0 offset:88
.LBB122_356:
	s_or_b64 exec, exec, s[8:9]
	buffer_load_dword v133, off, s[0:3], 0 offset:84
	v_cmp_lt_u32_e64 s[6:7], 21, v0
	s_waitcnt vmcnt(0)
	ds_write_b32 v120, v133
	s_waitcnt lgkmcnt(0)
	; wave barrier
	s_waitcnt lgkmcnt(0)
	s_and_saveexec_b64 s[8:9], s[6:7]
	s_cbranch_execz .LBB122_366
; %bb.357:
	s_andn2_b64 vcc, exec, s[10:11]
	s_cbranch_vccnz .LBB122_359
; %bb.358:
	buffer_load_dword v133, v121, s[0:3], 0 offen
	ds_read_b32 v134, v120
	s_waitcnt vmcnt(0) lgkmcnt(0)
	v_mul_f32_e32 v133, v133, v134
	s_cbranch_execz .LBB122_360
	s_branch .LBB122_361
.LBB122_359:
                                        ; implicit-def: $vgpr133
.LBB122_360:
	ds_read_b32 v133, v120
.LBB122_361:
	s_and_saveexec_b64 s[12:13], s[4:5]
	s_cbranch_execz .LBB122_365
; %bb.362:
	v_subrev_u32_e32 v134, 22, v0
	s_movk_i32 s14, 0x148
	s_mov_b64 s[4:5], 0
.LBB122_363:                            ; =>This Inner Loop Header: Depth=1
	buffer_load_dword v135, v132, s[0:3], 0 offen
	v_mov_b32_e32 v136, s14
	ds_read_b32 v136, v136
	v_add_u32_e32 v134, -1, v134
	s_add_i32 s14, s14, 4
	v_cmp_eq_u32_e32 vcc, 0, v134
	v_add_u32_e32 v132, 4, v132
	s_or_b64 s[4:5], vcc, s[4:5]
	s_waitcnt vmcnt(0) lgkmcnt(0)
	v_fmac_f32_e32 v133, v135, v136
	s_andn2_b64 exec, exec, s[4:5]
	s_cbranch_execnz .LBB122_363
; %bb.364:
	s_or_b64 exec, exec, s[4:5]
.LBB122_365:
	s_or_b64 exec, exec, s[12:13]
	v_mov_b32_e32 v132, 0
	ds_read_b32 v132, v132 offset:84
	s_waitcnt lgkmcnt(0)
	v_mul_f32_e32 v132, v133, v132
	buffer_store_dword v132, off, s[0:3], 0 offset:84
.LBB122_366:
	s_or_b64 exec, exec, s[8:9]
	buffer_load_dword v132, off, s[0:3], 0 offset:80
	v_cmp_lt_u32_e64 s[4:5], 20, v0
	s_waitcnt vmcnt(0)
	ds_write_b32 v120, v132
	s_waitcnt lgkmcnt(0)
	; wave barrier
	s_waitcnt lgkmcnt(0)
	s_and_saveexec_b64 s[8:9], s[4:5]
	s_cbranch_execz .LBB122_376
; %bb.367:
	s_andn2_b64 vcc, exec, s[10:11]
	s_cbranch_vccnz .LBB122_369
; %bb.368:
	buffer_load_dword v132, v121, s[0:3], 0 offen
	ds_read_b32 v133, v120
	s_waitcnt vmcnt(0) lgkmcnt(0)
	v_mul_f32_e32 v132, v132, v133
	s_cbranch_execz .LBB122_370
	s_branch .LBB122_371
.LBB122_369:
                                        ; implicit-def: $vgpr132
.LBB122_370:
	ds_read_b32 v132, v120
.LBB122_371:
	s_and_saveexec_b64 s[12:13], s[6:7]
	s_cbranch_execz .LBB122_375
; %bb.372:
	v_mov_b32_e32 v133, 0
	v_add_u32_e32 v133, 0x54, v133
	v_subrev_u32_e32 v134, 21, v0
	s_movk_i32 s14, 0x144
	s_mov_b64 s[6:7], 0
.LBB122_373:                            ; =>This Inner Loop Header: Depth=1
	buffer_load_dword v135, v133, s[0:3], 0 offen
	v_mov_b32_e32 v136, s14
	ds_read_b32 v136, v136
	v_add_u32_e32 v134, -1, v134
	s_add_i32 s14, s14, 4
	v_cmp_eq_u32_e32 vcc, 0, v134
	v_add_u32_e32 v133, 4, v133
	s_or_b64 s[6:7], vcc, s[6:7]
	s_waitcnt vmcnt(0) lgkmcnt(0)
	v_fmac_f32_e32 v132, v135, v136
	s_andn2_b64 exec, exec, s[6:7]
	s_cbranch_execnz .LBB122_373
; %bb.374:
	s_or_b64 exec, exec, s[6:7]
.LBB122_375:
	s_or_b64 exec, exec, s[12:13]
	v_mov_b32_e32 v133, 0
	ds_read_b32 v133, v133 offset:80
	s_waitcnt lgkmcnt(0)
	v_mul_f32_e32 v132, v132, v133
	buffer_store_dword v132, off, s[0:3], 0 offset:80
.LBB122_376:
	s_or_b64 exec, exec, s[8:9]
	buffer_load_dword v132, off, s[0:3], 0 offset:76
	v_cmp_lt_u32_e64 s[6:7], 19, v0
	s_waitcnt vmcnt(0)
	ds_write_b32 v120, v132
	s_waitcnt lgkmcnt(0)
	; wave barrier
	s_waitcnt lgkmcnt(0)
	s_and_saveexec_b64 s[8:9], s[6:7]
	s_cbranch_execz .LBB122_386
; %bb.377:
	s_andn2_b64 vcc, exec, s[10:11]
	s_cbranch_vccnz .LBB122_379
; %bb.378:
	buffer_load_dword v132, v121, s[0:3], 0 offen
	ds_read_b32 v133, v120
	s_waitcnt vmcnt(0) lgkmcnt(0)
	v_mul_f32_e32 v132, v132, v133
	s_cbranch_execz .LBB122_380
	s_branch .LBB122_381
.LBB122_379:
                                        ; implicit-def: $vgpr132
.LBB122_380:
	ds_read_b32 v132, v120
.LBB122_381:
	s_and_saveexec_b64 s[12:13], s[4:5]
	s_cbranch_execz .LBB122_385
; %bb.382:
	v_subrev_u32_e32 v133, 20, v0
	s_movk_i32 s14, 0x140
	s_mov_b64 s[4:5], 0
.LBB122_383:                            ; =>This Inner Loop Header: Depth=1
	buffer_load_dword v134, v131, s[0:3], 0 offen
	v_mov_b32_e32 v135, s14
	ds_read_b32 v135, v135
	v_add_u32_e32 v133, -1, v133
	s_add_i32 s14, s14, 4
	v_cmp_eq_u32_e32 vcc, 0, v133
	v_add_u32_e32 v131, 4, v131
	s_or_b64 s[4:5], vcc, s[4:5]
	s_waitcnt vmcnt(0) lgkmcnt(0)
	v_fmac_f32_e32 v132, v134, v135
	s_andn2_b64 exec, exec, s[4:5]
	s_cbranch_execnz .LBB122_383
; %bb.384:
	s_or_b64 exec, exec, s[4:5]
.LBB122_385:
	s_or_b64 exec, exec, s[12:13]
	v_mov_b32_e32 v131, 0
	ds_read_b32 v131, v131 offset:76
	s_waitcnt lgkmcnt(0)
	v_mul_f32_e32 v131, v132, v131
	buffer_store_dword v131, off, s[0:3], 0 offset:76
.LBB122_386:
	s_or_b64 exec, exec, s[8:9]
	buffer_load_dword v131, off, s[0:3], 0 offset:72
	v_cmp_lt_u32_e64 s[4:5], 18, v0
	s_waitcnt vmcnt(0)
	ds_write_b32 v120, v131
	s_waitcnt lgkmcnt(0)
	; wave barrier
	s_waitcnt lgkmcnt(0)
	s_and_saveexec_b64 s[8:9], s[4:5]
	s_cbranch_execz .LBB122_396
; %bb.387:
	s_andn2_b64 vcc, exec, s[10:11]
	s_cbranch_vccnz .LBB122_389
; %bb.388:
	buffer_load_dword v131, v121, s[0:3], 0 offen
	ds_read_b32 v132, v120
	s_waitcnt vmcnt(0) lgkmcnt(0)
	v_mul_f32_e32 v131, v131, v132
	s_cbranch_execz .LBB122_390
	s_branch .LBB122_391
.LBB122_389:
                                        ; implicit-def: $vgpr131
.LBB122_390:
	ds_read_b32 v131, v120
.LBB122_391:
	s_and_saveexec_b64 s[12:13], s[6:7]
	s_cbranch_execz .LBB122_395
; %bb.392:
	v_mov_b32_e32 v132, 0
	v_add_u32_e32 v132, 0x4c, v132
	v_subrev_u32_e32 v133, 19, v0
	s_movk_i32 s14, 0x13c
	s_mov_b64 s[6:7], 0
.LBB122_393:                            ; =>This Inner Loop Header: Depth=1
	buffer_load_dword v134, v132, s[0:3], 0 offen
	v_mov_b32_e32 v135, s14
	ds_read_b32 v135, v135
	v_add_u32_e32 v133, -1, v133
	s_add_i32 s14, s14, 4
	v_cmp_eq_u32_e32 vcc, 0, v133
	v_add_u32_e32 v132, 4, v132
	s_or_b64 s[6:7], vcc, s[6:7]
	s_waitcnt vmcnt(0) lgkmcnt(0)
	v_fmac_f32_e32 v131, v134, v135
	s_andn2_b64 exec, exec, s[6:7]
	s_cbranch_execnz .LBB122_393
; %bb.394:
	s_or_b64 exec, exec, s[6:7]
.LBB122_395:
	s_or_b64 exec, exec, s[12:13]
	v_mov_b32_e32 v132, 0
	ds_read_b32 v132, v132 offset:72
	s_waitcnt lgkmcnt(0)
	v_mul_f32_e32 v131, v131, v132
	buffer_store_dword v131, off, s[0:3], 0 offset:72
.LBB122_396:
	s_or_b64 exec, exec, s[8:9]
	buffer_load_dword v131, off, s[0:3], 0 offset:68
	v_cmp_lt_u32_e64 s[6:7], 17, v0
	s_waitcnt vmcnt(0)
	ds_write_b32 v120, v131
	s_waitcnt lgkmcnt(0)
	; wave barrier
	s_waitcnt lgkmcnt(0)
	s_and_saveexec_b64 s[8:9], s[6:7]
	s_cbranch_execz .LBB122_406
; %bb.397:
	s_andn2_b64 vcc, exec, s[10:11]
	s_cbranch_vccnz .LBB122_399
; %bb.398:
	buffer_load_dword v131, v121, s[0:3], 0 offen
	ds_read_b32 v132, v120
	s_waitcnt vmcnt(0) lgkmcnt(0)
	v_mul_f32_e32 v131, v131, v132
	s_cbranch_execz .LBB122_400
	s_branch .LBB122_401
.LBB122_399:
                                        ; implicit-def: $vgpr131
.LBB122_400:
	ds_read_b32 v131, v120
.LBB122_401:
	s_and_saveexec_b64 s[12:13], s[4:5]
	s_cbranch_execz .LBB122_405
; %bb.402:
	v_subrev_u32_e32 v132, 18, v0
	s_movk_i32 s14, 0x138
	s_mov_b64 s[4:5], 0
.LBB122_403:                            ; =>This Inner Loop Header: Depth=1
	buffer_load_dword v133, v130, s[0:3], 0 offen
	v_mov_b32_e32 v134, s14
	ds_read_b32 v134, v134
	v_add_u32_e32 v132, -1, v132
	s_add_i32 s14, s14, 4
	v_cmp_eq_u32_e32 vcc, 0, v132
	v_add_u32_e32 v130, 4, v130
	s_or_b64 s[4:5], vcc, s[4:5]
	s_waitcnt vmcnt(0) lgkmcnt(0)
	v_fmac_f32_e32 v131, v133, v134
	s_andn2_b64 exec, exec, s[4:5]
	s_cbranch_execnz .LBB122_403
; %bb.404:
	s_or_b64 exec, exec, s[4:5]
.LBB122_405:
	s_or_b64 exec, exec, s[12:13]
	v_mov_b32_e32 v130, 0
	ds_read_b32 v130, v130 offset:68
	s_waitcnt lgkmcnt(0)
	v_mul_f32_e32 v130, v131, v130
	buffer_store_dword v130, off, s[0:3], 0 offset:68
.LBB122_406:
	s_or_b64 exec, exec, s[8:9]
	buffer_load_dword v130, off, s[0:3], 0 offset:64
	v_cmp_lt_u32_e64 s[4:5], 16, v0
	s_waitcnt vmcnt(0)
	ds_write_b32 v120, v130
	s_waitcnt lgkmcnt(0)
	; wave barrier
	s_waitcnt lgkmcnt(0)
	s_and_saveexec_b64 s[8:9], s[4:5]
	s_cbranch_execz .LBB122_416
; %bb.407:
	s_andn2_b64 vcc, exec, s[10:11]
	s_cbranch_vccnz .LBB122_409
; %bb.408:
	buffer_load_dword v130, v121, s[0:3], 0 offen
	ds_read_b32 v131, v120
	s_waitcnt vmcnt(0) lgkmcnt(0)
	v_mul_f32_e32 v130, v130, v131
	s_cbranch_execz .LBB122_410
	s_branch .LBB122_411
.LBB122_409:
                                        ; implicit-def: $vgpr130
.LBB122_410:
	ds_read_b32 v130, v120
.LBB122_411:
	s_and_saveexec_b64 s[12:13], s[6:7]
	s_cbranch_execz .LBB122_415
; %bb.412:
	v_mov_b32_e32 v131, 0
	v_add_u32_e32 v131, 0x44, v131
	v_subrev_u32_e32 v132, 17, v0
	s_movk_i32 s14, 0x134
	s_mov_b64 s[6:7], 0
.LBB122_413:                            ; =>This Inner Loop Header: Depth=1
	buffer_load_dword v133, v131, s[0:3], 0 offen
	v_mov_b32_e32 v134, s14
	ds_read_b32 v134, v134
	v_add_u32_e32 v132, -1, v132
	s_add_i32 s14, s14, 4
	v_cmp_eq_u32_e32 vcc, 0, v132
	v_add_u32_e32 v131, 4, v131
	s_or_b64 s[6:7], vcc, s[6:7]
	s_waitcnt vmcnt(0) lgkmcnt(0)
	v_fmac_f32_e32 v130, v133, v134
	s_andn2_b64 exec, exec, s[6:7]
	s_cbranch_execnz .LBB122_413
; %bb.414:
	s_or_b64 exec, exec, s[6:7]
.LBB122_415:
	s_or_b64 exec, exec, s[12:13]
	v_mov_b32_e32 v131, 0
	ds_read_b32 v131, v131 offset:64
	s_waitcnt lgkmcnt(0)
	v_mul_f32_e32 v130, v130, v131
	buffer_store_dword v130, off, s[0:3], 0 offset:64
.LBB122_416:
	s_or_b64 exec, exec, s[8:9]
	buffer_load_dword v130, off, s[0:3], 0 offset:60
	v_cmp_lt_u32_e64 s[6:7], 15, v0
	s_waitcnt vmcnt(0)
	ds_write_b32 v120, v130
	s_waitcnt lgkmcnt(0)
	; wave barrier
	s_waitcnt lgkmcnt(0)
	s_and_saveexec_b64 s[8:9], s[6:7]
	s_cbranch_execz .LBB122_426
; %bb.417:
	s_andn2_b64 vcc, exec, s[10:11]
	s_cbranch_vccnz .LBB122_419
; %bb.418:
	buffer_load_dword v130, v121, s[0:3], 0 offen
	ds_read_b32 v131, v120
	s_waitcnt vmcnt(0) lgkmcnt(0)
	v_mul_f32_e32 v130, v130, v131
	s_cbranch_execz .LBB122_420
	s_branch .LBB122_421
.LBB122_419:
                                        ; implicit-def: $vgpr130
.LBB122_420:
	ds_read_b32 v130, v120
.LBB122_421:
	s_and_saveexec_b64 s[12:13], s[4:5]
	s_cbranch_execz .LBB122_425
; %bb.422:
	v_add_u32_e32 v131, -16, v0
	s_movk_i32 s14, 0x130
	s_mov_b64 s[4:5], 0
.LBB122_423:                            ; =>This Inner Loop Header: Depth=1
	buffer_load_dword v132, v129, s[0:3], 0 offen
	v_mov_b32_e32 v133, s14
	ds_read_b32 v133, v133
	v_add_u32_e32 v131, -1, v131
	s_add_i32 s14, s14, 4
	v_cmp_eq_u32_e32 vcc, 0, v131
	v_add_u32_e32 v129, 4, v129
	s_or_b64 s[4:5], vcc, s[4:5]
	s_waitcnt vmcnt(0) lgkmcnt(0)
	v_fmac_f32_e32 v130, v132, v133
	s_andn2_b64 exec, exec, s[4:5]
	s_cbranch_execnz .LBB122_423
; %bb.424:
	s_or_b64 exec, exec, s[4:5]
.LBB122_425:
	s_or_b64 exec, exec, s[12:13]
	v_mov_b32_e32 v129, 0
	ds_read_b32 v129, v129 offset:60
	s_waitcnt lgkmcnt(0)
	v_mul_f32_e32 v129, v130, v129
	buffer_store_dword v129, off, s[0:3], 0 offset:60
.LBB122_426:
	s_or_b64 exec, exec, s[8:9]
	buffer_load_dword v129, off, s[0:3], 0 offset:56
	v_cmp_lt_u32_e64 s[4:5], 14, v0
	s_waitcnt vmcnt(0)
	ds_write_b32 v120, v129
	s_waitcnt lgkmcnt(0)
	; wave barrier
	s_waitcnt lgkmcnt(0)
	s_and_saveexec_b64 s[8:9], s[4:5]
	s_cbranch_execz .LBB122_436
; %bb.427:
	s_andn2_b64 vcc, exec, s[10:11]
	s_cbranch_vccnz .LBB122_429
; %bb.428:
	buffer_load_dword v129, v121, s[0:3], 0 offen
	ds_read_b32 v130, v120
	s_waitcnt vmcnt(0) lgkmcnt(0)
	v_mul_f32_e32 v129, v129, v130
	s_cbranch_execz .LBB122_430
	s_branch .LBB122_431
.LBB122_429:
                                        ; implicit-def: $vgpr129
.LBB122_430:
	ds_read_b32 v129, v120
.LBB122_431:
	s_and_saveexec_b64 s[12:13], s[6:7]
	s_cbranch_execz .LBB122_435
; %bb.432:
	v_mov_b32_e32 v130, 0
	v_add_u32_e32 v130, 60, v130
	v_add_u32_e32 v131, -15, v0
	s_movk_i32 s14, 0x12c
	s_mov_b64 s[6:7], 0
.LBB122_433:                            ; =>This Inner Loop Header: Depth=1
	buffer_load_dword v132, v130, s[0:3], 0 offen
	v_mov_b32_e32 v133, s14
	ds_read_b32 v133, v133
	v_add_u32_e32 v131, -1, v131
	s_add_i32 s14, s14, 4
	v_cmp_eq_u32_e32 vcc, 0, v131
	v_add_u32_e32 v130, 4, v130
	s_or_b64 s[6:7], vcc, s[6:7]
	s_waitcnt vmcnt(0) lgkmcnt(0)
	v_fmac_f32_e32 v129, v132, v133
	s_andn2_b64 exec, exec, s[6:7]
	s_cbranch_execnz .LBB122_433
; %bb.434:
	s_or_b64 exec, exec, s[6:7]
.LBB122_435:
	s_or_b64 exec, exec, s[12:13]
	v_mov_b32_e32 v130, 0
	ds_read_b32 v130, v130 offset:56
	s_waitcnt lgkmcnt(0)
	v_mul_f32_e32 v129, v129, v130
	buffer_store_dword v129, off, s[0:3], 0 offset:56
.LBB122_436:
	s_or_b64 exec, exec, s[8:9]
	buffer_load_dword v129, off, s[0:3], 0 offset:52
	v_cmp_lt_u32_e64 s[6:7], 13, v0
	s_waitcnt vmcnt(0)
	ds_write_b32 v120, v129
	s_waitcnt lgkmcnt(0)
	; wave barrier
	s_waitcnt lgkmcnt(0)
	s_and_saveexec_b64 s[8:9], s[6:7]
	s_cbranch_execz .LBB122_446
; %bb.437:
	s_andn2_b64 vcc, exec, s[10:11]
	s_cbranch_vccnz .LBB122_439
; %bb.438:
	buffer_load_dword v129, v121, s[0:3], 0 offen
	ds_read_b32 v130, v120
	s_waitcnt vmcnt(0) lgkmcnt(0)
	v_mul_f32_e32 v129, v129, v130
	s_cbranch_execz .LBB122_440
	s_branch .LBB122_441
.LBB122_439:
                                        ; implicit-def: $vgpr129
.LBB122_440:
	ds_read_b32 v129, v120
.LBB122_441:
	s_and_saveexec_b64 s[12:13], s[4:5]
	s_cbranch_execz .LBB122_445
; %bb.442:
	v_add_u32_e32 v130, -14, v0
	s_movk_i32 s14, 0x128
	s_mov_b64 s[4:5], 0
.LBB122_443:                            ; =>This Inner Loop Header: Depth=1
	buffer_load_dword v131, v128, s[0:3], 0 offen
	v_mov_b32_e32 v132, s14
	ds_read_b32 v132, v132
	v_add_u32_e32 v130, -1, v130
	s_add_i32 s14, s14, 4
	v_cmp_eq_u32_e32 vcc, 0, v130
	v_add_u32_e32 v128, 4, v128
	s_or_b64 s[4:5], vcc, s[4:5]
	s_waitcnt vmcnt(0) lgkmcnt(0)
	v_fmac_f32_e32 v129, v131, v132
	s_andn2_b64 exec, exec, s[4:5]
	s_cbranch_execnz .LBB122_443
; %bb.444:
	s_or_b64 exec, exec, s[4:5]
.LBB122_445:
	s_or_b64 exec, exec, s[12:13]
	v_mov_b32_e32 v128, 0
	ds_read_b32 v128, v128 offset:52
	s_waitcnt lgkmcnt(0)
	v_mul_f32_e32 v128, v129, v128
	buffer_store_dword v128, off, s[0:3], 0 offset:52
.LBB122_446:
	s_or_b64 exec, exec, s[8:9]
	buffer_load_dword v128, off, s[0:3], 0 offset:48
	v_cmp_lt_u32_e64 s[4:5], 12, v0
	s_waitcnt vmcnt(0)
	ds_write_b32 v120, v128
	s_waitcnt lgkmcnt(0)
	; wave barrier
	s_waitcnt lgkmcnt(0)
	s_and_saveexec_b64 s[8:9], s[4:5]
	s_cbranch_execz .LBB122_456
; %bb.447:
	s_andn2_b64 vcc, exec, s[10:11]
	s_cbranch_vccnz .LBB122_449
; %bb.448:
	buffer_load_dword v128, v121, s[0:3], 0 offen
	ds_read_b32 v129, v120
	s_waitcnt vmcnt(0) lgkmcnt(0)
	v_mul_f32_e32 v128, v128, v129
	s_cbranch_execz .LBB122_450
	s_branch .LBB122_451
.LBB122_449:
                                        ; implicit-def: $vgpr128
.LBB122_450:
	ds_read_b32 v128, v120
.LBB122_451:
	s_and_saveexec_b64 s[12:13], s[6:7]
	s_cbranch_execz .LBB122_455
; %bb.452:
	v_mov_b32_e32 v129, 0
	v_add_u32_e32 v129, 52, v129
	v_add_u32_e32 v130, -13, v0
	s_movk_i32 s14, 0x124
	s_mov_b64 s[6:7], 0
.LBB122_453:                            ; =>This Inner Loop Header: Depth=1
	buffer_load_dword v131, v129, s[0:3], 0 offen
	v_mov_b32_e32 v132, s14
	ds_read_b32 v132, v132
	v_add_u32_e32 v130, -1, v130
	s_add_i32 s14, s14, 4
	v_cmp_eq_u32_e32 vcc, 0, v130
	v_add_u32_e32 v129, 4, v129
	s_or_b64 s[6:7], vcc, s[6:7]
	s_waitcnt vmcnt(0) lgkmcnt(0)
	v_fmac_f32_e32 v128, v131, v132
	s_andn2_b64 exec, exec, s[6:7]
	s_cbranch_execnz .LBB122_453
; %bb.454:
	s_or_b64 exec, exec, s[6:7]
.LBB122_455:
	s_or_b64 exec, exec, s[12:13]
	v_mov_b32_e32 v129, 0
	ds_read_b32 v129, v129 offset:48
	s_waitcnt lgkmcnt(0)
	v_mul_f32_e32 v128, v128, v129
	buffer_store_dword v128, off, s[0:3], 0 offset:48
.LBB122_456:
	s_or_b64 exec, exec, s[8:9]
	buffer_load_dword v128, off, s[0:3], 0 offset:44
	v_cmp_lt_u32_e64 s[6:7], 11, v0
	s_waitcnt vmcnt(0)
	ds_write_b32 v120, v128
	s_waitcnt lgkmcnt(0)
	; wave barrier
	s_waitcnt lgkmcnt(0)
	s_and_saveexec_b64 s[8:9], s[6:7]
	s_cbranch_execz .LBB122_466
; %bb.457:
	s_andn2_b64 vcc, exec, s[10:11]
	s_cbranch_vccnz .LBB122_459
; %bb.458:
	buffer_load_dword v128, v121, s[0:3], 0 offen
	ds_read_b32 v129, v120
	s_waitcnt vmcnt(0) lgkmcnt(0)
	v_mul_f32_e32 v128, v128, v129
	s_cbranch_execz .LBB122_460
	s_branch .LBB122_461
.LBB122_459:
                                        ; implicit-def: $vgpr128
.LBB122_460:
	ds_read_b32 v128, v120
.LBB122_461:
	s_and_saveexec_b64 s[12:13], s[4:5]
	s_cbranch_execz .LBB122_465
; %bb.462:
	v_add_u32_e32 v129, -12, v0
	s_movk_i32 s14, 0x120
	s_mov_b64 s[4:5], 0
.LBB122_463:                            ; =>This Inner Loop Header: Depth=1
	buffer_load_dword v130, v127, s[0:3], 0 offen
	v_mov_b32_e32 v131, s14
	ds_read_b32 v131, v131
	v_add_u32_e32 v129, -1, v129
	s_add_i32 s14, s14, 4
	v_cmp_eq_u32_e32 vcc, 0, v129
	v_add_u32_e32 v127, 4, v127
	s_or_b64 s[4:5], vcc, s[4:5]
	s_waitcnt vmcnt(0) lgkmcnt(0)
	v_fmac_f32_e32 v128, v130, v131
	s_andn2_b64 exec, exec, s[4:5]
	s_cbranch_execnz .LBB122_463
; %bb.464:
	s_or_b64 exec, exec, s[4:5]
.LBB122_465:
	s_or_b64 exec, exec, s[12:13]
	v_mov_b32_e32 v127, 0
	ds_read_b32 v127, v127 offset:44
	s_waitcnt lgkmcnt(0)
	v_mul_f32_e32 v127, v128, v127
	buffer_store_dword v127, off, s[0:3], 0 offset:44
.LBB122_466:
	s_or_b64 exec, exec, s[8:9]
	buffer_load_dword v127, off, s[0:3], 0 offset:40
	v_cmp_lt_u32_e64 s[4:5], 10, v0
	s_waitcnt vmcnt(0)
	ds_write_b32 v120, v127
	s_waitcnt lgkmcnt(0)
	; wave barrier
	s_waitcnt lgkmcnt(0)
	s_and_saveexec_b64 s[8:9], s[4:5]
	s_cbranch_execz .LBB122_476
; %bb.467:
	s_andn2_b64 vcc, exec, s[10:11]
	s_cbranch_vccnz .LBB122_469
; %bb.468:
	buffer_load_dword v127, v121, s[0:3], 0 offen
	ds_read_b32 v128, v120
	s_waitcnt vmcnt(0) lgkmcnt(0)
	v_mul_f32_e32 v127, v127, v128
	s_cbranch_execz .LBB122_470
	s_branch .LBB122_471
.LBB122_469:
                                        ; implicit-def: $vgpr127
.LBB122_470:
	ds_read_b32 v127, v120
.LBB122_471:
	s_and_saveexec_b64 s[12:13], s[6:7]
	s_cbranch_execz .LBB122_475
; %bb.472:
	v_mov_b32_e32 v128, 0
	v_add_u32_e32 v128, 44, v128
	v_add_u32_e32 v129, -11, v0
	s_movk_i32 s14, 0x11c
	s_mov_b64 s[6:7], 0
.LBB122_473:                            ; =>This Inner Loop Header: Depth=1
	buffer_load_dword v130, v128, s[0:3], 0 offen
	v_mov_b32_e32 v131, s14
	ds_read_b32 v131, v131
	v_add_u32_e32 v129, -1, v129
	s_add_i32 s14, s14, 4
	v_cmp_eq_u32_e32 vcc, 0, v129
	v_add_u32_e32 v128, 4, v128
	s_or_b64 s[6:7], vcc, s[6:7]
	s_waitcnt vmcnt(0) lgkmcnt(0)
	v_fmac_f32_e32 v127, v130, v131
	s_andn2_b64 exec, exec, s[6:7]
	s_cbranch_execnz .LBB122_473
; %bb.474:
	s_or_b64 exec, exec, s[6:7]
.LBB122_475:
	s_or_b64 exec, exec, s[12:13]
	v_mov_b32_e32 v128, 0
	ds_read_b32 v128, v128 offset:40
	s_waitcnt lgkmcnt(0)
	v_mul_f32_e32 v127, v127, v128
	buffer_store_dword v127, off, s[0:3], 0 offset:40
.LBB122_476:
	s_or_b64 exec, exec, s[8:9]
	buffer_load_dword v127, off, s[0:3], 0 offset:36
	v_cmp_lt_u32_e64 s[6:7], 9, v0
	s_waitcnt vmcnt(0)
	ds_write_b32 v120, v127
	s_waitcnt lgkmcnt(0)
	; wave barrier
	s_waitcnt lgkmcnt(0)
	s_and_saveexec_b64 s[8:9], s[6:7]
	s_cbranch_execz .LBB122_486
; %bb.477:
	s_andn2_b64 vcc, exec, s[10:11]
	s_cbranch_vccnz .LBB122_479
; %bb.478:
	buffer_load_dword v127, v121, s[0:3], 0 offen
	ds_read_b32 v128, v120
	s_waitcnt vmcnt(0) lgkmcnt(0)
	v_mul_f32_e32 v127, v127, v128
	s_cbranch_execz .LBB122_480
	s_branch .LBB122_481
.LBB122_479:
                                        ; implicit-def: $vgpr127
.LBB122_480:
	ds_read_b32 v127, v120
.LBB122_481:
	s_and_saveexec_b64 s[12:13], s[4:5]
	s_cbranch_execz .LBB122_485
; %bb.482:
	v_add_u32_e32 v128, -10, v0
	s_movk_i32 s14, 0x118
	s_mov_b64 s[4:5], 0
.LBB122_483:                            ; =>This Inner Loop Header: Depth=1
	buffer_load_dword v129, v126, s[0:3], 0 offen
	v_mov_b32_e32 v130, s14
	ds_read_b32 v130, v130
	v_add_u32_e32 v128, -1, v128
	s_add_i32 s14, s14, 4
	v_cmp_eq_u32_e32 vcc, 0, v128
	v_add_u32_e32 v126, 4, v126
	s_or_b64 s[4:5], vcc, s[4:5]
	s_waitcnt vmcnt(0) lgkmcnt(0)
	v_fmac_f32_e32 v127, v129, v130
	s_andn2_b64 exec, exec, s[4:5]
	s_cbranch_execnz .LBB122_483
; %bb.484:
	s_or_b64 exec, exec, s[4:5]
.LBB122_485:
	s_or_b64 exec, exec, s[12:13]
	v_mov_b32_e32 v126, 0
	ds_read_b32 v126, v126 offset:36
	s_waitcnt lgkmcnt(0)
	v_mul_f32_e32 v126, v127, v126
	buffer_store_dword v126, off, s[0:3], 0 offset:36
.LBB122_486:
	s_or_b64 exec, exec, s[8:9]
	buffer_load_dword v126, off, s[0:3], 0 offset:32
	v_cmp_lt_u32_e64 s[4:5], 8, v0
	s_waitcnt vmcnt(0)
	ds_write_b32 v120, v126
	s_waitcnt lgkmcnt(0)
	; wave barrier
	s_waitcnt lgkmcnt(0)
	s_and_saveexec_b64 s[8:9], s[4:5]
	s_cbranch_execz .LBB122_496
; %bb.487:
	s_andn2_b64 vcc, exec, s[10:11]
	s_cbranch_vccnz .LBB122_489
; %bb.488:
	buffer_load_dword v126, v121, s[0:3], 0 offen
	ds_read_b32 v127, v120
	s_waitcnt vmcnt(0) lgkmcnt(0)
	v_mul_f32_e32 v126, v126, v127
	s_cbranch_execz .LBB122_490
	s_branch .LBB122_491
.LBB122_489:
                                        ; implicit-def: $vgpr126
.LBB122_490:
	ds_read_b32 v126, v120
.LBB122_491:
	s_and_saveexec_b64 s[12:13], s[6:7]
	s_cbranch_execz .LBB122_495
; %bb.492:
	v_mov_b32_e32 v127, 0
	v_add_u32_e32 v127, 36, v127
	v_add_u32_e32 v128, -9, v0
	s_movk_i32 s14, 0x114
	s_mov_b64 s[6:7], 0
.LBB122_493:                            ; =>This Inner Loop Header: Depth=1
	buffer_load_dword v129, v127, s[0:3], 0 offen
	v_mov_b32_e32 v130, s14
	ds_read_b32 v130, v130
	v_add_u32_e32 v128, -1, v128
	s_add_i32 s14, s14, 4
	v_cmp_eq_u32_e32 vcc, 0, v128
	v_add_u32_e32 v127, 4, v127
	s_or_b64 s[6:7], vcc, s[6:7]
	s_waitcnt vmcnt(0) lgkmcnt(0)
	v_fmac_f32_e32 v126, v129, v130
	s_andn2_b64 exec, exec, s[6:7]
	s_cbranch_execnz .LBB122_493
; %bb.494:
	s_or_b64 exec, exec, s[6:7]
.LBB122_495:
	s_or_b64 exec, exec, s[12:13]
	v_mov_b32_e32 v127, 0
	ds_read_b32 v127, v127 offset:32
	s_waitcnt lgkmcnt(0)
	v_mul_f32_e32 v126, v126, v127
	buffer_store_dword v126, off, s[0:3], 0 offset:32
.LBB122_496:
	s_or_b64 exec, exec, s[8:9]
	buffer_load_dword v126, off, s[0:3], 0 offset:28
	v_cmp_lt_u32_e64 s[6:7], 7, v0
	s_waitcnt vmcnt(0)
	ds_write_b32 v120, v126
	s_waitcnt lgkmcnt(0)
	; wave barrier
	s_waitcnt lgkmcnt(0)
	s_and_saveexec_b64 s[8:9], s[6:7]
	s_cbranch_execz .LBB122_506
; %bb.497:
	s_andn2_b64 vcc, exec, s[10:11]
	s_cbranch_vccnz .LBB122_499
; %bb.498:
	buffer_load_dword v126, v121, s[0:3], 0 offen
	ds_read_b32 v127, v120
	s_waitcnt vmcnt(0) lgkmcnt(0)
	v_mul_f32_e32 v126, v126, v127
	s_cbranch_execz .LBB122_500
	s_branch .LBB122_501
.LBB122_499:
                                        ; implicit-def: $vgpr126
.LBB122_500:
	ds_read_b32 v126, v120
.LBB122_501:
	s_and_saveexec_b64 s[12:13], s[4:5]
	s_cbranch_execz .LBB122_505
; %bb.502:
	v_add_u32_e32 v127, -8, v0
	s_movk_i32 s14, 0x110
	s_mov_b64 s[4:5], 0
.LBB122_503:                            ; =>This Inner Loop Header: Depth=1
	buffer_load_dword v128, v125, s[0:3], 0 offen
	v_mov_b32_e32 v129, s14
	ds_read_b32 v129, v129
	v_add_u32_e32 v127, -1, v127
	s_add_i32 s14, s14, 4
	v_cmp_eq_u32_e32 vcc, 0, v127
	v_add_u32_e32 v125, 4, v125
	s_or_b64 s[4:5], vcc, s[4:5]
	s_waitcnt vmcnt(0) lgkmcnt(0)
	v_fmac_f32_e32 v126, v128, v129
	s_andn2_b64 exec, exec, s[4:5]
	s_cbranch_execnz .LBB122_503
; %bb.504:
	s_or_b64 exec, exec, s[4:5]
.LBB122_505:
	s_or_b64 exec, exec, s[12:13]
	v_mov_b32_e32 v125, 0
	ds_read_b32 v125, v125 offset:28
	s_waitcnt lgkmcnt(0)
	v_mul_f32_e32 v125, v126, v125
	buffer_store_dword v125, off, s[0:3], 0 offset:28
.LBB122_506:
	s_or_b64 exec, exec, s[8:9]
	buffer_load_dword v125, off, s[0:3], 0 offset:24
	v_cmp_lt_u32_e64 s[4:5], 6, v0
	s_waitcnt vmcnt(0)
	ds_write_b32 v120, v125
	s_waitcnt lgkmcnt(0)
	; wave barrier
	s_waitcnt lgkmcnt(0)
	s_and_saveexec_b64 s[8:9], s[4:5]
	s_cbranch_execz .LBB122_516
; %bb.507:
	s_andn2_b64 vcc, exec, s[10:11]
	s_cbranch_vccnz .LBB122_509
; %bb.508:
	buffer_load_dword v125, v121, s[0:3], 0 offen
	ds_read_b32 v126, v120
	s_waitcnt vmcnt(0) lgkmcnt(0)
	v_mul_f32_e32 v125, v125, v126
	s_cbranch_execz .LBB122_510
	s_branch .LBB122_511
.LBB122_509:
                                        ; implicit-def: $vgpr125
.LBB122_510:
	ds_read_b32 v125, v120
.LBB122_511:
	s_and_saveexec_b64 s[12:13], s[6:7]
	s_cbranch_execz .LBB122_515
; %bb.512:
	v_mov_b32_e32 v126, 0
	v_add_u32_e32 v126, 28, v126
	v_add_u32_e32 v127, -7, v0
	s_movk_i32 s14, 0x10c
	s_mov_b64 s[6:7], 0
.LBB122_513:                            ; =>This Inner Loop Header: Depth=1
	buffer_load_dword v128, v126, s[0:3], 0 offen
	v_mov_b32_e32 v129, s14
	ds_read_b32 v129, v129
	v_add_u32_e32 v127, -1, v127
	s_add_i32 s14, s14, 4
	v_cmp_eq_u32_e32 vcc, 0, v127
	v_add_u32_e32 v126, 4, v126
	s_or_b64 s[6:7], vcc, s[6:7]
	s_waitcnt vmcnt(0) lgkmcnt(0)
	v_fmac_f32_e32 v125, v128, v129
	s_andn2_b64 exec, exec, s[6:7]
	s_cbranch_execnz .LBB122_513
; %bb.514:
	s_or_b64 exec, exec, s[6:7]
.LBB122_515:
	s_or_b64 exec, exec, s[12:13]
	v_mov_b32_e32 v126, 0
	ds_read_b32 v126, v126 offset:24
	s_waitcnt lgkmcnt(0)
	v_mul_f32_e32 v125, v125, v126
	buffer_store_dword v125, off, s[0:3], 0 offset:24
.LBB122_516:
	s_or_b64 exec, exec, s[8:9]
	buffer_load_dword v125, off, s[0:3], 0 offset:20
	v_cmp_lt_u32_e64 s[6:7], 5, v0
	s_waitcnt vmcnt(0)
	ds_write_b32 v120, v125
	s_waitcnt lgkmcnt(0)
	; wave barrier
	s_waitcnt lgkmcnt(0)
	s_and_saveexec_b64 s[8:9], s[6:7]
	s_cbranch_execz .LBB122_526
; %bb.517:
	s_andn2_b64 vcc, exec, s[10:11]
	s_cbranch_vccnz .LBB122_519
; %bb.518:
	buffer_load_dword v125, v121, s[0:3], 0 offen
	ds_read_b32 v126, v120
	s_waitcnt vmcnt(0) lgkmcnt(0)
	v_mul_f32_e32 v125, v125, v126
	s_cbranch_execz .LBB122_520
	s_branch .LBB122_521
.LBB122_519:
                                        ; implicit-def: $vgpr125
.LBB122_520:
	ds_read_b32 v125, v120
.LBB122_521:
	s_and_saveexec_b64 s[12:13], s[4:5]
	s_cbranch_execz .LBB122_525
; %bb.522:
	v_add_u32_e32 v126, -6, v0
	s_movk_i32 s14, 0x108
	s_mov_b64 s[4:5], 0
.LBB122_523:                            ; =>This Inner Loop Header: Depth=1
	buffer_load_dword v127, v124, s[0:3], 0 offen
	v_mov_b32_e32 v128, s14
	ds_read_b32 v128, v128
	v_add_u32_e32 v126, -1, v126
	s_add_i32 s14, s14, 4
	v_cmp_eq_u32_e32 vcc, 0, v126
	v_add_u32_e32 v124, 4, v124
	s_or_b64 s[4:5], vcc, s[4:5]
	s_waitcnt vmcnt(0) lgkmcnt(0)
	v_fmac_f32_e32 v125, v127, v128
	s_andn2_b64 exec, exec, s[4:5]
	s_cbranch_execnz .LBB122_523
; %bb.524:
	s_or_b64 exec, exec, s[4:5]
.LBB122_525:
	s_or_b64 exec, exec, s[12:13]
	v_mov_b32_e32 v124, 0
	ds_read_b32 v124, v124 offset:20
	s_waitcnt lgkmcnt(0)
	v_mul_f32_e32 v124, v125, v124
	buffer_store_dword v124, off, s[0:3], 0 offset:20
.LBB122_526:
	s_or_b64 exec, exec, s[8:9]
	buffer_load_dword v124, off, s[0:3], 0 offset:16
	v_cmp_lt_u32_e64 s[4:5], 4, v0
	s_waitcnt vmcnt(0)
	ds_write_b32 v120, v124
	s_waitcnt lgkmcnt(0)
	; wave barrier
	s_waitcnt lgkmcnt(0)
	s_and_saveexec_b64 s[8:9], s[4:5]
	s_cbranch_execz .LBB122_536
; %bb.527:
	s_andn2_b64 vcc, exec, s[10:11]
	s_cbranch_vccnz .LBB122_529
; %bb.528:
	buffer_load_dword v124, v121, s[0:3], 0 offen
	ds_read_b32 v125, v120
	s_waitcnt vmcnt(0) lgkmcnt(0)
	v_mul_f32_e32 v124, v124, v125
	s_cbranch_execz .LBB122_530
	s_branch .LBB122_531
.LBB122_529:
                                        ; implicit-def: $vgpr124
.LBB122_530:
	ds_read_b32 v124, v120
.LBB122_531:
	s_and_saveexec_b64 s[12:13], s[6:7]
	s_cbranch_execz .LBB122_535
; %bb.532:
	v_mov_b32_e32 v125, 0
	v_add_u32_e32 v125, 20, v125
	v_add_u32_e32 v126, -5, v0
	s_movk_i32 s14, 0x104
	s_mov_b64 s[6:7], 0
.LBB122_533:                            ; =>This Inner Loop Header: Depth=1
	buffer_load_dword v127, v125, s[0:3], 0 offen
	v_mov_b32_e32 v128, s14
	ds_read_b32 v128, v128
	v_add_u32_e32 v126, -1, v126
	s_add_i32 s14, s14, 4
	v_cmp_eq_u32_e32 vcc, 0, v126
	v_add_u32_e32 v125, 4, v125
	s_or_b64 s[6:7], vcc, s[6:7]
	s_waitcnt vmcnt(0) lgkmcnt(0)
	v_fmac_f32_e32 v124, v127, v128
	s_andn2_b64 exec, exec, s[6:7]
	s_cbranch_execnz .LBB122_533
; %bb.534:
	s_or_b64 exec, exec, s[6:7]
.LBB122_535:
	s_or_b64 exec, exec, s[12:13]
	v_mov_b32_e32 v125, 0
	ds_read_b32 v125, v125 offset:16
	s_waitcnt lgkmcnt(0)
	v_mul_f32_e32 v124, v124, v125
	buffer_store_dword v124, off, s[0:3], 0 offset:16
.LBB122_536:
	s_or_b64 exec, exec, s[8:9]
	buffer_load_dword v124, off, s[0:3], 0 offset:12
	v_cmp_lt_u32_e64 s[6:7], 3, v0
	s_waitcnt vmcnt(0)
	ds_write_b32 v120, v124
	s_waitcnt lgkmcnt(0)
	; wave barrier
	s_waitcnt lgkmcnt(0)
	s_and_saveexec_b64 s[8:9], s[6:7]
	s_cbranch_execz .LBB122_546
; %bb.537:
	s_andn2_b64 vcc, exec, s[10:11]
	s_cbranch_vccnz .LBB122_539
; %bb.538:
	buffer_load_dword v124, v121, s[0:3], 0 offen
	ds_read_b32 v125, v120
	s_waitcnt vmcnt(0) lgkmcnt(0)
	v_mul_f32_e32 v124, v124, v125
	s_cbranch_execz .LBB122_540
	s_branch .LBB122_541
.LBB122_539:
                                        ; implicit-def: $vgpr124
.LBB122_540:
	ds_read_b32 v124, v120
.LBB122_541:
	s_and_saveexec_b64 s[12:13], s[4:5]
	s_cbranch_execz .LBB122_545
; %bb.542:
	v_add_u32_e32 v125, -4, v0
	s_movk_i32 s14, 0x100
	s_mov_b64 s[4:5], 0
.LBB122_543:                            ; =>This Inner Loop Header: Depth=1
	buffer_load_dword v126, v123, s[0:3], 0 offen
	v_mov_b32_e32 v127, s14
	ds_read_b32 v127, v127
	v_add_u32_e32 v125, -1, v125
	s_add_i32 s14, s14, 4
	v_cmp_eq_u32_e32 vcc, 0, v125
	v_add_u32_e32 v123, 4, v123
	s_or_b64 s[4:5], vcc, s[4:5]
	s_waitcnt vmcnt(0) lgkmcnt(0)
	v_fmac_f32_e32 v124, v126, v127
	s_andn2_b64 exec, exec, s[4:5]
	s_cbranch_execnz .LBB122_543
; %bb.544:
	s_or_b64 exec, exec, s[4:5]
.LBB122_545:
	s_or_b64 exec, exec, s[12:13]
	v_mov_b32_e32 v123, 0
	ds_read_b32 v123, v123 offset:12
	s_waitcnt lgkmcnt(0)
	v_mul_f32_e32 v123, v124, v123
	buffer_store_dword v123, off, s[0:3], 0 offset:12
.LBB122_546:
	s_or_b64 exec, exec, s[8:9]
	buffer_load_dword v123, off, s[0:3], 0 offset:8
	v_cmp_lt_u32_e64 s[4:5], 2, v0
	s_waitcnt vmcnt(0)
	ds_write_b32 v120, v123
	s_waitcnt lgkmcnt(0)
	; wave barrier
	s_waitcnt lgkmcnt(0)
	s_and_saveexec_b64 s[8:9], s[4:5]
	s_cbranch_execz .LBB122_556
; %bb.547:
	s_andn2_b64 vcc, exec, s[10:11]
	s_cbranch_vccnz .LBB122_549
; %bb.548:
	buffer_load_dword v123, v121, s[0:3], 0 offen
	ds_read_b32 v124, v120
	s_waitcnt vmcnt(0) lgkmcnt(0)
	v_mul_f32_e32 v123, v123, v124
	s_cbranch_execz .LBB122_550
	s_branch .LBB122_551
.LBB122_549:
                                        ; implicit-def: $vgpr123
.LBB122_550:
	ds_read_b32 v123, v120
.LBB122_551:
	s_and_saveexec_b64 s[12:13], s[6:7]
	s_cbranch_execz .LBB122_555
; %bb.552:
	v_mov_b32_e32 v124, 0
	v_or_b32_e32 v124, 12, v124
	v_add_u32_e32 v125, -3, v0
	s_movk_i32 s14, 0xfc
	s_mov_b64 s[6:7], 0
.LBB122_553:                            ; =>This Inner Loop Header: Depth=1
	buffer_load_dword v126, v124, s[0:3], 0 offen
	v_mov_b32_e32 v127, s14
	ds_read_b32 v127, v127
	v_add_u32_e32 v125, -1, v125
	s_add_i32 s14, s14, 4
	v_cmp_eq_u32_e32 vcc, 0, v125
	v_add_u32_e32 v124, 4, v124
	s_or_b64 s[6:7], vcc, s[6:7]
	s_waitcnt vmcnt(0) lgkmcnt(0)
	v_fmac_f32_e32 v123, v126, v127
	s_andn2_b64 exec, exec, s[6:7]
	s_cbranch_execnz .LBB122_553
; %bb.554:
	s_or_b64 exec, exec, s[6:7]
.LBB122_555:
	s_or_b64 exec, exec, s[12:13]
	v_mov_b32_e32 v124, 0
	ds_read_b32 v124, v124 offset:8
	s_waitcnt lgkmcnt(0)
	v_mul_f32_e32 v123, v123, v124
	buffer_store_dword v123, off, s[0:3], 0 offset:8
.LBB122_556:
	s_or_b64 exec, exec, s[8:9]
	buffer_load_dword v123, off, s[0:3], 0 offset:4
	v_cmp_lt_u32_e64 s[6:7], 1, v0
	s_waitcnt vmcnt(0)
	ds_write_b32 v120, v123
	s_waitcnt lgkmcnt(0)
	; wave barrier
	s_waitcnt lgkmcnt(0)
	s_and_saveexec_b64 s[8:9], s[6:7]
	s_cbranch_execz .LBB122_566
; %bb.557:
	s_andn2_b64 vcc, exec, s[10:11]
	s_cbranch_vccnz .LBB122_559
; %bb.558:
	buffer_load_dword v123, v121, s[0:3], 0 offen
	ds_read_b32 v124, v120
	s_waitcnt vmcnt(0) lgkmcnt(0)
	v_mul_f32_e32 v123, v123, v124
	s_cbranch_execz .LBB122_560
	s_branch .LBB122_561
.LBB122_559:
                                        ; implicit-def: $vgpr123
.LBB122_560:
	ds_read_b32 v123, v120
.LBB122_561:
	s_and_saveexec_b64 s[12:13], s[4:5]
	s_cbranch_execz .LBB122_565
; %bb.562:
	v_add_u32_e32 v124, -2, v0
	s_movk_i32 s14, 0xf8
	s_mov_b64 s[4:5], 0
.LBB122_563:                            ; =>This Inner Loop Header: Depth=1
	buffer_load_dword v125, v122, s[0:3], 0 offen
	v_mov_b32_e32 v126, s14
	ds_read_b32 v126, v126
	v_add_u32_e32 v124, -1, v124
	s_add_i32 s14, s14, 4
	v_cmp_eq_u32_e32 vcc, 0, v124
	v_add_u32_e32 v122, 4, v122
	s_or_b64 s[4:5], vcc, s[4:5]
	s_waitcnt vmcnt(0) lgkmcnt(0)
	v_fmac_f32_e32 v123, v125, v126
	s_andn2_b64 exec, exec, s[4:5]
	s_cbranch_execnz .LBB122_563
; %bb.564:
	s_or_b64 exec, exec, s[4:5]
.LBB122_565:
	s_or_b64 exec, exec, s[12:13]
	v_mov_b32_e32 v122, 0
	ds_read_b32 v122, v122 offset:4
	s_waitcnt lgkmcnt(0)
	v_mul_f32_e32 v122, v123, v122
	buffer_store_dword v122, off, s[0:3], 0 offset:4
.LBB122_566:
	s_or_b64 exec, exec, s[8:9]
	buffer_load_dword v122, off, s[0:3], 0
	v_cmp_ne_u32_e32 vcc, 0, v0
	s_waitcnt vmcnt(0)
	ds_write_b32 v120, v122
	s_waitcnt lgkmcnt(0)
	; wave barrier
	s_waitcnt lgkmcnt(0)
	s_and_saveexec_b64 s[4:5], vcc
	s_cbranch_execz .LBB122_576
; %bb.567:
	s_andn2_b64 vcc, exec, s[10:11]
	s_cbranch_vccnz .LBB122_569
; %bb.568:
	buffer_load_dword v122, v121, s[0:3], 0 offen
	ds_read_b32 v123, v120
	s_waitcnt vmcnt(0) lgkmcnt(0)
	v_mul_f32_e32 v122, v122, v123
	s_cbranch_execz .LBB122_570
	s_branch .LBB122_571
.LBB122_569:
                                        ; implicit-def: $vgpr122
.LBB122_570:
	ds_read_b32 v122, v120
.LBB122_571:
	s_and_saveexec_b64 s[8:9], s[6:7]
	s_cbranch_execz .LBB122_575
; %bb.572:
	v_mov_b32_e32 v123, 0
	v_or_b32_e32 v123, 4, v123
	v_add_u32_e32 v124, -1, v0
	s_movk_i32 s12, 0xf4
	s_mov_b64 s[6:7], 0
.LBB122_573:                            ; =>This Inner Loop Header: Depth=1
	buffer_load_dword v125, v123, s[0:3], 0 offen
	v_mov_b32_e32 v126, s12
	ds_read_b32 v126, v126
	v_add_u32_e32 v124, -1, v124
	s_add_i32 s12, s12, 4
	v_cmp_eq_u32_e32 vcc, 0, v124
	v_add_u32_e32 v123, 4, v123
	s_or_b64 s[6:7], vcc, s[6:7]
	s_waitcnt vmcnt(0) lgkmcnt(0)
	v_fmac_f32_e32 v122, v125, v126
	s_andn2_b64 exec, exec, s[6:7]
	s_cbranch_execnz .LBB122_573
; %bb.574:
	s_or_b64 exec, exec, s[6:7]
.LBB122_575:
	s_or_b64 exec, exec, s[8:9]
	v_mov_b32_e32 v123, 0
	ds_read_b32 v123, v123
	s_waitcnt lgkmcnt(0)
	v_mul_f32_e32 v122, v122, v123
	buffer_store_dword v122, off, s[0:3], 0
.LBB122_576:
	s_or_b64 exec, exec, s[4:5]
	s_mov_b64 s[4:5], 0
.LBB122_577:
	s_and_b64 vcc, exec, s[4:5]
	s_cbranch_vccz .LBB122_1151
; %bb.578:
	buffer_load_dword v122, off, s[0:3], 0 offset:4
	v_cmp_eq_u32_e64 s[6:7], 0, v0
	s_waitcnt vmcnt(0)
	ds_write_b32 v120, v122
	s_waitcnt lgkmcnt(0)
	; wave barrier
	s_waitcnt lgkmcnt(0)
	s_and_saveexec_b64 s[4:5], s[6:7]
	s_cbranch_execz .LBB122_584
; %bb.579:
	s_and_b64 vcc, exec, s[10:11]
	s_cbranch_vccz .LBB122_581
; %bb.580:
	buffer_load_dword v122, v121, s[0:3], 0 offen
	ds_read_b32 v123, v120
	s_waitcnt vmcnt(0) lgkmcnt(0)
	v_mul_f32_e32 v122, v122, v123
	s_cbranch_execz .LBB122_582
	s_branch .LBB122_583
.LBB122_581:
                                        ; implicit-def: $vgpr122
.LBB122_582:
	ds_read_b32 v122, v120
.LBB122_583:
	v_mov_b32_e32 v123, 0
	ds_read_b32 v123, v123 offset:4
	s_waitcnt lgkmcnt(0)
	v_mul_f32_e32 v122, v122, v123
	buffer_store_dword v122, off, s[0:3], 0 offset:4
.LBB122_584:
	s_or_b64 exec, exec, s[4:5]
	buffer_load_dword v122, off, s[0:3], 0 offset:8
	v_cndmask_b32_e64 v123, 0, 1, s[10:11]
	v_cmp_gt_u32_e32 vcc, 2, v0
	v_cmp_ne_u32_e64 s[4:5], 1, v123
	s_waitcnt vmcnt(0)
	ds_write_b32 v120, v122
	s_waitcnt lgkmcnt(0)
	; wave barrier
	s_waitcnt lgkmcnt(0)
	s_and_saveexec_b64 s[8:9], vcc
	s_cbranch_execz .LBB122_592
; %bb.585:
	s_and_b64 vcc, exec, s[4:5]
	s_cbranch_vccnz .LBB122_587
; %bb.586:
	buffer_load_dword v122, v121, s[0:3], 0 offen
	ds_read_b32 v123, v120
	s_waitcnt vmcnt(0) lgkmcnt(0)
	v_mul_f32_e32 v122, v122, v123
	s_cbranch_execz .LBB122_588
	s_branch .LBB122_589
.LBB122_587:
                                        ; implicit-def: $vgpr122
.LBB122_588:
	ds_read_b32 v122, v120
.LBB122_589:
	s_and_saveexec_b64 s[10:11], s[6:7]
	s_cbranch_execz .LBB122_591
; %bb.590:
	buffer_load_dword v123, v121, s[0:3], 0 offen offset:4
	ds_read_b32 v124, v120 offset:4
	s_waitcnt vmcnt(0) lgkmcnt(0)
	v_fmac_f32_e32 v122, v123, v124
.LBB122_591:
	s_or_b64 exec, exec, s[10:11]
	v_mov_b32_e32 v123, 0
	ds_read_b32 v123, v123 offset:8
	s_waitcnt lgkmcnt(0)
	v_mul_f32_e32 v122, v122, v123
	buffer_store_dword v122, off, s[0:3], 0 offset:8
.LBB122_592:
	s_or_b64 exec, exec, s[8:9]
	buffer_load_dword v122, off, s[0:3], 0 offset:12
	v_cmp_gt_u32_e32 vcc, 3, v0
	s_waitcnt vmcnt(0)
	ds_write_b32 v120, v122
	s_waitcnt lgkmcnt(0)
	; wave barrier
	s_waitcnt lgkmcnt(0)
	s_and_saveexec_b64 s[8:9], vcc
	s_cbranch_execz .LBB122_600
; %bb.593:
	s_and_b64 vcc, exec, s[4:5]
	s_cbranch_vccnz .LBB122_595
; %bb.594:
	buffer_load_dword v122, v121, s[0:3], 0 offen
	ds_read_b32 v123, v120
	s_waitcnt vmcnt(0) lgkmcnt(0)
	v_mul_f32_e32 v122, v122, v123
	s_cbranch_execz .LBB122_596
	s_branch .LBB122_597
.LBB122_595:
                                        ; implicit-def: $vgpr122
.LBB122_596:
	ds_read_b32 v122, v120
.LBB122_597:
	v_cmp_ne_u32_e32 vcc, 2, v0
	s_and_saveexec_b64 s[10:11], vcc
	s_cbranch_execz .LBB122_599
; %bb.598:
	buffer_load_dword v123, v121, s[0:3], 0 offen offset:4
	buffer_load_dword v124, off, s[0:3], 0 offset:8
	v_mov_b32_e32 v125, 0
	ds_read_b32 v126, v120 offset:4
	ds_read_b32 v125, v125 offset:248
	s_waitcnt vmcnt(1) lgkmcnt(1)
	v_fmac_f32_e32 v122, v123, v126
	s_waitcnt vmcnt(0) lgkmcnt(0)
	v_fma_f32 v123, v124, v125, v122
	v_cndmask_b32_e64 v122, v122, v123, s[6:7]
.LBB122_599:
	s_or_b64 exec, exec, s[10:11]
	v_mov_b32_e32 v123, 0
	ds_read_b32 v123, v123 offset:12
	s_waitcnt lgkmcnt(0)
	v_mul_f32_e32 v122, v122, v123
	buffer_store_dword v122, off, s[0:3], 0 offset:12
.LBB122_600:
	s_or_b64 exec, exec, s[8:9]
	buffer_load_dword v122, off, s[0:3], 0 offset:16
	v_cmp_gt_u32_e32 vcc, 4, v0
	s_waitcnt vmcnt(0)
	ds_write_b32 v120, v122
	s_waitcnt lgkmcnt(0)
	; wave barrier
	s_waitcnt lgkmcnt(0)
	s_and_saveexec_b64 s[6:7], vcc
	s_cbranch_execz .LBB122_610
; %bb.601:
	s_and_b64 vcc, exec, s[4:5]
	s_cbranch_vccnz .LBB122_603
; %bb.602:
	buffer_load_dword v122, v121, s[0:3], 0 offen
	ds_read_b32 v123, v120
	s_waitcnt vmcnt(0) lgkmcnt(0)
	v_mul_f32_e32 v122, v122, v123
	s_cbranch_execz .LBB122_604
	s_branch .LBB122_605
.LBB122_603:
                                        ; implicit-def: $vgpr122
.LBB122_604:
	ds_read_b32 v122, v120
.LBB122_605:
	v_cmp_ne_u32_e32 vcc, 3, v0
	s_and_saveexec_b64 s[8:9], vcc
	s_cbranch_execz .LBB122_609
; %bb.606:
	v_mov_b32_e32 v124, 0
	v_add_u32_e32 v123, 0xf4, v1
	v_add3_u32 v124, v1, v124, 4
	s_mov_b64 s[10:11], 0
	v_mov_b32_e32 v125, v0
.LBB122_607:                            ; =>This Inner Loop Header: Depth=1
	buffer_load_dword v126, v124, s[0:3], 0 offen
	ds_read_b32 v127, v123
	v_add_u32_e32 v125, 1, v125
	v_cmp_lt_u32_e32 vcc, 2, v125
	v_add_u32_e32 v123, 4, v123
	v_add_u32_e32 v124, 4, v124
	s_or_b64 s[10:11], vcc, s[10:11]
	s_waitcnt vmcnt(0) lgkmcnt(0)
	v_fmac_f32_e32 v122, v126, v127
	s_andn2_b64 exec, exec, s[10:11]
	s_cbranch_execnz .LBB122_607
; %bb.608:
	s_or_b64 exec, exec, s[10:11]
.LBB122_609:
	s_or_b64 exec, exec, s[8:9]
	v_mov_b32_e32 v123, 0
	ds_read_b32 v123, v123 offset:16
	s_waitcnt lgkmcnt(0)
	v_mul_f32_e32 v122, v122, v123
	buffer_store_dword v122, off, s[0:3], 0 offset:16
.LBB122_610:
	s_or_b64 exec, exec, s[6:7]
	buffer_load_dword v122, off, s[0:3], 0 offset:20
	v_cmp_gt_u32_e32 vcc, 5, v0
	s_waitcnt vmcnt(0)
	ds_write_b32 v120, v122
	s_waitcnt lgkmcnt(0)
	; wave barrier
	s_waitcnt lgkmcnt(0)
	s_and_saveexec_b64 s[6:7], vcc
	s_cbranch_execz .LBB122_620
; %bb.611:
	s_and_b64 vcc, exec, s[4:5]
	s_cbranch_vccnz .LBB122_613
; %bb.612:
	buffer_load_dword v122, v121, s[0:3], 0 offen
	ds_read_b32 v123, v120
	s_waitcnt vmcnt(0) lgkmcnt(0)
	v_mul_f32_e32 v122, v122, v123
	s_cbranch_execz .LBB122_614
	s_branch .LBB122_615
.LBB122_613:
                                        ; implicit-def: $vgpr122
.LBB122_614:
	ds_read_b32 v122, v120
.LBB122_615:
	v_cmp_ne_u32_e32 vcc, 4, v0
	s_and_saveexec_b64 s[8:9], vcc
	s_cbranch_execz .LBB122_619
; %bb.616:
	v_mov_b32_e32 v124, 0
	v_add_u32_e32 v123, 0xf4, v1
	v_add3_u32 v124, v1, v124, 4
	s_mov_b64 s[10:11], 0
	v_mov_b32_e32 v125, v0
.LBB122_617:                            ; =>This Inner Loop Header: Depth=1
	buffer_load_dword v126, v124, s[0:3], 0 offen
	ds_read_b32 v127, v123
	v_add_u32_e32 v125, 1, v125
	v_cmp_lt_u32_e32 vcc, 3, v125
	v_add_u32_e32 v123, 4, v123
	v_add_u32_e32 v124, 4, v124
	s_or_b64 s[10:11], vcc, s[10:11]
	s_waitcnt vmcnt(0) lgkmcnt(0)
	v_fmac_f32_e32 v122, v126, v127
	s_andn2_b64 exec, exec, s[10:11]
	s_cbranch_execnz .LBB122_617
; %bb.618:
	s_or_b64 exec, exec, s[10:11]
.LBB122_619:
	s_or_b64 exec, exec, s[8:9]
	v_mov_b32_e32 v123, 0
	ds_read_b32 v123, v123 offset:20
	s_waitcnt lgkmcnt(0)
	v_mul_f32_e32 v122, v122, v123
	buffer_store_dword v122, off, s[0:3], 0 offset:20
.LBB122_620:
	;; [unrolled: 56-line block ×40, first 2 shown]
	s_or_b64 exec, exec, s[6:7]
	buffer_load_dword v122, off, s[0:3], 0 offset:176
	v_cmp_gt_u32_e32 vcc, 44, v0
	s_waitcnt vmcnt(0)
	ds_write_b32 v120, v122
	s_waitcnt lgkmcnt(0)
	; wave barrier
	s_waitcnt lgkmcnt(0)
	s_and_saveexec_b64 s[6:7], vcc
	s_cbranch_execz .LBB122_1010
; %bb.1001:
	s_and_b64 vcc, exec, s[4:5]
	s_cbranch_vccnz .LBB122_1003
; %bb.1002:
	buffer_load_dword v122, v121, s[0:3], 0 offen
	ds_read_b32 v123, v120
	s_waitcnt vmcnt(0) lgkmcnt(0)
	v_mul_f32_e32 v122, v122, v123
	s_cbranch_execz .LBB122_1004
	s_branch .LBB122_1005
.LBB122_1003:
                                        ; implicit-def: $vgpr122
.LBB122_1004:
	ds_read_b32 v122, v120
.LBB122_1005:
	v_cmp_ne_u32_e32 vcc, 43, v0
	s_and_saveexec_b64 s[8:9], vcc
	s_cbranch_execz .LBB122_1009
; %bb.1006:
	v_mov_b32_e32 v124, 0
	v_add_u32_e32 v123, 0xf4, v1
	v_add3_u32 v124, v1, v124, 4
	s_mov_b64 s[10:11], 0
	v_mov_b32_e32 v125, v0
.LBB122_1007:                           ; =>This Inner Loop Header: Depth=1
	buffer_load_dword v126, v124, s[0:3], 0 offen
	ds_read_b32 v127, v123
	v_add_u32_e32 v125, 1, v125
	v_cmp_lt_u32_e32 vcc, 42, v125
	v_add_u32_e32 v123, 4, v123
	v_add_u32_e32 v124, 4, v124
	s_or_b64 s[10:11], vcc, s[10:11]
	s_waitcnt vmcnt(0) lgkmcnt(0)
	v_fmac_f32_e32 v122, v126, v127
	s_andn2_b64 exec, exec, s[10:11]
	s_cbranch_execnz .LBB122_1007
; %bb.1008:
	s_or_b64 exec, exec, s[10:11]
.LBB122_1009:
	s_or_b64 exec, exec, s[8:9]
	v_mov_b32_e32 v123, 0
	ds_read_b32 v123, v123 offset:176
	s_waitcnt lgkmcnt(0)
	v_mul_f32_e32 v122, v122, v123
	buffer_store_dword v122, off, s[0:3], 0 offset:176
.LBB122_1010:
	s_or_b64 exec, exec, s[6:7]
	buffer_load_dword v122, off, s[0:3], 0 offset:180
	v_cmp_gt_u32_e32 vcc, 45, v0
	s_waitcnt vmcnt(0)
	ds_write_b32 v120, v122
	s_waitcnt lgkmcnt(0)
	; wave barrier
	s_waitcnt lgkmcnt(0)
	s_and_saveexec_b64 s[6:7], vcc
	s_cbranch_execz .LBB122_1020
; %bb.1011:
	s_and_b64 vcc, exec, s[4:5]
	s_cbranch_vccnz .LBB122_1013
; %bb.1012:
	buffer_load_dword v122, v121, s[0:3], 0 offen
	ds_read_b32 v123, v120
	s_waitcnt vmcnt(0) lgkmcnt(0)
	v_mul_f32_e32 v122, v122, v123
	s_cbranch_execz .LBB122_1014
	s_branch .LBB122_1015
.LBB122_1013:
                                        ; implicit-def: $vgpr122
.LBB122_1014:
	ds_read_b32 v122, v120
.LBB122_1015:
	v_cmp_ne_u32_e32 vcc, 44, v0
	s_and_saveexec_b64 s[8:9], vcc
	s_cbranch_execz .LBB122_1019
; %bb.1016:
	v_mov_b32_e32 v124, 0
	v_add_u32_e32 v123, 0xf4, v1
	v_add3_u32 v124, v1, v124, 4
	s_mov_b64 s[10:11], 0
	v_mov_b32_e32 v125, v0
.LBB122_1017:                           ; =>This Inner Loop Header: Depth=1
	buffer_load_dword v126, v124, s[0:3], 0 offen
	ds_read_b32 v127, v123
	v_add_u32_e32 v125, 1, v125
	v_cmp_lt_u32_e32 vcc, 43, v125
	v_add_u32_e32 v123, 4, v123
	v_add_u32_e32 v124, 4, v124
	s_or_b64 s[10:11], vcc, s[10:11]
	s_waitcnt vmcnt(0) lgkmcnt(0)
	v_fmac_f32_e32 v122, v126, v127
	s_andn2_b64 exec, exec, s[10:11]
	s_cbranch_execnz .LBB122_1017
; %bb.1018:
	s_or_b64 exec, exec, s[10:11]
.LBB122_1019:
	s_or_b64 exec, exec, s[8:9]
	v_mov_b32_e32 v123, 0
	ds_read_b32 v123, v123 offset:180
	s_waitcnt lgkmcnt(0)
	v_mul_f32_e32 v122, v122, v123
	buffer_store_dword v122, off, s[0:3], 0 offset:180
.LBB122_1020:
	;; [unrolled: 56-line block ×13, first 2 shown]
	s_or_b64 exec, exec, s[6:7]
	buffer_load_dword v122, off, s[0:3], 0 offset:228
	v_cmp_gt_u32_e64 s[6:7], 57, v0
	s_waitcnt vmcnt(0)
	ds_write_b32 v120, v122
	s_waitcnt lgkmcnt(0)
	; wave barrier
	s_waitcnt lgkmcnt(0)
	s_and_saveexec_b64 s[8:9], s[6:7]
	s_cbranch_execz .LBB122_1140
; %bb.1131:
	s_and_b64 vcc, exec, s[4:5]
	s_cbranch_vccnz .LBB122_1133
; %bb.1132:
	buffer_load_dword v122, v121, s[0:3], 0 offen
	ds_read_b32 v123, v120
	s_waitcnt vmcnt(0) lgkmcnt(0)
	v_mul_f32_e32 v122, v122, v123
	s_cbranch_execz .LBB122_1134
	s_branch .LBB122_1135
.LBB122_1133:
                                        ; implicit-def: $vgpr122
.LBB122_1134:
	ds_read_b32 v122, v120
.LBB122_1135:
	v_cmp_ne_u32_e32 vcc, 56, v0
	s_and_saveexec_b64 s[10:11], vcc
	s_cbranch_execz .LBB122_1139
; %bb.1136:
	v_mov_b32_e32 v124, 0
	v_add_u32_e32 v123, 0xf4, v1
	v_add3_u32 v124, v1, v124, 4
	s_mov_b64 s[12:13], 0
	v_mov_b32_e32 v125, v0
.LBB122_1137:                           ; =>This Inner Loop Header: Depth=1
	buffer_load_dword v126, v124, s[0:3], 0 offen
	ds_read_b32 v127, v123
	v_add_u32_e32 v125, 1, v125
	v_cmp_lt_u32_e32 vcc, 55, v125
	v_add_u32_e32 v123, 4, v123
	v_add_u32_e32 v124, 4, v124
	s_or_b64 s[12:13], vcc, s[12:13]
	s_waitcnt vmcnt(0) lgkmcnt(0)
	v_fmac_f32_e32 v122, v126, v127
	s_andn2_b64 exec, exec, s[12:13]
	s_cbranch_execnz .LBB122_1137
; %bb.1138:
	s_or_b64 exec, exec, s[12:13]
.LBB122_1139:
	s_or_b64 exec, exec, s[10:11]
	v_mov_b32_e32 v123, 0
	ds_read_b32 v123, v123 offset:228
	s_waitcnt lgkmcnt(0)
	v_mul_f32_e32 v122, v122, v123
	buffer_store_dword v122, off, s[0:3], 0 offset:228
.LBB122_1140:
	s_or_b64 exec, exec, s[8:9]
	buffer_load_dword v122, off, s[0:3], 0 offset:232
	v_cmp_ne_u32_e32 vcc, 58, v0
	s_waitcnt vmcnt(0)
	ds_write_b32 v120, v122
	s_waitcnt lgkmcnt(0)
	; wave barrier
	s_waitcnt lgkmcnt(0)
	s_and_saveexec_b64 s[8:9], vcc
	s_cbranch_execz .LBB122_1150
; %bb.1141:
	s_and_b64 vcc, exec, s[4:5]
	s_cbranch_vccnz .LBB122_1143
; %bb.1142:
	buffer_load_dword v121, v121, s[0:3], 0 offen
	ds_read_b32 v122, v120
	s_waitcnt vmcnt(0) lgkmcnt(0)
	v_mul_f32_e32 v121, v121, v122
	s_cbranch_execz .LBB122_1144
	s_branch .LBB122_1145
.LBB122_1143:
                                        ; implicit-def: $vgpr121
.LBB122_1144:
	ds_read_b32 v121, v120
.LBB122_1145:
	s_and_saveexec_b64 s[4:5], s[6:7]
	s_cbranch_execz .LBB122_1149
; %bb.1146:
	v_mov_b32_e32 v122, 0
	v_add_u32_e32 v120, 0xf4, v1
	v_add3_u32 v1, v1, v122, 4
	s_mov_b64 s[6:7], 0
.LBB122_1147:                           ; =>This Inner Loop Header: Depth=1
	buffer_load_dword v122, v1, s[0:3], 0 offen
	ds_read_b32 v123, v120
	v_add_u32_e32 v0, 1, v0
	v_cmp_lt_u32_e32 vcc, 56, v0
	v_add_u32_e32 v120, 4, v120
	v_add_u32_e32 v1, 4, v1
	s_or_b64 s[6:7], vcc, s[6:7]
	s_waitcnt vmcnt(0) lgkmcnt(0)
	v_fmac_f32_e32 v121, v122, v123
	s_andn2_b64 exec, exec, s[6:7]
	s_cbranch_execnz .LBB122_1147
; %bb.1148:
	s_or_b64 exec, exec, s[6:7]
.LBB122_1149:
	s_or_b64 exec, exec, s[4:5]
	v_mov_b32_e32 v0, 0
	ds_read_b32 v0, v0 offset:232
	s_waitcnt lgkmcnt(0)
	v_mul_f32_e32 v0, v121, v0
	buffer_store_dword v0, off, s[0:3], 0 offset:232
.LBB122_1150:
	s_or_b64 exec, exec, s[8:9]
.LBB122_1151:
	buffer_load_dword v0, off, s[0:3], 0
	buffer_load_dword v1, off, s[0:3], 0 offset:4
	buffer_load_dword v120, off, s[0:3], 0 offset:8
	;; [unrolled: 1-line block ×39, first 2 shown]
	s_waitcnt vmcnt(39)
	global_store_dword v[4:5], v0, off
	buffer_load_dword v0, off, s[0:3], 0 offset:160
	s_nop 0
	buffer_load_dword v4, off, s[0:3], 0 offset:164
	buffer_load_dword v5, off, s[0:3], 0 offset:168
	;; [unrolled: 1-line block ×7, first 2 shown]
	s_waitcnt vmcnt(47)
	global_store_dword v[2:3], v1, off
	s_waitcnt vmcnt(47)
	global_store_dword v[6:7], v120, off
	;; [unrolled: 2-line block ×3, first 2 shown]
	buffer_load_dword v1, off, s[0:3], 0 offset:192
	buffer_load_dword v2, off, s[0:3], 0 offset:196
	;; [unrolled: 1-line block ×8, first 2 shown]
	s_waitcnt vmcnt(55)
	global_store_dword v[10:11], v122, off
	buffer_load_dword v10, off, s[0:3], 0 offset:224
	s_nop 0
	buffer_load_dword v11, off, s[0:3], 0 offset:228
	buffer_load_dword v121, off, s[0:3], 0 offset:232
	s_waitcnt vmcnt(58)
	global_store_dword v[12:13], v123, off
	s_waitcnt vmcnt(58)
	global_store_dword v[14:15], v124, off
	;; [unrolled: 2-line block ×54, first 2 shown]
.LBB122_1152:
	s_endpgm
	.section	.rodata,"a",@progbits
	.p2align	6, 0x0
	.amdhsa_kernel _ZN9rocsolver6v33100L18trti2_kernel_smallILi59EfPKPfEEv13rocblas_fill_17rocblas_diagonal_T1_iil
		.amdhsa_group_segment_fixed_size 476
		.amdhsa_private_segment_fixed_size 240
		.amdhsa_kernarg_size 32
		.amdhsa_user_sgpr_count 8
		.amdhsa_user_sgpr_private_segment_buffer 1
		.amdhsa_user_sgpr_dispatch_ptr 0
		.amdhsa_user_sgpr_queue_ptr 0
		.amdhsa_user_sgpr_kernarg_segment_ptr 1
		.amdhsa_user_sgpr_dispatch_id 0
		.amdhsa_user_sgpr_flat_scratch_init 1
		.amdhsa_user_sgpr_kernarg_preload_length 0
		.amdhsa_user_sgpr_kernarg_preload_offset 0
		.amdhsa_user_sgpr_private_segment_size 0
		.amdhsa_uses_dynamic_stack 0
		.amdhsa_system_sgpr_private_segment_wavefront_offset 1
		.amdhsa_system_sgpr_workgroup_id_x 1
		.amdhsa_system_sgpr_workgroup_id_y 0
		.amdhsa_system_sgpr_workgroup_id_z 0
		.amdhsa_system_sgpr_workgroup_info 0
		.amdhsa_system_vgpr_workitem_id 0
		.amdhsa_next_free_vgpr 165
		.amdhsa_next_free_sgpr 16
		.amdhsa_accum_offset 168
		.amdhsa_reserve_vcc 1
		.amdhsa_reserve_flat_scratch 0
		.amdhsa_float_round_mode_32 0
		.amdhsa_float_round_mode_16_64 0
		.amdhsa_float_denorm_mode_32 3
		.amdhsa_float_denorm_mode_16_64 3
		.amdhsa_dx10_clamp 1
		.amdhsa_ieee_mode 1
		.amdhsa_fp16_overflow 0
		.amdhsa_tg_split 0
		.amdhsa_exception_fp_ieee_invalid_op 0
		.amdhsa_exception_fp_denorm_src 0
		.amdhsa_exception_fp_ieee_div_zero 0
		.amdhsa_exception_fp_ieee_overflow 0
		.amdhsa_exception_fp_ieee_underflow 0
		.amdhsa_exception_fp_ieee_inexact 0
		.amdhsa_exception_int_div_zero 0
	.end_amdhsa_kernel
	.section	.text._ZN9rocsolver6v33100L18trti2_kernel_smallILi59EfPKPfEEv13rocblas_fill_17rocblas_diagonal_T1_iil,"axG",@progbits,_ZN9rocsolver6v33100L18trti2_kernel_smallILi59EfPKPfEEv13rocblas_fill_17rocblas_diagonal_T1_iil,comdat
.Lfunc_end122:
	.size	_ZN9rocsolver6v33100L18trti2_kernel_smallILi59EfPKPfEEv13rocblas_fill_17rocblas_diagonal_T1_iil, .Lfunc_end122-_ZN9rocsolver6v33100L18trti2_kernel_smallILi59EfPKPfEEv13rocblas_fill_17rocblas_diagonal_T1_iil
                                        ; -- End function
	.section	.AMDGPU.csdata,"",@progbits
; Kernel info:
; codeLenInByte = 29196
; NumSgprs: 20
; NumVgprs: 165
; NumAgprs: 0
; TotalNumVgprs: 165
; ScratchSize: 240
; MemoryBound: 0
; FloatMode: 240
; IeeeMode: 1
; LDSByteSize: 476 bytes/workgroup (compile time only)
; SGPRBlocks: 2
; VGPRBlocks: 20
; NumSGPRsForWavesPerEU: 20
; NumVGPRsForWavesPerEU: 165
; AccumOffset: 168
; Occupancy: 3
; WaveLimiterHint : 1
; COMPUTE_PGM_RSRC2:SCRATCH_EN: 1
; COMPUTE_PGM_RSRC2:USER_SGPR: 8
; COMPUTE_PGM_RSRC2:TRAP_HANDLER: 0
; COMPUTE_PGM_RSRC2:TGID_X_EN: 1
; COMPUTE_PGM_RSRC2:TGID_Y_EN: 0
; COMPUTE_PGM_RSRC2:TGID_Z_EN: 0
; COMPUTE_PGM_RSRC2:TIDIG_COMP_CNT: 0
; COMPUTE_PGM_RSRC3_GFX90A:ACCUM_OFFSET: 41
; COMPUTE_PGM_RSRC3_GFX90A:TG_SPLIT: 0
	.section	.text._ZN9rocsolver6v33100L18trti2_kernel_smallILi60EfPKPfEEv13rocblas_fill_17rocblas_diagonal_T1_iil,"axG",@progbits,_ZN9rocsolver6v33100L18trti2_kernel_smallILi60EfPKPfEEv13rocblas_fill_17rocblas_diagonal_T1_iil,comdat
	.globl	_ZN9rocsolver6v33100L18trti2_kernel_smallILi60EfPKPfEEv13rocblas_fill_17rocblas_diagonal_T1_iil ; -- Begin function _ZN9rocsolver6v33100L18trti2_kernel_smallILi60EfPKPfEEv13rocblas_fill_17rocblas_diagonal_T1_iil
	.p2align	8
	.type	_ZN9rocsolver6v33100L18trti2_kernel_smallILi60EfPKPfEEv13rocblas_fill_17rocblas_diagonal_T1_iil,@function
_ZN9rocsolver6v33100L18trti2_kernel_smallILi60EfPKPfEEv13rocblas_fill_17rocblas_diagonal_T1_iil: ; @_ZN9rocsolver6v33100L18trti2_kernel_smallILi60EfPKPfEEv13rocblas_fill_17rocblas_diagonal_T1_iil
; %bb.0:
	s_add_u32 s0, s0, s9
	s_addc_u32 s1, s1, 0
	v_cmp_gt_u32_e32 vcc, 60, v0
	s_and_saveexec_b64 s[6:7], vcc
	s_cbranch_execz .LBB123_1172
; %bb.1:
	s_load_dwordx2 s[6:7], s[4:5], 0x10
	s_load_dwordx4 s[12:15], s[4:5], 0x0
	s_ashr_i32 s9, s8, 31
	s_lshl_b64 s[4:5], s[8:9], 3
	v_lshlrev_b32_e32 v1, 2, v0
	s_waitcnt lgkmcnt(0)
	s_ashr_i32 s9, s6, 31
	s_add_u32 s4, s14, s4
	s_addc_u32 s5, s15, s5
	s_load_dwordx2 s[4:5], s[4:5], 0x0
	s_mov_b32 s8, s6
	s_lshl_b64 s[8:9], s[8:9], 2
	s_waitcnt lgkmcnt(0)
	s_add_u32 s4, s4, s8
	s_addc_u32 s5, s5, s9
	v_mov_b32_e32 v3, s5
	v_add_co_u32_e32 v2, vcc, s4, v1
	s_ashr_i32 s9, s7, 31
	s_mov_b32 s8, s7
	s_add_i32 s6, s7, s7
	v_addc_co_u32_e32 v3, vcc, 0, v3, vcc
	s_lshl_b64 s[8:9], s[8:9], 2
	v_add_u32_e32 v8, s6, v0
	v_mov_b32_e32 v5, s9
	v_add_co_u32_e32 v4, vcc, s8, v2
	v_ashrrev_i32_e32 v9, 31, v8
	v_addc_co_u32_e32 v5, vcc, v3, v5, vcc
	v_lshlrev_b64 v[6:7], 2, v[8:9]
	v_add_u32_e32 v10, s7, v8
	v_mov_b32_e32 v9, s5
	v_add_co_u32_e32 v6, vcc, s4, v6
	v_ashrrev_i32_e32 v11, 31, v10
	v_addc_co_u32_e32 v7, vcc, v9, v7, vcc
	v_lshlrev_b64 v[8:9], 2, v[10:11]
	;; [unrolled: 6-line block ×7, first 2 shown]
	v_mov_b32_e32 v21, s5
	v_add_co_u32_e32 v18, vcc, s4, v18
	global_load_dword v37, v1, s[4:5]
	v_addc_co_u32_e32 v19, vcc, v21, v19, vcc
	global_load_dword v39, v[4:5], off
	global_load_dword v41, v[6:7], off
	;; [unrolled: 1-line block ×8, first 2 shown]
	v_add_u32_e32 v22, s7, v20
	v_ashrrev_i32_e32 v23, 31, v22
	v_lshlrev_b64 v[20:21], 2, v[22:23]
	v_add_u32_e32 v24, s7, v22
	v_mov_b32_e32 v23, s5
	v_add_co_u32_e32 v20, vcc, s4, v20
	v_ashrrev_i32_e32 v25, 31, v24
	v_addc_co_u32_e32 v21, vcc, v23, v21, vcc
	v_lshlrev_b64 v[22:23], 2, v[24:25]
	v_add_u32_e32 v26, s7, v24
	v_mov_b32_e32 v25, s5
	v_add_co_u32_e32 v22, vcc, s4, v22
	v_ashrrev_i32_e32 v27, 31, v26
	v_addc_co_u32_e32 v23, vcc, v25, v23, vcc
	;; [unrolled: 6-line block ×6, first 2 shown]
	v_lshlrev_b64 v[32:33], 2, v[34:35]
	v_mov_b32_e32 v35, s5
	v_add_co_u32_e32 v32, vcc, s4, v32
	global_load_dword v57, v[20:21], off
	global_load_dword v55, v[22:23], off
	;; [unrolled: 1-line block ×3, first 2 shown]
	v_addc_co_u32_e32 v33, vcc, v35, v33, vcc
	global_load_dword v61, v[26:27], off
	global_load_dword v63, v[28:29], off
	;; [unrolled: 1-line block ×4, first 2 shown]
	v_add_u32_e32 v36, s7, v34
	v_add_u32_e32 v38, s7, v36
	;; [unrolled: 1-line block ×44, first 2 shown]
	v_ashrrev_i32_e32 v35, 31, v34
	v_lshlrev_b64 v[34:35], 2, v[34:35]
	v_mov_b32_e32 v69, s5
	v_add_co_u32_e32 v34, vcc, s4, v34
	v_addc_co_u32_e32 v35, vcc, v69, v35, vcc
	global_load_dword v122, v[34:35], off
	s_waitcnt vmcnt(16)
	buffer_store_dword v37, off, s[0:3], 0
	s_waitcnt vmcnt(16)
	buffer_store_dword v39, off, s[0:3], 0 offset:4
	s_waitcnt vmcnt(16)
	buffer_store_dword v41, off, s[0:3], 0 offset:8
	;; [unrolled: 2-line block ×8, first 2 shown]
	v_ashrrev_i32_e32 v37, 31, v36
	v_lshlrev_b64 v[36:37], 2, v[36:37]
	v_mov_b32_e32 v39, s5
	v_add_co_u32_e32 v36, vcc, s4, v36
	v_addc_co_u32_e32 v37, vcc, v39, v37, vcc
	v_ashrrev_i32_e32 v39, 31, v38
	v_lshlrev_b64 v[38:39], 2, v[38:39]
	v_mov_b32_e32 v41, s5
	v_add_co_u32_e32 v38, vcc, s4, v38
	v_addc_co_u32_e32 v39, vcc, v41, v39, vcc
	;; [unrolled: 5-line block ×8, first 2 shown]
	v_ashrrev_i32_e32 v53, 31, v52
	v_lshlrev_b64 v[52:53], 2, v[52:53]
	global_load_dword v123, v[36:37], off
	s_waitcnt vmcnt(17)
	buffer_store_dword v57, off, s[0:3], 0 offset:36
	s_waitcnt vmcnt(16)
	buffer_store_dword v59, off, s[0:3], 0 offset:44
	buffer_store_dword v55, off, s[0:3], 0 offset:40
	s_waitcnt vmcnt(17)
	buffer_store_dword v61, off, s[0:3], 0 offset:48
	s_waitcnt vmcnt(17)
	;; [unrolled: 2-line block ×4, first 2 shown]
	buffer_store_dword v67, off, s[0:3], 0 offset:60
	v_mov_b32_e32 v55, s5
	v_add_co_u32_e32 v52, vcc, s4, v52
	v_addc_co_u32_e32 v53, vcc, v55, v53, vcc
	v_ashrrev_i32_e32 v55, 31, v54
	v_lshlrev_b64 v[54:55], 2, v[54:55]
	v_mov_b32_e32 v57, s5
	v_add_co_u32_e32 v54, vcc, s4, v54
	v_addc_co_u32_e32 v55, vcc, v57, v55, vcc
	v_ashrrev_i32_e32 v57, 31, v56
	v_lshlrev_b64 v[56:57], 2, v[56:57]
	;; [unrolled: 5-line block ×7, first 2 shown]
	v_add_co_u32_e32 v66, vcc, s4, v66
	v_addc_co_u32_e32 v67, vcc, v69, v67, vcc
	v_ashrrev_i32_e32 v69, 31, v68
	v_lshlrev_b64 v[68:69], 2, v[68:69]
	v_mov_b32_e32 v71, s5
	v_add_co_u32_e32 v68, vcc, s4, v68
	v_addc_co_u32_e32 v69, vcc, v71, v69, vcc
	v_ashrrev_i32_e32 v71, 31, v70
	v_lshlrev_b64 v[70:71], 2, v[70:71]
	v_mov_b32_e32 v73, s5
	;; [unrolled: 5-line block ×15, first 2 shown]
	v_add_co_u32_e32 v96, vcc, s4, v96
	v_addc_co_u32_e32 v97, vcc, v99, v97, vcc
	v_ashrrev_i32_e32 v99, 31, v98
	global_load_dword v124, v[38:39], off
	global_load_dword v125, v[40:41], off
	;; [unrolled: 1-line block ×8, first 2 shown]
	v_lshlrev_b64 v[98:99], 2, v[98:99]
	v_mov_b32_e32 v101, s5
	v_add_co_u32_e32 v98, vcc, s4, v98
	v_addc_co_u32_e32 v99, vcc, v101, v99, vcc
	v_ashrrev_i32_e32 v101, 31, v100
	v_lshlrev_b64 v[100:101], 2, v[100:101]
	v_mov_b32_e32 v103, s5
	v_add_co_u32_e32 v100, vcc, s4, v100
	v_addc_co_u32_e32 v101, vcc, v103, v101, vcc
	v_ashrrev_i32_e32 v103, 31, v102
	;; [unrolled: 5-line block ×10, first 2 shown]
	v_lshlrev_b64 v[118:119], 2, v[118:119]
	v_mov_b32_e32 v121, s5
	v_add_co_u32_e32 v118, vcc, s4, v118
	global_load_dword v132, v[54:55], off
	global_load_dword v133, v[56:57], off
	;; [unrolled: 1-line block ×24, first 2 shown]
	v_addc_co_u32_e32 v119, vcc, v121, v119, vcc
	global_load_dword v157, v[102:103], off
	global_load_dword v158, v[104:105], off
	;; [unrolled: 1-line block ×7, first 2 shown]
	v_ashrrev_i32_e32 v121, 31, v120
	s_waitcnt vmcnt(46)
	buffer_store_dword v123, off, s[0:3], 0 offset:64
	global_load_dword v123, v[118:119], off
	s_nop 0
	global_load_dword v164, v[116:117], off
	v_lshlrev_b64 v[120:121], 2, v[120:121]
	v_mov_b32_e32 v151, s5
	v_add_co_u32_e32 v120, vcc, s4, v120
	v_addc_co_u32_e32 v121, vcc, v151, v121, vcc
	s_waitcnt vmcnt(41)
	buffer_store_dword v124, off, s[0:3], 0 offset:68
	global_load_dword v124, v[120:121], off
	s_cmpk_lg_i32 s13, 0x84
	s_waitcnt vmcnt(42)
	buffer_store_dword v125, off, s[0:3], 0 offset:72
	v_mov_b32_e32 v151, 0
	s_waitcnt vmcnt(42)
	buffer_store_dword v126, off, s[0:3], 0 offset:76
	s_waitcnt vmcnt(41)
	buffer_store_dword v128, off, s[0:3], 0 offset:84
	buffer_store_dword v127, off, s[0:3], 0 offset:80
	s_waitcnt vmcnt(41)
	buffer_store_dword v130, off, s[0:3], 0 offset:92
	;; [unrolled: 3-line block ×19, first 2 shown]
	s_waitcnt vmcnt(41)
	buffer_store_dword v164, off, s[0:3], 0 offset:224
	buffer_store_dword v122, off, s[0:3], 0 offset:236
	s_waitcnt vmcnt(41)
	buffer_store_dword v124, off, s[0:3], 0 offset:232
	s_cselect_b64 s[8:9], -1, 0
	s_cmpk_eq_i32 s13, 0x84
	v_mov_b32_e32 v122, -1.0
	s_cbranch_scc1 .LBB123_3
; %bb.2:
	v_lshl_add_u32 v122, v0, 2, v151
	buffer_load_dword v123, v122, s[0:3], 0 offen
	s_waitcnt vmcnt(0)
	v_div_scale_f32 v124, s[4:5], v123, v123, 1.0
	v_rcp_f32_e32 v125, v124
	v_div_scale_f32 v126, vcc, 1.0, v123, 1.0
	v_fma_f32 v127, -v124, v125, 1.0
	v_fmac_f32_e32 v125, v127, v125
	v_mul_f32_e32 v127, v126, v125
	v_fma_f32 v128, -v124, v127, v126
	v_fmac_f32_e32 v127, v128, v125
	v_fma_f32 v124, -v124, v127, v126
	v_div_fmas_f32 v124, v124, v125, v127
	v_div_fixup_f32 v123, v124, v123, 1.0
	buffer_store_dword v123, v122, s[0:3], 0 offen
	v_xor_b32_e32 v122, 0x80000000, v123
.LBB123_3:
	ds_write_b32 v1, v122
	s_cmpk_eq_i32 s12, 0x79
	v_add_u32_e32 v122, 0xf0, v1
	v_add_u32_e32 v123, 0, v1
	s_mov_b64 s[4:5], -1
	s_cbranch_scc1 .LBB123_587
; %bb.4:
	buffer_load_dword v124, off, s[0:3], 0 offset:232
	v_cmp_eq_u32_e64 s[4:5], 59, v0
	s_waitcnt vmcnt(0)
	ds_write_b32 v122, v124
	s_waitcnt lgkmcnt(0)
	; wave barrier
	s_waitcnt lgkmcnt(0)
	s_and_saveexec_b64 s[6:7], s[4:5]
	s_cbranch_execz .LBB123_10
; %bb.5:
	s_and_b64 vcc, exec, s[8:9]
	s_cbranch_vccz .LBB123_7
; %bb.6:
	buffer_load_dword v124, v123, s[0:3], 0 offen
	ds_read_b32 v125, v122
	s_waitcnt vmcnt(0) lgkmcnt(0)
	v_mul_f32_e32 v124, v124, v125
	s_cbranch_execz .LBB123_8
	s_branch .LBB123_9
.LBB123_7:
                                        ; implicit-def: $vgpr124
.LBB123_8:
	ds_read_b32 v124, v122
.LBB123_9:
	v_mov_b32_e32 v125, 0
	ds_read_b32 v125, v125 offset:232
	s_waitcnt lgkmcnt(0)
	v_mul_f32_e32 v124, v124, v125
	buffer_store_dword v124, off, s[0:3], 0 offset:232
.LBB123_10:
	s_or_b64 exec, exec, s[6:7]
	buffer_load_dword v152, off, s[0:3], 0 offset:228
	v_or_b32_e32 v124, 8, v151
	v_add_u32_e32 v125, 16, v151
	v_add_u32_e32 v126, 24, v151
	;; [unrolled: 1-line block ×27, first 2 shown]
	v_cmp_lt_u32_e64 s[6:7], 57, v0
	s_waitcnt vmcnt(0)
	ds_write_b32 v122, v152
	s_waitcnt lgkmcnt(0)
	; wave barrier
	s_waitcnt lgkmcnt(0)
	s_and_saveexec_b64 s[10:11], s[6:7]
	s_cbranch_execz .LBB123_16
; %bb.11:
	s_andn2_b64 vcc, exec, s[8:9]
	s_cbranch_vccnz .LBB123_13
; %bb.12:
	buffer_load_dword v152, v123, s[0:3], 0 offen
	ds_read_b32 v153, v122
	s_waitcnt vmcnt(0) lgkmcnt(0)
	v_mul_f32_e32 v152, v152, v153
	s_cbranch_execz .LBB123_14
	s_branch .LBB123_15
.LBB123_13:
                                        ; implicit-def: $vgpr152
.LBB123_14:
	ds_read_b32 v152, v122
.LBB123_15:
	buffer_load_dword v153, off, s[0:3], 0 offset:232
	v_mov_b32_e32 v154, 0
	ds_read2_b32 v[154:155], v154 offset0:57 offset1:118
	s_waitcnt vmcnt(0) lgkmcnt(0)
	v_fma_f32 v153, v153, v155, v152
	v_cndmask_b32_e64 v152, v152, v153, s[4:5]
	v_mul_f32_e32 v152, v152, v154
	buffer_store_dword v152, off, s[0:3], 0 offset:228
.LBB123_16:
	s_or_b64 exec, exec, s[10:11]
	buffer_load_dword v152, off, s[0:3], 0 offset:224
	v_cmp_lt_u32_e64 s[4:5], 56, v0
	s_waitcnt vmcnt(0)
	ds_write_b32 v122, v152
	s_waitcnt lgkmcnt(0)
	; wave barrier
	s_waitcnt lgkmcnt(0)
	s_and_saveexec_b64 s[10:11], s[4:5]
	s_cbranch_execz .LBB123_26
; %bb.17:
	s_andn2_b64 vcc, exec, s[8:9]
	s_cbranch_vccnz .LBB123_19
; %bb.18:
	buffer_load_dword v152, v123, s[0:3], 0 offen
	ds_read_b32 v153, v122
	s_waitcnt vmcnt(0) lgkmcnt(0)
	v_mul_f32_e32 v152, v152, v153
	s_cbranch_execz .LBB123_20
	s_branch .LBB123_21
.LBB123_19:
                                        ; implicit-def: $vgpr152
.LBB123_20:
	ds_read_b32 v152, v122
.LBB123_21:
	s_and_saveexec_b64 s[12:13], s[6:7]
	s_cbranch_execz .LBB123_25
; %bb.22:
	v_mov_b32_e32 v153, 0
	v_add_u32_e32 v153, 0xe4, v153
	v_subrev_u32_e32 v154, 57, v0
	s_movk_i32 s14, 0x1d4
	s_mov_b64 s[6:7], 0
.LBB123_23:                             ; =>This Inner Loop Header: Depth=1
	buffer_load_dword v155, v153, s[0:3], 0 offen
	v_mov_b32_e32 v156, s14
	ds_read_b32 v156, v156
	v_add_u32_e32 v154, -1, v154
	s_add_i32 s14, s14, 4
	v_cmp_eq_u32_e32 vcc, 0, v154
	v_add_u32_e32 v153, 4, v153
	s_or_b64 s[6:7], vcc, s[6:7]
	s_waitcnt vmcnt(0) lgkmcnt(0)
	v_fmac_f32_e32 v152, v155, v156
	s_andn2_b64 exec, exec, s[6:7]
	s_cbranch_execnz .LBB123_23
; %bb.24:
	s_or_b64 exec, exec, s[6:7]
.LBB123_25:
	s_or_b64 exec, exec, s[12:13]
	v_mov_b32_e32 v153, 0
	ds_read_b32 v153, v153 offset:224
	s_waitcnt lgkmcnt(0)
	v_mul_f32_e32 v152, v152, v153
	buffer_store_dword v152, off, s[0:3], 0 offset:224
.LBB123_26:
	s_or_b64 exec, exec, s[10:11]
	buffer_load_dword v152, off, s[0:3], 0 offset:220
	v_cmp_lt_u32_e64 s[6:7], 55, v0
	s_waitcnt vmcnt(0)
	ds_write_b32 v122, v152
	s_waitcnt lgkmcnt(0)
	; wave barrier
	s_waitcnt lgkmcnt(0)
	s_and_saveexec_b64 s[10:11], s[6:7]
	s_cbranch_execz .LBB123_36
; %bb.27:
	s_andn2_b64 vcc, exec, s[8:9]
	s_cbranch_vccnz .LBB123_29
; %bb.28:
	buffer_load_dword v152, v123, s[0:3], 0 offen
	ds_read_b32 v153, v122
	s_waitcnt vmcnt(0) lgkmcnt(0)
	v_mul_f32_e32 v152, v152, v153
	s_cbranch_execz .LBB123_30
	s_branch .LBB123_31
.LBB123_29:
                                        ; implicit-def: $vgpr152
.LBB123_30:
	ds_read_b32 v152, v122
.LBB123_31:
	s_and_saveexec_b64 s[12:13], s[4:5]
	s_cbranch_execz .LBB123_35
; %bb.32:
	v_subrev_u32_e32 v153, 56, v0
	s_movk_i32 s14, 0x1d0
	s_mov_b64 s[4:5], 0
.LBB123_33:                             ; =>This Inner Loop Header: Depth=1
	buffer_load_dword v154, v151, s[0:3], 0 offen
	v_mov_b32_e32 v155, s14
	ds_read_b32 v155, v155
	v_add_u32_e32 v153, -1, v153
	s_add_i32 s14, s14, 4
	v_cmp_eq_u32_e32 vcc, 0, v153
	v_add_u32_e32 v151, 4, v151
	s_or_b64 s[4:5], vcc, s[4:5]
	s_waitcnt vmcnt(0) lgkmcnt(0)
	v_fmac_f32_e32 v152, v154, v155
	s_andn2_b64 exec, exec, s[4:5]
	s_cbranch_execnz .LBB123_33
; %bb.34:
	s_or_b64 exec, exec, s[4:5]
.LBB123_35:
	s_or_b64 exec, exec, s[12:13]
	v_mov_b32_e32 v151, 0
	ds_read_b32 v151, v151 offset:220
	s_waitcnt lgkmcnt(0)
	v_mul_f32_e32 v151, v152, v151
	buffer_store_dword v151, off, s[0:3], 0 offset:220
.LBB123_36:
	s_or_b64 exec, exec, s[10:11]
	buffer_load_dword v151, off, s[0:3], 0 offset:216
	v_cmp_lt_u32_e64 s[4:5], 54, v0
	s_waitcnt vmcnt(0)
	ds_write_b32 v122, v151
	s_waitcnt lgkmcnt(0)
	; wave barrier
	s_waitcnt lgkmcnt(0)
	s_and_saveexec_b64 s[10:11], s[4:5]
	s_cbranch_execz .LBB123_46
; %bb.37:
	s_andn2_b64 vcc, exec, s[8:9]
	s_cbranch_vccnz .LBB123_39
; %bb.38:
	buffer_load_dword v151, v123, s[0:3], 0 offen
	ds_read_b32 v152, v122
	s_waitcnt vmcnt(0) lgkmcnt(0)
	v_mul_f32_e32 v151, v151, v152
	s_cbranch_execz .LBB123_40
	s_branch .LBB123_41
.LBB123_39:
                                        ; implicit-def: $vgpr151
.LBB123_40:
	ds_read_b32 v151, v122
.LBB123_41:
	s_and_saveexec_b64 s[12:13], s[6:7]
	s_cbranch_execz .LBB123_45
; %bb.42:
	v_mov_b32_e32 v152, 0
	v_add_u32_e32 v152, 0xdc, v152
	v_subrev_u32_e32 v153, 55, v0
	s_movk_i32 s14, 0x1cc
	s_mov_b64 s[6:7], 0
.LBB123_43:                             ; =>This Inner Loop Header: Depth=1
	buffer_load_dword v154, v152, s[0:3], 0 offen
	v_mov_b32_e32 v155, s14
	ds_read_b32 v155, v155
	v_add_u32_e32 v153, -1, v153
	s_add_i32 s14, s14, 4
	v_cmp_eq_u32_e32 vcc, 0, v153
	v_add_u32_e32 v152, 4, v152
	s_or_b64 s[6:7], vcc, s[6:7]
	s_waitcnt vmcnt(0) lgkmcnt(0)
	v_fmac_f32_e32 v151, v154, v155
	s_andn2_b64 exec, exec, s[6:7]
	s_cbranch_execnz .LBB123_43
; %bb.44:
	s_or_b64 exec, exec, s[6:7]
.LBB123_45:
	s_or_b64 exec, exec, s[12:13]
	v_mov_b32_e32 v152, 0
	ds_read_b32 v152, v152 offset:216
	s_waitcnt lgkmcnt(0)
	v_mul_f32_e32 v151, v151, v152
	buffer_store_dword v151, off, s[0:3], 0 offset:216
.LBB123_46:
	s_or_b64 exec, exec, s[10:11]
	buffer_load_dword v151, off, s[0:3], 0 offset:212
	v_cmp_lt_u32_e64 s[6:7], 53, v0
	s_waitcnt vmcnt(0)
	ds_write_b32 v122, v151
	s_waitcnt lgkmcnt(0)
	; wave barrier
	s_waitcnt lgkmcnt(0)
	s_and_saveexec_b64 s[10:11], s[6:7]
	s_cbranch_execz .LBB123_56
; %bb.47:
	s_andn2_b64 vcc, exec, s[8:9]
	s_cbranch_vccnz .LBB123_49
; %bb.48:
	buffer_load_dword v151, v123, s[0:3], 0 offen
	ds_read_b32 v152, v122
	s_waitcnt vmcnt(0) lgkmcnt(0)
	v_mul_f32_e32 v151, v151, v152
	s_cbranch_execz .LBB123_50
	s_branch .LBB123_51
.LBB123_49:
                                        ; implicit-def: $vgpr151
.LBB123_50:
	ds_read_b32 v151, v122
.LBB123_51:
	s_and_saveexec_b64 s[12:13], s[4:5]
	s_cbranch_execz .LBB123_55
; %bb.52:
	v_subrev_u32_e32 v152, 54, v0
	s_movk_i32 s14, 0x1c8
	s_mov_b64 s[4:5], 0
.LBB123_53:                             ; =>This Inner Loop Header: Depth=1
	buffer_load_dword v153, v150, s[0:3], 0 offen
	v_mov_b32_e32 v154, s14
	ds_read_b32 v154, v154
	v_add_u32_e32 v152, -1, v152
	s_add_i32 s14, s14, 4
	v_cmp_eq_u32_e32 vcc, 0, v152
	v_add_u32_e32 v150, 4, v150
	s_or_b64 s[4:5], vcc, s[4:5]
	s_waitcnt vmcnt(0) lgkmcnt(0)
	v_fmac_f32_e32 v151, v153, v154
	s_andn2_b64 exec, exec, s[4:5]
	s_cbranch_execnz .LBB123_53
; %bb.54:
	s_or_b64 exec, exec, s[4:5]
.LBB123_55:
	s_or_b64 exec, exec, s[12:13]
	v_mov_b32_e32 v150, 0
	ds_read_b32 v150, v150 offset:212
	s_waitcnt lgkmcnt(0)
	v_mul_f32_e32 v150, v151, v150
	buffer_store_dword v150, off, s[0:3], 0 offset:212
.LBB123_56:
	s_or_b64 exec, exec, s[10:11]
	buffer_load_dword v150, off, s[0:3], 0 offset:208
	v_cmp_lt_u32_e64 s[4:5], 52, v0
	s_waitcnt vmcnt(0)
	ds_write_b32 v122, v150
	s_waitcnt lgkmcnt(0)
	; wave barrier
	s_waitcnt lgkmcnt(0)
	s_and_saveexec_b64 s[10:11], s[4:5]
	s_cbranch_execz .LBB123_66
; %bb.57:
	s_andn2_b64 vcc, exec, s[8:9]
	s_cbranch_vccnz .LBB123_59
; %bb.58:
	buffer_load_dword v150, v123, s[0:3], 0 offen
	ds_read_b32 v151, v122
	s_waitcnt vmcnt(0) lgkmcnt(0)
	v_mul_f32_e32 v150, v150, v151
	s_cbranch_execz .LBB123_60
	s_branch .LBB123_61
.LBB123_59:
                                        ; implicit-def: $vgpr150
.LBB123_60:
	ds_read_b32 v150, v122
.LBB123_61:
	s_and_saveexec_b64 s[12:13], s[6:7]
	s_cbranch_execz .LBB123_65
; %bb.62:
	v_mov_b32_e32 v151, 0
	v_add_u32_e32 v151, 0xd4, v151
	v_subrev_u32_e32 v152, 53, v0
	s_movk_i32 s14, 0x1c4
	s_mov_b64 s[6:7], 0
.LBB123_63:                             ; =>This Inner Loop Header: Depth=1
	buffer_load_dword v153, v151, s[0:3], 0 offen
	v_mov_b32_e32 v154, s14
	ds_read_b32 v154, v154
	v_add_u32_e32 v152, -1, v152
	s_add_i32 s14, s14, 4
	v_cmp_eq_u32_e32 vcc, 0, v152
	v_add_u32_e32 v151, 4, v151
	s_or_b64 s[6:7], vcc, s[6:7]
	s_waitcnt vmcnt(0) lgkmcnt(0)
	v_fmac_f32_e32 v150, v153, v154
	s_andn2_b64 exec, exec, s[6:7]
	s_cbranch_execnz .LBB123_63
; %bb.64:
	s_or_b64 exec, exec, s[6:7]
.LBB123_65:
	s_or_b64 exec, exec, s[12:13]
	v_mov_b32_e32 v151, 0
	ds_read_b32 v151, v151 offset:208
	s_waitcnt lgkmcnt(0)
	v_mul_f32_e32 v150, v150, v151
	buffer_store_dword v150, off, s[0:3], 0 offset:208
.LBB123_66:
	s_or_b64 exec, exec, s[10:11]
	buffer_load_dword v150, off, s[0:3], 0 offset:204
	v_cmp_lt_u32_e64 s[6:7], 51, v0
	s_waitcnt vmcnt(0)
	ds_write_b32 v122, v150
	s_waitcnt lgkmcnt(0)
	; wave barrier
	s_waitcnt lgkmcnt(0)
	s_and_saveexec_b64 s[10:11], s[6:7]
	s_cbranch_execz .LBB123_76
; %bb.67:
	s_andn2_b64 vcc, exec, s[8:9]
	s_cbranch_vccnz .LBB123_69
; %bb.68:
	buffer_load_dword v150, v123, s[0:3], 0 offen
	ds_read_b32 v151, v122
	s_waitcnt vmcnt(0) lgkmcnt(0)
	v_mul_f32_e32 v150, v150, v151
	s_cbranch_execz .LBB123_70
	s_branch .LBB123_71
.LBB123_69:
                                        ; implicit-def: $vgpr150
.LBB123_70:
	ds_read_b32 v150, v122
.LBB123_71:
	s_and_saveexec_b64 s[12:13], s[4:5]
	s_cbranch_execz .LBB123_75
; %bb.72:
	v_subrev_u32_e32 v151, 52, v0
	s_movk_i32 s14, 0x1c0
	s_mov_b64 s[4:5], 0
.LBB123_73:                             ; =>This Inner Loop Header: Depth=1
	buffer_load_dword v152, v149, s[0:3], 0 offen
	v_mov_b32_e32 v153, s14
	ds_read_b32 v153, v153
	v_add_u32_e32 v151, -1, v151
	s_add_i32 s14, s14, 4
	v_cmp_eq_u32_e32 vcc, 0, v151
	v_add_u32_e32 v149, 4, v149
	s_or_b64 s[4:5], vcc, s[4:5]
	s_waitcnt vmcnt(0) lgkmcnt(0)
	v_fmac_f32_e32 v150, v152, v153
	s_andn2_b64 exec, exec, s[4:5]
	s_cbranch_execnz .LBB123_73
; %bb.74:
	s_or_b64 exec, exec, s[4:5]
.LBB123_75:
	s_or_b64 exec, exec, s[12:13]
	v_mov_b32_e32 v149, 0
	ds_read_b32 v149, v149 offset:204
	s_waitcnt lgkmcnt(0)
	v_mul_f32_e32 v149, v150, v149
	buffer_store_dword v149, off, s[0:3], 0 offset:204
.LBB123_76:
	s_or_b64 exec, exec, s[10:11]
	buffer_load_dword v149, off, s[0:3], 0 offset:200
	v_cmp_lt_u32_e64 s[4:5], 50, v0
	s_waitcnt vmcnt(0)
	ds_write_b32 v122, v149
	s_waitcnt lgkmcnt(0)
	; wave barrier
	s_waitcnt lgkmcnt(0)
	s_and_saveexec_b64 s[10:11], s[4:5]
	s_cbranch_execz .LBB123_86
; %bb.77:
	s_andn2_b64 vcc, exec, s[8:9]
	s_cbranch_vccnz .LBB123_79
; %bb.78:
	buffer_load_dword v149, v123, s[0:3], 0 offen
	ds_read_b32 v150, v122
	s_waitcnt vmcnt(0) lgkmcnt(0)
	v_mul_f32_e32 v149, v149, v150
	s_cbranch_execz .LBB123_80
	s_branch .LBB123_81
.LBB123_79:
                                        ; implicit-def: $vgpr149
.LBB123_80:
	ds_read_b32 v149, v122
.LBB123_81:
	s_and_saveexec_b64 s[12:13], s[6:7]
	s_cbranch_execz .LBB123_85
; %bb.82:
	v_mov_b32_e32 v150, 0
	v_add_u32_e32 v150, 0xcc, v150
	v_subrev_u32_e32 v151, 51, v0
	s_movk_i32 s14, 0x1bc
	s_mov_b64 s[6:7], 0
.LBB123_83:                             ; =>This Inner Loop Header: Depth=1
	buffer_load_dword v152, v150, s[0:3], 0 offen
	v_mov_b32_e32 v153, s14
	ds_read_b32 v153, v153
	v_add_u32_e32 v151, -1, v151
	s_add_i32 s14, s14, 4
	v_cmp_eq_u32_e32 vcc, 0, v151
	v_add_u32_e32 v150, 4, v150
	s_or_b64 s[6:7], vcc, s[6:7]
	s_waitcnt vmcnt(0) lgkmcnt(0)
	v_fmac_f32_e32 v149, v152, v153
	s_andn2_b64 exec, exec, s[6:7]
	s_cbranch_execnz .LBB123_83
; %bb.84:
	s_or_b64 exec, exec, s[6:7]
.LBB123_85:
	s_or_b64 exec, exec, s[12:13]
	v_mov_b32_e32 v150, 0
	ds_read_b32 v150, v150 offset:200
	s_waitcnt lgkmcnt(0)
	v_mul_f32_e32 v149, v149, v150
	buffer_store_dword v149, off, s[0:3], 0 offset:200
.LBB123_86:
	s_or_b64 exec, exec, s[10:11]
	buffer_load_dword v149, off, s[0:3], 0 offset:196
	v_cmp_lt_u32_e64 s[6:7], 49, v0
	s_waitcnt vmcnt(0)
	ds_write_b32 v122, v149
	s_waitcnt lgkmcnt(0)
	; wave barrier
	s_waitcnt lgkmcnt(0)
	s_and_saveexec_b64 s[10:11], s[6:7]
	s_cbranch_execz .LBB123_96
; %bb.87:
	s_andn2_b64 vcc, exec, s[8:9]
	s_cbranch_vccnz .LBB123_89
; %bb.88:
	buffer_load_dword v149, v123, s[0:3], 0 offen
	ds_read_b32 v150, v122
	s_waitcnt vmcnt(0) lgkmcnt(0)
	v_mul_f32_e32 v149, v149, v150
	s_cbranch_execz .LBB123_90
	s_branch .LBB123_91
.LBB123_89:
                                        ; implicit-def: $vgpr149
.LBB123_90:
	ds_read_b32 v149, v122
.LBB123_91:
	s_and_saveexec_b64 s[12:13], s[4:5]
	s_cbranch_execz .LBB123_95
; %bb.92:
	v_subrev_u32_e32 v150, 50, v0
	s_movk_i32 s14, 0x1b8
	s_mov_b64 s[4:5], 0
.LBB123_93:                             ; =>This Inner Loop Header: Depth=1
	buffer_load_dword v151, v148, s[0:3], 0 offen
	v_mov_b32_e32 v152, s14
	ds_read_b32 v152, v152
	v_add_u32_e32 v150, -1, v150
	s_add_i32 s14, s14, 4
	v_cmp_eq_u32_e32 vcc, 0, v150
	v_add_u32_e32 v148, 4, v148
	s_or_b64 s[4:5], vcc, s[4:5]
	s_waitcnt vmcnt(0) lgkmcnt(0)
	v_fmac_f32_e32 v149, v151, v152
	s_andn2_b64 exec, exec, s[4:5]
	s_cbranch_execnz .LBB123_93
; %bb.94:
	s_or_b64 exec, exec, s[4:5]
.LBB123_95:
	s_or_b64 exec, exec, s[12:13]
	v_mov_b32_e32 v148, 0
	ds_read_b32 v148, v148 offset:196
	s_waitcnt lgkmcnt(0)
	v_mul_f32_e32 v148, v149, v148
	buffer_store_dword v148, off, s[0:3], 0 offset:196
.LBB123_96:
	s_or_b64 exec, exec, s[10:11]
	buffer_load_dword v148, off, s[0:3], 0 offset:192
	v_cmp_lt_u32_e64 s[4:5], 48, v0
	s_waitcnt vmcnt(0)
	ds_write_b32 v122, v148
	s_waitcnt lgkmcnt(0)
	; wave barrier
	s_waitcnt lgkmcnt(0)
	s_and_saveexec_b64 s[10:11], s[4:5]
	s_cbranch_execz .LBB123_106
; %bb.97:
	s_andn2_b64 vcc, exec, s[8:9]
	s_cbranch_vccnz .LBB123_99
; %bb.98:
	buffer_load_dword v148, v123, s[0:3], 0 offen
	ds_read_b32 v149, v122
	s_waitcnt vmcnt(0) lgkmcnt(0)
	v_mul_f32_e32 v148, v148, v149
	s_cbranch_execz .LBB123_100
	s_branch .LBB123_101
.LBB123_99:
                                        ; implicit-def: $vgpr148
.LBB123_100:
	ds_read_b32 v148, v122
.LBB123_101:
	s_and_saveexec_b64 s[12:13], s[6:7]
	s_cbranch_execz .LBB123_105
; %bb.102:
	v_mov_b32_e32 v149, 0
	v_add_u32_e32 v149, 0xc4, v149
	v_subrev_u32_e32 v150, 49, v0
	s_movk_i32 s14, 0x1b4
	s_mov_b64 s[6:7], 0
.LBB123_103:                            ; =>This Inner Loop Header: Depth=1
	buffer_load_dword v151, v149, s[0:3], 0 offen
	v_mov_b32_e32 v152, s14
	ds_read_b32 v152, v152
	v_add_u32_e32 v150, -1, v150
	s_add_i32 s14, s14, 4
	v_cmp_eq_u32_e32 vcc, 0, v150
	v_add_u32_e32 v149, 4, v149
	s_or_b64 s[6:7], vcc, s[6:7]
	s_waitcnt vmcnt(0) lgkmcnt(0)
	v_fmac_f32_e32 v148, v151, v152
	s_andn2_b64 exec, exec, s[6:7]
	s_cbranch_execnz .LBB123_103
; %bb.104:
	s_or_b64 exec, exec, s[6:7]
.LBB123_105:
	s_or_b64 exec, exec, s[12:13]
	v_mov_b32_e32 v149, 0
	ds_read_b32 v149, v149 offset:192
	s_waitcnt lgkmcnt(0)
	v_mul_f32_e32 v148, v148, v149
	buffer_store_dword v148, off, s[0:3], 0 offset:192
.LBB123_106:
	s_or_b64 exec, exec, s[10:11]
	buffer_load_dword v148, off, s[0:3], 0 offset:188
	v_cmp_lt_u32_e64 s[6:7], 47, v0
	s_waitcnt vmcnt(0)
	ds_write_b32 v122, v148
	s_waitcnt lgkmcnt(0)
	; wave barrier
	s_waitcnt lgkmcnt(0)
	s_and_saveexec_b64 s[10:11], s[6:7]
	s_cbranch_execz .LBB123_116
; %bb.107:
	s_andn2_b64 vcc, exec, s[8:9]
	s_cbranch_vccnz .LBB123_109
; %bb.108:
	buffer_load_dword v148, v123, s[0:3], 0 offen
	ds_read_b32 v149, v122
	s_waitcnt vmcnt(0) lgkmcnt(0)
	v_mul_f32_e32 v148, v148, v149
	s_cbranch_execz .LBB123_110
	s_branch .LBB123_111
.LBB123_109:
                                        ; implicit-def: $vgpr148
.LBB123_110:
	ds_read_b32 v148, v122
.LBB123_111:
	s_and_saveexec_b64 s[12:13], s[4:5]
	s_cbranch_execz .LBB123_115
; %bb.112:
	v_subrev_u32_e32 v149, 48, v0
	s_movk_i32 s14, 0x1b0
	s_mov_b64 s[4:5], 0
.LBB123_113:                            ; =>This Inner Loop Header: Depth=1
	buffer_load_dword v150, v147, s[0:3], 0 offen
	v_mov_b32_e32 v151, s14
	ds_read_b32 v151, v151
	v_add_u32_e32 v149, -1, v149
	s_add_i32 s14, s14, 4
	v_cmp_eq_u32_e32 vcc, 0, v149
	v_add_u32_e32 v147, 4, v147
	s_or_b64 s[4:5], vcc, s[4:5]
	s_waitcnt vmcnt(0) lgkmcnt(0)
	v_fmac_f32_e32 v148, v150, v151
	s_andn2_b64 exec, exec, s[4:5]
	s_cbranch_execnz .LBB123_113
; %bb.114:
	s_or_b64 exec, exec, s[4:5]
.LBB123_115:
	s_or_b64 exec, exec, s[12:13]
	v_mov_b32_e32 v147, 0
	ds_read_b32 v147, v147 offset:188
	s_waitcnt lgkmcnt(0)
	v_mul_f32_e32 v147, v148, v147
	buffer_store_dword v147, off, s[0:3], 0 offset:188
.LBB123_116:
	s_or_b64 exec, exec, s[10:11]
	buffer_load_dword v147, off, s[0:3], 0 offset:184
	v_cmp_lt_u32_e64 s[4:5], 46, v0
	s_waitcnt vmcnt(0)
	ds_write_b32 v122, v147
	s_waitcnt lgkmcnt(0)
	; wave barrier
	s_waitcnt lgkmcnt(0)
	s_and_saveexec_b64 s[10:11], s[4:5]
	s_cbranch_execz .LBB123_126
; %bb.117:
	s_andn2_b64 vcc, exec, s[8:9]
	s_cbranch_vccnz .LBB123_119
; %bb.118:
	buffer_load_dword v147, v123, s[0:3], 0 offen
	ds_read_b32 v148, v122
	s_waitcnt vmcnt(0) lgkmcnt(0)
	v_mul_f32_e32 v147, v147, v148
	s_cbranch_execz .LBB123_120
	s_branch .LBB123_121
.LBB123_119:
                                        ; implicit-def: $vgpr147
.LBB123_120:
	ds_read_b32 v147, v122
.LBB123_121:
	s_and_saveexec_b64 s[12:13], s[6:7]
	s_cbranch_execz .LBB123_125
; %bb.122:
	v_mov_b32_e32 v148, 0
	v_add_u32_e32 v148, 0xbc, v148
	v_subrev_u32_e32 v149, 47, v0
	s_movk_i32 s14, 0x1ac
	s_mov_b64 s[6:7], 0
.LBB123_123:                            ; =>This Inner Loop Header: Depth=1
	buffer_load_dword v150, v148, s[0:3], 0 offen
	v_mov_b32_e32 v151, s14
	ds_read_b32 v151, v151
	v_add_u32_e32 v149, -1, v149
	s_add_i32 s14, s14, 4
	v_cmp_eq_u32_e32 vcc, 0, v149
	v_add_u32_e32 v148, 4, v148
	s_or_b64 s[6:7], vcc, s[6:7]
	s_waitcnt vmcnt(0) lgkmcnt(0)
	v_fmac_f32_e32 v147, v150, v151
	s_andn2_b64 exec, exec, s[6:7]
	s_cbranch_execnz .LBB123_123
; %bb.124:
	s_or_b64 exec, exec, s[6:7]
.LBB123_125:
	s_or_b64 exec, exec, s[12:13]
	v_mov_b32_e32 v148, 0
	ds_read_b32 v148, v148 offset:184
	s_waitcnt lgkmcnt(0)
	v_mul_f32_e32 v147, v147, v148
	buffer_store_dword v147, off, s[0:3], 0 offset:184
.LBB123_126:
	s_or_b64 exec, exec, s[10:11]
	buffer_load_dword v147, off, s[0:3], 0 offset:180
	v_cmp_lt_u32_e64 s[6:7], 45, v0
	s_waitcnt vmcnt(0)
	ds_write_b32 v122, v147
	s_waitcnt lgkmcnt(0)
	; wave barrier
	s_waitcnt lgkmcnt(0)
	s_and_saveexec_b64 s[10:11], s[6:7]
	s_cbranch_execz .LBB123_136
; %bb.127:
	s_andn2_b64 vcc, exec, s[8:9]
	s_cbranch_vccnz .LBB123_129
; %bb.128:
	buffer_load_dword v147, v123, s[0:3], 0 offen
	ds_read_b32 v148, v122
	s_waitcnt vmcnt(0) lgkmcnt(0)
	v_mul_f32_e32 v147, v147, v148
	s_cbranch_execz .LBB123_130
	s_branch .LBB123_131
.LBB123_129:
                                        ; implicit-def: $vgpr147
.LBB123_130:
	ds_read_b32 v147, v122
.LBB123_131:
	s_and_saveexec_b64 s[12:13], s[4:5]
	s_cbranch_execz .LBB123_135
; %bb.132:
	v_subrev_u32_e32 v148, 46, v0
	s_movk_i32 s14, 0x1a8
	s_mov_b64 s[4:5], 0
.LBB123_133:                            ; =>This Inner Loop Header: Depth=1
	buffer_load_dword v149, v146, s[0:3], 0 offen
	v_mov_b32_e32 v150, s14
	ds_read_b32 v150, v150
	v_add_u32_e32 v148, -1, v148
	s_add_i32 s14, s14, 4
	v_cmp_eq_u32_e32 vcc, 0, v148
	v_add_u32_e32 v146, 4, v146
	s_or_b64 s[4:5], vcc, s[4:5]
	s_waitcnt vmcnt(0) lgkmcnt(0)
	v_fmac_f32_e32 v147, v149, v150
	s_andn2_b64 exec, exec, s[4:5]
	s_cbranch_execnz .LBB123_133
; %bb.134:
	s_or_b64 exec, exec, s[4:5]
.LBB123_135:
	s_or_b64 exec, exec, s[12:13]
	v_mov_b32_e32 v146, 0
	ds_read_b32 v146, v146 offset:180
	s_waitcnt lgkmcnt(0)
	v_mul_f32_e32 v146, v147, v146
	buffer_store_dword v146, off, s[0:3], 0 offset:180
.LBB123_136:
	s_or_b64 exec, exec, s[10:11]
	buffer_load_dword v146, off, s[0:3], 0 offset:176
	v_cmp_lt_u32_e64 s[4:5], 44, v0
	s_waitcnt vmcnt(0)
	ds_write_b32 v122, v146
	s_waitcnt lgkmcnt(0)
	; wave barrier
	s_waitcnt lgkmcnt(0)
	s_and_saveexec_b64 s[10:11], s[4:5]
	s_cbranch_execz .LBB123_146
; %bb.137:
	s_andn2_b64 vcc, exec, s[8:9]
	s_cbranch_vccnz .LBB123_139
; %bb.138:
	buffer_load_dword v146, v123, s[0:3], 0 offen
	ds_read_b32 v147, v122
	s_waitcnt vmcnt(0) lgkmcnt(0)
	v_mul_f32_e32 v146, v146, v147
	s_cbranch_execz .LBB123_140
	s_branch .LBB123_141
.LBB123_139:
                                        ; implicit-def: $vgpr146
.LBB123_140:
	ds_read_b32 v146, v122
.LBB123_141:
	s_and_saveexec_b64 s[12:13], s[6:7]
	s_cbranch_execz .LBB123_145
; %bb.142:
	v_mov_b32_e32 v147, 0
	v_add_u32_e32 v147, 0xb4, v147
	v_subrev_u32_e32 v148, 45, v0
	s_movk_i32 s14, 0x1a4
	s_mov_b64 s[6:7], 0
.LBB123_143:                            ; =>This Inner Loop Header: Depth=1
	buffer_load_dword v149, v147, s[0:3], 0 offen
	v_mov_b32_e32 v150, s14
	ds_read_b32 v150, v150
	v_add_u32_e32 v148, -1, v148
	s_add_i32 s14, s14, 4
	v_cmp_eq_u32_e32 vcc, 0, v148
	v_add_u32_e32 v147, 4, v147
	s_or_b64 s[6:7], vcc, s[6:7]
	s_waitcnt vmcnt(0) lgkmcnt(0)
	v_fmac_f32_e32 v146, v149, v150
	s_andn2_b64 exec, exec, s[6:7]
	s_cbranch_execnz .LBB123_143
; %bb.144:
	s_or_b64 exec, exec, s[6:7]
.LBB123_145:
	s_or_b64 exec, exec, s[12:13]
	v_mov_b32_e32 v147, 0
	ds_read_b32 v147, v147 offset:176
	s_waitcnt lgkmcnt(0)
	v_mul_f32_e32 v146, v146, v147
	buffer_store_dword v146, off, s[0:3], 0 offset:176
.LBB123_146:
	s_or_b64 exec, exec, s[10:11]
	buffer_load_dword v146, off, s[0:3], 0 offset:172
	v_cmp_lt_u32_e64 s[6:7], 43, v0
	s_waitcnt vmcnt(0)
	ds_write_b32 v122, v146
	s_waitcnt lgkmcnt(0)
	; wave barrier
	s_waitcnt lgkmcnt(0)
	s_and_saveexec_b64 s[10:11], s[6:7]
	s_cbranch_execz .LBB123_156
; %bb.147:
	s_andn2_b64 vcc, exec, s[8:9]
	s_cbranch_vccnz .LBB123_149
; %bb.148:
	buffer_load_dword v146, v123, s[0:3], 0 offen
	ds_read_b32 v147, v122
	s_waitcnt vmcnt(0) lgkmcnt(0)
	v_mul_f32_e32 v146, v146, v147
	s_cbranch_execz .LBB123_150
	s_branch .LBB123_151
.LBB123_149:
                                        ; implicit-def: $vgpr146
.LBB123_150:
	ds_read_b32 v146, v122
.LBB123_151:
	s_and_saveexec_b64 s[12:13], s[4:5]
	s_cbranch_execz .LBB123_155
; %bb.152:
	v_subrev_u32_e32 v147, 44, v0
	s_movk_i32 s14, 0x1a0
	s_mov_b64 s[4:5], 0
.LBB123_153:                            ; =>This Inner Loop Header: Depth=1
	buffer_load_dword v148, v145, s[0:3], 0 offen
	v_mov_b32_e32 v149, s14
	ds_read_b32 v149, v149
	v_add_u32_e32 v147, -1, v147
	s_add_i32 s14, s14, 4
	v_cmp_eq_u32_e32 vcc, 0, v147
	v_add_u32_e32 v145, 4, v145
	s_or_b64 s[4:5], vcc, s[4:5]
	s_waitcnt vmcnt(0) lgkmcnt(0)
	v_fmac_f32_e32 v146, v148, v149
	s_andn2_b64 exec, exec, s[4:5]
	s_cbranch_execnz .LBB123_153
; %bb.154:
	s_or_b64 exec, exec, s[4:5]
.LBB123_155:
	s_or_b64 exec, exec, s[12:13]
	v_mov_b32_e32 v145, 0
	ds_read_b32 v145, v145 offset:172
	s_waitcnt lgkmcnt(0)
	v_mul_f32_e32 v145, v146, v145
	buffer_store_dword v145, off, s[0:3], 0 offset:172
.LBB123_156:
	s_or_b64 exec, exec, s[10:11]
	buffer_load_dword v145, off, s[0:3], 0 offset:168
	v_cmp_lt_u32_e64 s[4:5], 42, v0
	s_waitcnt vmcnt(0)
	ds_write_b32 v122, v145
	s_waitcnt lgkmcnt(0)
	; wave barrier
	s_waitcnt lgkmcnt(0)
	s_and_saveexec_b64 s[10:11], s[4:5]
	s_cbranch_execz .LBB123_166
; %bb.157:
	s_andn2_b64 vcc, exec, s[8:9]
	s_cbranch_vccnz .LBB123_159
; %bb.158:
	buffer_load_dword v145, v123, s[0:3], 0 offen
	ds_read_b32 v146, v122
	s_waitcnt vmcnt(0) lgkmcnt(0)
	v_mul_f32_e32 v145, v145, v146
	s_cbranch_execz .LBB123_160
	s_branch .LBB123_161
.LBB123_159:
                                        ; implicit-def: $vgpr145
.LBB123_160:
	ds_read_b32 v145, v122
.LBB123_161:
	s_and_saveexec_b64 s[12:13], s[6:7]
	s_cbranch_execz .LBB123_165
; %bb.162:
	v_mov_b32_e32 v146, 0
	v_add_u32_e32 v146, 0xac, v146
	v_subrev_u32_e32 v147, 43, v0
	s_movk_i32 s14, 0x19c
	s_mov_b64 s[6:7], 0
.LBB123_163:                            ; =>This Inner Loop Header: Depth=1
	buffer_load_dword v148, v146, s[0:3], 0 offen
	v_mov_b32_e32 v149, s14
	ds_read_b32 v149, v149
	v_add_u32_e32 v147, -1, v147
	s_add_i32 s14, s14, 4
	v_cmp_eq_u32_e32 vcc, 0, v147
	v_add_u32_e32 v146, 4, v146
	s_or_b64 s[6:7], vcc, s[6:7]
	s_waitcnt vmcnt(0) lgkmcnt(0)
	v_fmac_f32_e32 v145, v148, v149
	s_andn2_b64 exec, exec, s[6:7]
	s_cbranch_execnz .LBB123_163
; %bb.164:
	s_or_b64 exec, exec, s[6:7]
.LBB123_165:
	s_or_b64 exec, exec, s[12:13]
	v_mov_b32_e32 v146, 0
	ds_read_b32 v146, v146 offset:168
	s_waitcnt lgkmcnt(0)
	v_mul_f32_e32 v145, v145, v146
	buffer_store_dword v145, off, s[0:3], 0 offset:168
.LBB123_166:
	s_or_b64 exec, exec, s[10:11]
	buffer_load_dword v145, off, s[0:3], 0 offset:164
	v_cmp_lt_u32_e64 s[6:7], 41, v0
	s_waitcnt vmcnt(0)
	ds_write_b32 v122, v145
	s_waitcnt lgkmcnt(0)
	; wave barrier
	s_waitcnt lgkmcnt(0)
	s_and_saveexec_b64 s[10:11], s[6:7]
	s_cbranch_execz .LBB123_176
; %bb.167:
	s_andn2_b64 vcc, exec, s[8:9]
	s_cbranch_vccnz .LBB123_169
; %bb.168:
	buffer_load_dword v145, v123, s[0:3], 0 offen
	ds_read_b32 v146, v122
	s_waitcnt vmcnt(0) lgkmcnt(0)
	v_mul_f32_e32 v145, v145, v146
	s_cbranch_execz .LBB123_170
	s_branch .LBB123_171
.LBB123_169:
                                        ; implicit-def: $vgpr145
.LBB123_170:
	ds_read_b32 v145, v122
.LBB123_171:
	s_and_saveexec_b64 s[12:13], s[4:5]
	s_cbranch_execz .LBB123_175
; %bb.172:
	v_subrev_u32_e32 v146, 42, v0
	s_movk_i32 s14, 0x198
	s_mov_b64 s[4:5], 0
.LBB123_173:                            ; =>This Inner Loop Header: Depth=1
	buffer_load_dword v147, v144, s[0:3], 0 offen
	v_mov_b32_e32 v148, s14
	ds_read_b32 v148, v148
	v_add_u32_e32 v146, -1, v146
	s_add_i32 s14, s14, 4
	v_cmp_eq_u32_e32 vcc, 0, v146
	v_add_u32_e32 v144, 4, v144
	s_or_b64 s[4:5], vcc, s[4:5]
	s_waitcnt vmcnt(0) lgkmcnt(0)
	v_fmac_f32_e32 v145, v147, v148
	s_andn2_b64 exec, exec, s[4:5]
	s_cbranch_execnz .LBB123_173
; %bb.174:
	s_or_b64 exec, exec, s[4:5]
.LBB123_175:
	s_or_b64 exec, exec, s[12:13]
	v_mov_b32_e32 v144, 0
	ds_read_b32 v144, v144 offset:164
	s_waitcnt lgkmcnt(0)
	v_mul_f32_e32 v144, v145, v144
	buffer_store_dword v144, off, s[0:3], 0 offset:164
.LBB123_176:
	s_or_b64 exec, exec, s[10:11]
	buffer_load_dword v144, off, s[0:3], 0 offset:160
	v_cmp_lt_u32_e64 s[4:5], 40, v0
	s_waitcnt vmcnt(0)
	ds_write_b32 v122, v144
	s_waitcnt lgkmcnt(0)
	; wave barrier
	s_waitcnt lgkmcnt(0)
	s_and_saveexec_b64 s[10:11], s[4:5]
	s_cbranch_execz .LBB123_186
; %bb.177:
	s_andn2_b64 vcc, exec, s[8:9]
	s_cbranch_vccnz .LBB123_179
; %bb.178:
	buffer_load_dword v144, v123, s[0:3], 0 offen
	ds_read_b32 v145, v122
	s_waitcnt vmcnt(0) lgkmcnt(0)
	v_mul_f32_e32 v144, v144, v145
	s_cbranch_execz .LBB123_180
	s_branch .LBB123_181
.LBB123_179:
                                        ; implicit-def: $vgpr144
.LBB123_180:
	ds_read_b32 v144, v122
.LBB123_181:
	s_and_saveexec_b64 s[12:13], s[6:7]
	s_cbranch_execz .LBB123_185
; %bb.182:
	v_mov_b32_e32 v145, 0
	v_add_u32_e32 v145, 0xa4, v145
	v_subrev_u32_e32 v146, 41, v0
	s_movk_i32 s14, 0x194
	s_mov_b64 s[6:7], 0
.LBB123_183:                            ; =>This Inner Loop Header: Depth=1
	buffer_load_dword v147, v145, s[0:3], 0 offen
	v_mov_b32_e32 v148, s14
	ds_read_b32 v148, v148
	v_add_u32_e32 v146, -1, v146
	s_add_i32 s14, s14, 4
	v_cmp_eq_u32_e32 vcc, 0, v146
	v_add_u32_e32 v145, 4, v145
	s_or_b64 s[6:7], vcc, s[6:7]
	s_waitcnt vmcnt(0) lgkmcnt(0)
	v_fmac_f32_e32 v144, v147, v148
	s_andn2_b64 exec, exec, s[6:7]
	s_cbranch_execnz .LBB123_183
; %bb.184:
	s_or_b64 exec, exec, s[6:7]
.LBB123_185:
	s_or_b64 exec, exec, s[12:13]
	v_mov_b32_e32 v145, 0
	ds_read_b32 v145, v145 offset:160
	s_waitcnt lgkmcnt(0)
	v_mul_f32_e32 v144, v144, v145
	buffer_store_dword v144, off, s[0:3], 0 offset:160
.LBB123_186:
	s_or_b64 exec, exec, s[10:11]
	buffer_load_dword v144, off, s[0:3], 0 offset:156
	v_cmp_lt_u32_e64 s[6:7], 39, v0
	s_waitcnt vmcnt(0)
	ds_write_b32 v122, v144
	s_waitcnt lgkmcnt(0)
	; wave barrier
	s_waitcnt lgkmcnt(0)
	s_and_saveexec_b64 s[10:11], s[6:7]
	s_cbranch_execz .LBB123_196
; %bb.187:
	s_andn2_b64 vcc, exec, s[8:9]
	s_cbranch_vccnz .LBB123_189
; %bb.188:
	buffer_load_dword v144, v123, s[0:3], 0 offen
	ds_read_b32 v145, v122
	s_waitcnt vmcnt(0) lgkmcnt(0)
	v_mul_f32_e32 v144, v144, v145
	s_cbranch_execz .LBB123_190
	s_branch .LBB123_191
.LBB123_189:
                                        ; implicit-def: $vgpr144
.LBB123_190:
	ds_read_b32 v144, v122
.LBB123_191:
	s_and_saveexec_b64 s[12:13], s[4:5]
	s_cbranch_execz .LBB123_195
; %bb.192:
	v_subrev_u32_e32 v145, 40, v0
	s_movk_i32 s14, 0x190
	s_mov_b64 s[4:5], 0
.LBB123_193:                            ; =>This Inner Loop Header: Depth=1
	buffer_load_dword v146, v143, s[0:3], 0 offen
	v_mov_b32_e32 v147, s14
	ds_read_b32 v147, v147
	v_add_u32_e32 v145, -1, v145
	s_add_i32 s14, s14, 4
	v_cmp_eq_u32_e32 vcc, 0, v145
	v_add_u32_e32 v143, 4, v143
	s_or_b64 s[4:5], vcc, s[4:5]
	s_waitcnt vmcnt(0) lgkmcnt(0)
	v_fmac_f32_e32 v144, v146, v147
	s_andn2_b64 exec, exec, s[4:5]
	s_cbranch_execnz .LBB123_193
; %bb.194:
	s_or_b64 exec, exec, s[4:5]
.LBB123_195:
	s_or_b64 exec, exec, s[12:13]
	v_mov_b32_e32 v143, 0
	ds_read_b32 v143, v143 offset:156
	s_waitcnt lgkmcnt(0)
	v_mul_f32_e32 v143, v144, v143
	buffer_store_dword v143, off, s[0:3], 0 offset:156
.LBB123_196:
	s_or_b64 exec, exec, s[10:11]
	buffer_load_dword v143, off, s[0:3], 0 offset:152
	v_cmp_lt_u32_e64 s[4:5], 38, v0
	s_waitcnt vmcnt(0)
	ds_write_b32 v122, v143
	s_waitcnt lgkmcnt(0)
	; wave barrier
	s_waitcnt lgkmcnt(0)
	s_and_saveexec_b64 s[10:11], s[4:5]
	s_cbranch_execz .LBB123_206
; %bb.197:
	s_andn2_b64 vcc, exec, s[8:9]
	s_cbranch_vccnz .LBB123_199
; %bb.198:
	buffer_load_dword v143, v123, s[0:3], 0 offen
	ds_read_b32 v144, v122
	s_waitcnt vmcnt(0) lgkmcnt(0)
	v_mul_f32_e32 v143, v143, v144
	s_cbranch_execz .LBB123_200
	s_branch .LBB123_201
.LBB123_199:
                                        ; implicit-def: $vgpr143
.LBB123_200:
	ds_read_b32 v143, v122
.LBB123_201:
	s_and_saveexec_b64 s[12:13], s[6:7]
	s_cbranch_execz .LBB123_205
; %bb.202:
	v_mov_b32_e32 v144, 0
	v_add_u32_e32 v144, 0x9c, v144
	v_subrev_u32_e32 v145, 39, v0
	s_movk_i32 s14, 0x18c
	s_mov_b64 s[6:7], 0
.LBB123_203:                            ; =>This Inner Loop Header: Depth=1
	buffer_load_dword v146, v144, s[0:3], 0 offen
	v_mov_b32_e32 v147, s14
	ds_read_b32 v147, v147
	v_add_u32_e32 v145, -1, v145
	s_add_i32 s14, s14, 4
	v_cmp_eq_u32_e32 vcc, 0, v145
	v_add_u32_e32 v144, 4, v144
	s_or_b64 s[6:7], vcc, s[6:7]
	s_waitcnt vmcnt(0) lgkmcnt(0)
	v_fmac_f32_e32 v143, v146, v147
	s_andn2_b64 exec, exec, s[6:7]
	s_cbranch_execnz .LBB123_203
; %bb.204:
	s_or_b64 exec, exec, s[6:7]
.LBB123_205:
	s_or_b64 exec, exec, s[12:13]
	v_mov_b32_e32 v144, 0
	ds_read_b32 v144, v144 offset:152
	s_waitcnt lgkmcnt(0)
	v_mul_f32_e32 v143, v143, v144
	buffer_store_dword v143, off, s[0:3], 0 offset:152
.LBB123_206:
	s_or_b64 exec, exec, s[10:11]
	buffer_load_dword v143, off, s[0:3], 0 offset:148
	v_cmp_lt_u32_e64 s[6:7], 37, v0
	s_waitcnt vmcnt(0)
	ds_write_b32 v122, v143
	s_waitcnt lgkmcnt(0)
	; wave barrier
	s_waitcnt lgkmcnt(0)
	s_and_saveexec_b64 s[10:11], s[6:7]
	s_cbranch_execz .LBB123_216
; %bb.207:
	s_andn2_b64 vcc, exec, s[8:9]
	s_cbranch_vccnz .LBB123_209
; %bb.208:
	buffer_load_dword v143, v123, s[0:3], 0 offen
	ds_read_b32 v144, v122
	s_waitcnt vmcnt(0) lgkmcnt(0)
	v_mul_f32_e32 v143, v143, v144
	s_cbranch_execz .LBB123_210
	s_branch .LBB123_211
.LBB123_209:
                                        ; implicit-def: $vgpr143
.LBB123_210:
	ds_read_b32 v143, v122
.LBB123_211:
	s_and_saveexec_b64 s[12:13], s[4:5]
	s_cbranch_execz .LBB123_215
; %bb.212:
	v_subrev_u32_e32 v144, 38, v0
	s_movk_i32 s14, 0x188
	s_mov_b64 s[4:5], 0
.LBB123_213:                            ; =>This Inner Loop Header: Depth=1
	buffer_load_dword v145, v142, s[0:3], 0 offen
	v_mov_b32_e32 v146, s14
	ds_read_b32 v146, v146
	v_add_u32_e32 v144, -1, v144
	s_add_i32 s14, s14, 4
	v_cmp_eq_u32_e32 vcc, 0, v144
	v_add_u32_e32 v142, 4, v142
	s_or_b64 s[4:5], vcc, s[4:5]
	s_waitcnt vmcnt(0) lgkmcnt(0)
	v_fmac_f32_e32 v143, v145, v146
	s_andn2_b64 exec, exec, s[4:5]
	s_cbranch_execnz .LBB123_213
; %bb.214:
	s_or_b64 exec, exec, s[4:5]
.LBB123_215:
	s_or_b64 exec, exec, s[12:13]
	v_mov_b32_e32 v142, 0
	ds_read_b32 v142, v142 offset:148
	s_waitcnt lgkmcnt(0)
	v_mul_f32_e32 v142, v143, v142
	buffer_store_dword v142, off, s[0:3], 0 offset:148
.LBB123_216:
	s_or_b64 exec, exec, s[10:11]
	buffer_load_dword v142, off, s[0:3], 0 offset:144
	v_cmp_lt_u32_e64 s[4:5], 36, v0
	s_waitcnt vmcnt(0)
	ds_write_b32 v122, v142
	s_waitcnt lgkmcnt(0)
	; wave barrier
	s_waitcnt lgkmcnt(0)
	s_and_saveexec_b64 s[10:11], s[4:5]
	s_cbranch_execz .LBB123_226
; %bb.217:
	s_andn2_b64 vcc, exec, s[8:9]
	s_cbranch_vccnz .LBB123_219
; %bb.218:
	buffer_load_dword v142, v123, s[0:3], 0 offen
	ds_read_b32 v143, v122
	s_waitcnt vmcnt(0) lgkmcnt(0)
	v_mul_f32_e32 v142, v142, v143
	s_cbranch_execz .LBB123_220
	s_branch .LBB123_221
.LBB123_219:
                                        ; implicit-def: $vgpr142
.LBB123_220:
	ds_read_b32 v142, v122
.LBB123_221:
	s_and_saveexec_b64 s[12:13], s[6:7]
	s_cbranch_execz .LBB123_225
; %bb.222:
	v_mov_b32_e32 v143, 0
	v_add_u32_e32 v143, 0x94, v143
	v_subrev_u32_e32 v144, 37, v0
	s_movk_i32 s14, 0x184
	s_mov_b64 s[6:7], 0
.LBB123_223:                            ; =>This Inner Loop Header: Depth=1
	buffer_load_dword v145, v143, s[0:3], 0 offen
	v_mov_b32_e32 v146, s14
	ds_read_b32 v146, v146
	v_add_u32_e32 v144, -1, v144
	s_add_i32 s14, s14, 4
	v_cmp_eq_u32_e32 vcc, 0, v144
	v_add_u32_e32 v143, 4, v143
	s_or_b64 s[6:7], vcc, s[6:7]
	s_waitcnt vmcnt(0) lgkmcnt(0)
	v_fmac_f32_e32 v142, v145, v146
	s_andn2_b64 exec, exec, s[6:7]
	s_cbranch_execnz .LBB123_223
; %bb.224:
	s_or_b64 exec, exec, s[6:7]
.LBB123_225:
	s_or_b64 exec, exec, s[12:13]
	v_mov_b32_e32 v143, 0
	ds_read_b32 v143, v143 offset:144
	s_waitcnt lgkmcnt(0)
	v_mul_f32_e32 v142, v142, v143
	buffer_store_dword v142, off, s[0:3], 0 offset:144
.LBB123_226:
	s_or_b64 exec, exec, s[10:11]
	buffer_load_dword v142, off, s[0:3], 0 offset:140
	v_cmp_lt_u32_e64 s[6:7], 35, v0
	s_waitcnt vmcnt(0)
	ds_write_b32 v122, v142
	s_waitcnt lgkmcnt(0)
	; wave barrier
	s_waitcnt lgkmcnt(0)
	s_and_saveexec_b64 s[10:11], s[6:7]
	s_cbranch_execz .LBB123_236
; %bb.227:
	s_andn2_b64 vcc, exec, s[8:9]
	s_cbranch_vccnz .LBB123_229
; %bb.228:
	buffer_load_dword v142, v123, s[0:3], 0 offen
	ds_read_b32 v143, v122
	s_waitcnt vmcnt(0) lgkmcnt(0)
	v_mul_f32_e32 v142, v142, v143
	s_cbranch_execz .LBB123_230
	s_branch .LBB123_231
.LBB123_229:
                                        ; implicit-def: $vgpr142
.LBB123_230:
	ds_read_b32 v142, v122
.LBB123_231:
	s_and_saveexec_b64 s[12:13], s[4:5]
	s_cbranch_execz .LBB123_235
; %bb.232:
	v_subrev_u32_e32 v143, 36, v0
	s_movk_i32 s14, 0x180
	s_mov_b64 s[4:5], 0
.LBB123_233:                            ; =>This Inner Loop Header: Depth=1
	buffer_load_dword v144, v141, s[0:3], 0 offen
	v_mov_b32_e32 v145, s14
	ds_read_b32 v145, v145
	v_add_u32_e32 v143, -1, v143
	s_add_i32 s14, s14, 4
	v_cmp_eq_u32_e32 vcc, 0, v143
	v_add_u32_e32 v141, 4, v141
	s_or_b64 s[4:5], vcc, s[4:5]
	s_waitcnt vmcnt(0) lgkmcnt(0)
	v_fmac_f32_e32 v142, v144, v145
	s_andn2_b64 exec, exec, s[4:5]
	s_cbranch_execnz .LBB123_233
; %bb.234:
	s_or_b64 exec, exec, s[4:5]
.LBB123_235:
	s_or_b64 exec, exec, s[12:13]
	v_mov_b32_e32 v141, 0
	ds_read_b32 v141, v141 offset:140
	s_waitcnt lgkmcnt(0)
	v_mul_f32_e32 v141, v142, v141
	buffer_store_dword v141, off, s[0:3], 0 offset:140
.LBB123_236:
	s_or_b64 exec, exec, s[10:11]
	buffer_load_dword v141, off, s[0:3], 0 offset:136
	v_cmp_lt_u32_e64 s[4:5], 34, v0
	s_waitcnt vmcnt(0)
	ds_write_b32 v122, v141
	s_waitcnt lgkmcnt(0)
	; wave barrier
	s_waitcnt lgkmcnt(0)
	s_and_saveexec_b64 s[10:11], s[4:5]
	s_cbranch_execz .LBB123_246
; %bb.237:
	s_andn2_b64 vcc, exec, s[8:9]
	s_cbranch_vccnz .LBB123_239
; %bb.238:
	buffer_load_dword v141, v123, s[0:3], 0 offen
	ds_read_b32 v142, v122
	s_waitcnt vmcnt(0) lgkmcnt(0)
	v_mul_f32_e32 v141, v141, v142
	s_cbranch_execz .LBB123_240
	s_branch .LBB123_241
.LBB123_239:
                                        ; implicit-def: $vgpr141
.LBB123_240:
	ds_read_b32 v141, v122
.LBB123_241:
	s_and_saveexec_b64 s[12:13], s[6:7]
	s_cbranch_execz .LBB123_245
; %bb.242:
	v_mov_b32_e32 v142, 0
	v_add_u32_e32 v142, 0x8c, v142
	v_subrev_u32_e32 v143, 35, v0
	s_movk_i32 s14, 0x17c
	s_mov_b64 s[6:7], 0
.LBB123_243:                            ; =>This Inner Loop Header: Depth=1
	buffer_load_dword v144, v142, s[0:3], 0 offen
	v_mov_b32_e32 v145, s14
	ds_read_b32 v145, v145
	v_add_u32_e32 v143, -1, v143
	s_add_i32 s14, s14, 4
	v_cmp_eq_u32_e32 vcc, 0, v143
	v_add_u32_e32 v142, 4, v142
	s_or_b64 s[6:7], vcc, s[6:7]
	s_waitcnt vmcnt(0) lgkmcnt(0)
	v_fmac_f32_e32 v141, v144, v145
	s_andn2_b64 exec, exec, s[6:7]
	s_cbranch_execnz .LBB123_243
; %bb.244:
	s_or_b64 exec, exec, s[6:7]
.LBB123_245:
	s_or_b64 exec, exec, s[12:13]
	v_mov_b32_e32 v142, 0
	ds_read_b32 v142, v142 offset:136
	s_waitcnt lgkmcnt(0)
	v_mul_f32_e32 v141, v141, v142
	buffer_store_dword v141, off, s[0:3], 0 offset:136
.LBB123_246:
	s_or_b64 exec, exec, s[10:11]
	buffer_load_dword v141, off, s[0:3], 0 offset:132
	v_cmp_lt_u32_e64 s[6:7], 33, v0
	s_waitcnt vmcnt(0)
	ds_write_b32 v122, v141
	s_waitcnt lgkmcnt(0)
	; wave barrier
	s_waitcnt lgkmcnt(0)
	s_and_saveexec_b64 s[10:11], s[6:7]
	s_cbranch_execz .LBB123_256
; %bb.247:
	s_andn2_b64 vcc, exec, s[8:9]
	s_cbranch_vccnz .LBB123_249
; %bb.248:
	buffer_load_dword v141, v123, s[0:3], 0 offen
	ds_read_b32 v142, v122
	s_waitcnt vmcnt(0) lgkmcnt(0)
	v_mul_f32_e32 v141, v141, v142
	s_cbranch_execz .LBB123_250
	s_branch .LBB123_251
.LBB123_249:
                                        ; implicit-def: $vgpr141
.LBB123_250:
	ds_read_b32 v141, v122
.LBB123_251:
	s_and_saveexec_b64 s[12:13], s[4:5]
	s_cbranch_execz .LBB123_255
; %bb.252:
	v_subrev_u32_e32 v142, 34, v0
	s_movk_i32 s14, 0x178
	s_mov_b64 s[4:5], 0
.LBB123_253:                            ; =>This Inner Loop Header: Depth=1
	buffer_load_dword v143, v140, s[0:3], 0 offen
	v_mov_b32_e32 v144, s14
	ds_read_b32 v144, v144
	v_add_u32_e32 v142, -1, v142
	s_add_i32 s14, s14, 4
	v_cmp_eq_u32_e32 vcc, 0, v142
	v_add_u32_e32 v140, 4, v140
	s_or_b64 s[4:5], vcc, s[4:5]
	s_waitcnt vmcnt(0) lgkmcnt(0)
	v_fmac_f32_e32 v141, v143, v144
	s_andn2_b64 exec, exec, s[4:5]
	s_cbranch_execnz .LBB123_253
; %bb.254:
	s_or_b64 exec, exec, s[4:5]
.LBB123_255:
	s_or_b64 exec, exec, s[12:13]
	v_mov_b32_e32 v140, 0
	ds_read_b32 v140, v140 offset:132
	s_waitcnt lgkmcnt(0)
	v_mul_f32_e32 v140, v141, v140
	buffer_store_dword v140, off, s[0:3], 0 offset:132
.LBB123_256:
	s_or_b64 exec, exec, s[10:11]
	buffer_load_dword v140, off, s[0:3], 0 offset:128
	v_cmp_lt_u32_e64 s[4:5], 32, v0
	s_waitcnt vmcnt(0)
	ds_write_b32 v122, v140
	s_waitcnt lgkmcnt(0)
	; wave barrier
	s_waitcnt lgkmcnt(0)
	s_and_saveexec_b64 s[10:11], s[4:5]
	s_cbranch_execz .LBB123_266
; %bb.257:
	s_andn2_b64 vcc, exec, s[8:9]
	s_cbranch_vccnz .LBB123_259
; %bb.258:
	buffer_load_dword v140, v123, s[0:3], 0 offen
	ds_read_b32 v141, v122
	s_waitcnt vmcnt(0) lgkmcnt(0)
	v_mul_f32_e32 v140, v140, v141
	s_cbranch_execz .LBB123_260
	s_branch .LBB123_261
.LBB123_259:
                                        ; implicit-def: $vgpr140
.LBB123_260:
	ds_read_b32 v140, v122
.LBB123_261:
	s_and_saveexec_b64 s[12:13], s[6:7]
	s_cbranch_execz .LBB123_265
; %bb.262:
	v_mov_b32_e32 v141, 0
	v_add_u32_e32 v141, 0x84, v141
	v_subrev_u32_e32 v142, 33, v0
	s_movk_i32 s14, 0x174
	s_mov_b64 s[6:7], 0
.LBB123_263:                            ; =>This Inner Loop Header: Depth=1
	buffer_load_dword v143, v141, s[0:3], 0 offen
	v_mov_b32_e32 v144, s14
	ds_read_b32 v144, v144
	v_add_u32_e32 v142, -1, v142
	s_add_i32 s14, s14, 4
	v_cmp_eq_u32_e32 vcc, 0, v142
	v_add_u32_e32 v141, 4, v141
	s_or_b64 s[6:7], vcc, s[6:7]
	s_waitcnt vmcnt(0) lgkmcnt(0)
	v_fmac_f32_e32 v140, v143, v144
	s_andn2_b64 exec, exec, s[6:7]
	s_cbranch_execnz .LBB123_263
; %bb.264:
	s_or_b64 exec, exec, s[6:7]
.LBB123_265:
	s_or_b64 exec, exec, s[12:13]
	v_mov_b32_e32 v141, 0
	ds_read_b32 v141, v141 offset:128
	s_waitcnt lgkmcnt(0)
	v_mul_f32_e32 v140, v140, v141
	buffer_store_dword v140, off, s[0:3], 0 offset:128
.LBB123_266:
	s_or_b64 exec, exec, s[10:11]
	buffer_load_dword v140, off, s[0:3], 0 offset:124
	v_cmp_lt_u32_e64 s[6:7], 31, v0
	s_waitcnt vmcnt(0)
	ds_write_b32 v122, v140
	s_waitcnt lgkmcnt(0)
	; wave barrier
	s_waitcnt lgkmcnt(0)
	s_and_saveexec_b64 s[10:11], s[6:7]
	s_cbranch_execz .LBB123_276
; %bb.267:
	s_andn2_b64 vcc, exec, s[8:9]
	s_cbranch_vccnz .LBB123_269
; %bb.268:
	buffer_load_dword v140, v123, s[0:3], 0 offen
	ds_read_b32 v141, v122
	s_waitcnt vmcnt(0) lgkmcnt(0)
	v_mul_f32_e32 v140, v140, v141
	s_cbranch_execz .LBB123_270
	s_branch .LBB123_271
.LBB123_269:
                                        ; implicit-def: $vgpr140
.LBB123_270:
	ds_read_b32 v140, v122
.LBB123_271:
	s_and_saveexec_b64 s[12:13], s[4:5]
	s_cbranch_execz .LBB123_275
; %bb.272:
	v_subrev_u32_e32 v141, 32, v0
	s_movk_i32 s14, 0x170
	s_mov_b64 s[4:5], 0
.LBB123_273:                            ; =>This Inner Loop Header: Depth=1
	buffer_load_dword v142, v139, s[0:3], 0 offen
	v_mov_b32_e32 v143, s14
	ds_read_b32 v143, v143
	v_add_u32_e32 v141, -1, v141
	s_add_i32 s14, s14, 4
	v_cmp_eq_u32_e32 vcc, 0, v141
	v_add_u32_e32 v139, 4, v139
	s_or_b64 s[4:5], vcc, s[4:5]
	s_waitcnt vmcnt(0) lgkmcnt(0)
	v_fmac_f32_e32 v140, v142, v143
	s_andn2_b64 exec, exec, s[4:5]
	s_cbranch_execnz .LBB123_273
; %bb.274:
	s_or_b64 exec, exec, s[4:5]
.LBB123_275:
	s_or_b64 exec, exec, s[12:13]
	v_mov_b32_e32 v139, 0
	ds_read_b32 v139, v139 offset:124
	s_waitcnt lgkmcnt(0)
	v_mul_f32_e32 v139, v140, v139
	buffer_store_dword v139, off, s[0:3], 0 offset:124
.LBB123_276:
	s_or_b64 exec, exec, s[10:11]
	buffer_load_dword v139, off, s[0:3], 0 offset:120
	v_cmp_lt_u32_e64 s[4:5], 30, v0
	s_waitcnt vmcnt(0)
	ds_write_b32 v122, v139
	s_waitcnt lgkmcnt(0)
	; wave barrier
	s_waitcnt lgkmcnt(0)
	s_and_saveexec_b64 s[10:11], s[4:5]
	s_cbranch_execz .LBB123_286
; %bb.277:
	s_andn2_b64 vcc, exec, s[8:9]
	s_cbranch_vccnz .LBB123_279
; %bb.278:
	buffer_load_dword v139, v123, s[0:3], 0 offen
	ds_read_b32 v140, v122
	s_waitcnt vmcnt(0) lgkmcnt(0)
	v_mul_f32_e32 v139, v139, v140
	s_cbranch_execz .LBB123_280
	s_branch .LBB123_281
.LBB123_279:
                                        ; implicit-def: $vgpr139
.LBB123_280:
	ds_read_b32 v139, v122
.LBB123_281:
	s_and_saveexec_b64 s[12:13], s[6:7]
	s_cbranch_execz .LBB123_285
; %bb.282:
	v_mov_b32_e32 v140, 0
	v_add_u32_e32 v140, 0x7c, v140
	v_subrev_u32_e32 v141, 31, v0
	s_movk_i32 s14, 0x16c
	s_mov_b64 s[6:7], 0
.LBB123_283:                            ; =>This Inner Loop Header: Depth=1
	buffer_load_dword v142, v140, s[0:3], 0 offen
	v_mov_b32_e32 v143, s14
	ds_read_b32 v143, v143
	v_add_u32_e32 v141, -1, v141
	s_add_i32 s14, s14, 4
	v_cmp_eq_u32_e32 vcc, 0, v141
	v_add_u32_e32 v140, 4, v140
	s_or_b64 s[6:7], vcc, s[6:7]
	s_waitcnt vmcnt(0) lgkmcnt(0)
	v_fmac_f32_e32 v139, v142, v143
	s_andn2_b64 exec, exec, s[6:7]
	s_cbranch_execnz .LBB123_283
; %bb.284:
	s_or_b64 exec, exec, s[6:7]
.LBB123_285:
	s_or_b64 exec, exec, s[12:13]
	v_mov_b32_e32 v140, 0
	ds_read_b32 v140, v140 offset:120
	s_waitcnt lgkmcnt(0)
	v_mul_f32_e32 v139, v139, v140
	buffer_store_dword v139, off, s[0:3], 0 offset:120
.LBB123_286:
	s_or_b64 exec, exec, s[10:11]
	buffer_load_dword v139, off, s[0:3], 0 offset:116
	v_cmp_lt_u32_e64 s[6:7], 29, v0
	s_waitcnt vmcnt(0)
	ds_write_b32 v122, v139
	s_waitcnt lgkmcnt(0)
	; wave barrier
	s_waitcnt lgkmcnt(0)
	s_and_saveexec_b64 s[10:11], s[6:7]
	s_cbranch_execz .LBB123_296
; %bb.287:
	s_andn2_b64 vcc, exec, s[8:9]
	s_cbranch_vccnz .LBB123_289
; %bb.288:
	buffer_load_dword v139, v123, s[0:3], 0 offen
	ds_read_b32 v140, v122
	s_waitcnt vmcnt(0) lgkmcnt(0)
	v_mul_f32_e32 v139, v139, v140
	s_cbranch_execz .LBB123_290
	s_branch .LBB123_291
.LBB123_289:
                                        ; implicit-def: $vgpr139
.LBB123_290:
	ds_read_b32 v139, v122
.LBB123_291:
	s_and_saveexec_b64 s[12:13], s[4:5]
	s_cbranch_execz .LBB123_295
; %bb.292:
	v_subrev_u32_e32 v140, 30, v0
	s_movk_i32 s14, 0x168
	s_mov_b64 s[4:5], 0
.LBB123_293:                            ; =>This Inner Loop Header: Depth=1
	buffer_load_dword v141, v138, s[0:3], 0 offen
	v_mov_b32_e32 v142, s14
	ds_read_b32 v142, v142
	v_add_u32_e32 v140, -1, v140
	s_add_i32 s14, s14, 4
	v_cmp_eq_u32_e32 vcc, 0, v140
	v_add_u32_e32 v138, 4, v138
	s_or_b64 s[4:5], vcc, s[4:5]
	s_waitcnt vmcnt(0) lgkmcnt(0)
	v_fmac_f32_e32 v139, v141, v142
	s_andn2_b64 exec, exec, s[4:5]
	s_cbranch_execnz .LBB123_293
; %bb.294:
	s_or_b64 exec, exec, s[4:5]
.LBB123_295:
	s_or_b64 exec, exec, s[12:13]
	v_mov_b32_e32 v138, 0
	ds_read_b32 v138, v138 offset:116
	s_waitcnt lgkmcnt(0)
	v_mul_f32_e32 v138, v139, v138
	buffer_store_dword v138, off, s[0:3], 0 offset:116
.LBB123_296:
	s_or_b64 exec, exec, s[10:11]
	buffer_load_dword v138, off, s[0:3], 0 offset:112
	v_cmp_lt_u32_e64 s[4:5], 28, v0
	s_waitcnt vmcnt(0)
	ds_write_b32 v122, v138
	s_waitcnt lgkmcnt(0)
	; wave barrier
	s_waitcnt lgkmcnt(0)
	s_and_saveexec_b64 s[10:11], s[4:5]
	s_cbranch_execz .LBB123_306
; %bb.297:
	s_andn2_b64 vcc, exec, s[8:9]
	s_cbranch_vccnz .LBB123_299
; %bb.298:
	buffer_load_dword v138, v123, s[0:3], 0 offen
	ds_read_b32 v139, v122
	s_waitcnt vmcnt(0) lgkmcnt(0)
	v_mul_f32_e32 v138, v138, v139
	s_cbranch_execz .LBB123_300
	s_branch .LBB123_301
.LBB123_299:
                                        ; implicit-def: $vgpr138
.LBB123_300:
	ds_read_b32 v138, v122
.LBB123_301:
	s_and_saveexec_b64 s[12:13], s[6:7]
	s_cbranch_execz .LBB123_305
; %bb.302:
	v_mov_b32_e32 v139, 0
	v_add_u32_e32 v139, 0x74, v139
	v_subrev_u32_e32 v140, 29, v0
	s_movk_i32 s14, 0x164
	s_mov_b64 s[6:7], 0
.LBB123_303:                            ; =>This Inner Loop Header: Depth=1
	buffer_load_dword v141, v139, s[0:3], 0 offen
	v_mov_b32_e32 v142, s14
	ds_read_b32 v142, v142
	v_add_u32_e32 v140, -1, v140
	s_add_i32 s14, s14, 4
	v_cmp_eq_u32_e32 vcc, 0, v140
	v_add_u32_e32 v139, 4, v139
	s_or_b64 s[6:7], vcc, s[6:7]
	s_waitcnt vmcnt(0) lgkmcnt(0)
	v_fmac_f32_e32 v138, v141, v142
	s_andn2_b64 exec, exec, s[6:7]
	s_cbranch_execnz .LBB123_303
; %bb.304:
	s_or_b64 exec, exec, s[6:7]
.LBB123_305:
	s_or_b64 exec, exec, s[12:13]
	v_mov_b32_e32 v139, 0
	ds_read_b32 v139, v139 offset:112
	s_waitcnt lgkmcnt(0)
	v_mul_f32_e32 v138, v138, v139
	buffer_store_dword v138, off, s[0:3], 0 offset:112
.LBB123_306:
	s_or_b64 exec, exec, s[10:11]
	buffer_load_dword v138, off, s[0:3], 0 offset:108
	v_cmp_lt_u32_e64 s[6:7], 27, v0
	s_waitcnt vmcnt(0)
	ds_write_b32 v122, v138
	s_waitcnt lgkmcnt(0)
	; wave barrier
	s_waitcnt lgkmcnt(0)
	s_and_saveexec_b64 s[10:11], s[6:7]
	s_cbranch_execz .LBB123_316
; %bb.307:
	s_andn2_b64 vcc, exec, s[8:9]
	s_cbranch_vccnz .LBB123_309
; %bb.308:
	buffer_load_dword v138, v123, s[0:3], 0 offen
	ds_read_b32 v139, v122
	s_waitcnt vmcnt(0) lgkmcnt(0)
	v_mul_f32_e32 v138, v138, v139
	s_cbranch_execz .LBB123_310
	s_branch .LBB123_311
.LBB123_309:
                                        ; implicit-def: $vgpr138
.LBB123_310:
	ds_read_b32 v138, v122
.LBB123_311:
	s_and_saveexec_b64 s[12:13], s[4:5]
	s_cbranch_execz .LBB123_315
; %bb.312:
	v_subrev_u32_e32 v139, 28, v0
	s_movk_i32 s14, 0x160
	s_mov_b64 s[4:5], 0
.LBB123_313:                            ; =>This Inner Loop Header: Depth=1
	buffer_load_dword v140, v137, s[0:3], 0 offen
	v_mov_b32_e32 v141, s14
	ds_read_b32 v141, v141
	v_add_u32_e32 v139, -1, v139
	s_add_i32 s14, s14, 4
	v_cmp_eq_u32_e32 vcc, 0, v139
	v_add_u32_e32 v137, 4, v137
	s_or_b64 s[4:5], vcc, s[4:5]
	s_waitcnt vmcnt(0) lgkmcnt(0)
	v_fmac_f32_e32 v138, v140, v141
	s_andn2_b64 exec, exec, s[4:5]
	s_cbranch_execnz .LBB123_313
; %bb.314:
	s_or_b64 exec, exec, s[4:5]
.LBB123_315:
	s_or_b64 exec, exec, s[12:13]
	v_mov_b32_e32 v137, 0
	ds_read_b32 v137, v137 offset:108
	s_waitcnt lgkmcnt(0)
	v_mul_f32_e32 v137, v138, v137
	buffer_store_dword v137, off, s[0:3], 0 offset:108
.LBB123_316:
	s_or_b64 exec, exec, s[10:11]
	buffer_load_dword v137, off, s[0:3], 0 offset:104
	v_cmp_lt_u32_e64 s[4:5], 26, v0
	s_waitcnt vmcnt(0)
	ds_write_b32 v122, v137
	s_waitcnt lgkmcnt(0)
	; wave barrier
	s_waitcnt lgkmcnt(0)
	s_and_saveexec_b64 s[10:11], s[4:5]
	s_cbranch_execz .LBB123_326
; %bb.317:
	s_andn2_b64 vcc, exec, s[8:9]
	s_cbranch_vccnz .LBB123_319
; %bb.318:
	buffer_load_dword v137, v123, s[0:3], 0 offen
	ds_read_b32 v138, v122
	s_waitcnt vmcnt(0) lgkmcnt(0)
	v_mul_f32_e32 v137, v137, v138
	s_cbranch_execz .LBB123_320
	s_branch .LBB123_321
.LBB123_319:
                                        ; implicit-def: $vgpr137
.LBB123_320:
	ds_read_b32 v137, v122
.LBB123_321:
	s_and_saveexec_b64 s[12:13], s[6:7]
	s_cbranch_execz .LBB123_325
; %bb.322:
	v_mov_b32_e32 v138, 0
	v_add_u32_e32 v138, 0x6c, v138
	v_subrev_u32_e32 v139, 27, v0
	s_movk_i32 s14, 0x15c
	s_mov_b64 s[6:7], 0
.LBB123_323:                            ; =>This Inner Loop Header: Depth=1
	buffer_load_dword v140, v138, s[0:3], 0 offen
	v_mov_b32_e32 v141, s14
	ds_read_b32 v141, v141
	v_add_u32_e32 v139, -1, v139
	s_add_i32 s14, s14, 4
	v_cmp_eq_u32_e32 vcc, 0, v139
	v_add_u32_e32 v138, 4, v138
	s_or_b64 s[6:7], vcc, s[6:7]
	s_waitcnt vmcnt(0) lgkmcnt(0)
	v_fmac_f32_e32 v137, v140, v141
	s_andn2_b64 exec, exec, s[6:7]
	s_cbranch_execnz .LBB123_323
; %bb.324:
	s_or_b64 exec, exec, s[6:7]
.LBB123_325:
	s_or_b64 exec, exec, s[12:13]
	v_mov_b32_e32 v138, 0
	ds_read_b32 v138, v138 offset:104
	s_waitcnt lgkmcnt(0)
	v_mul_f32_e32 v137, v137, v138
	buffer_store_dword v137, off, s[0:3], 0 offset:104
.LBB123_326:
	s_or_b64 exec, exec, s[10:11]
	buffer_load_dword v137, off, s[0:3], 0 offset:100
	v_cmp_lt_u32_e64 s[6:7], 25, v0
	s_waitcnt vmcnt(0)
	ds_write_b32 v122, v137
	s_waitcnt lgkmcnt(0)
	; wave barrier
	s_waitcnt lgkmcnt(0)
	s_and_saveexec_b64 s[10:11], s[6:7]
	s_cbranch_execz .LBB123_336
; %bb.327:
	s_andn2_b64 vcc, exec, s[8:9]
	s_cbranch_vccnz .LBB123_329
; %bb.328:
	buffer_load_dword v137, v123, s[0:3], 0 offen
	ds_read_b32 v138, v122
	s_waitcnt vmcnt(0) lgkmcnt(0)
	v_mul_f32_e32 v137, v137, v138
	s_cbranch_execz .LBB123_330
	s_branch .LBB123_331
.LBB123_329:
                                        ; implicit-def: $vgpr137
.LBB123_330:
	ds_read_b32 v137, v122
.LBB123_331:
	s_and_saveexec_b64 s[12:13], s[4:5]
	s_cbranch_execz .LBB123_335
; %bb.332:
	v_subrev_u32_e32 v138, 26, v0
	s_movk_i32 s14, 0x158
	s_mov_b64 s[4:5], 0
.LBB123_333:                            ; =>This Inner Loop Header: Depth=1
	buffer_load_dword v139, v136, s[0:3], 0 offen
	v_mov_b32_e32 v140, s14
	ds_read_b32 v140, v140
	v_add_u32_e32 v138, -1, v138
	s_add_i32 s14, s14, 4
	v_cmp_eq_u32_e32 vcc, 0, v138
	v_add_u32_e32 v136, 4, v136
	s_or_b64 s[4:5], vcc, s[4:5]
	s_waitcnt vmcnt(0) lgkmcnt(0)
	v_fmac_f32_e32 v137, v139, v140
	s_andn2_b64 exec, exec, s[4:5]
	s_cbranch_execnz .LBB123_333
; %bb.334:
	s_or_b64 exec, exec, s[4:5]
.LBB123_335:
	s_or_b64 exec, exec, s[12:13]
	v_mov_b32_e32 v136, 0
	ds_read_b32 v136, v136 offset:100
	s_waitcnt lgkmcnt(0)
	v_mul_f32_e32 v136, v137, v136
	buffer_store_dword v136, off, s[0:3], 0 offset:100
.LBB123_336:
	s_or_b64 exec, exec, s[10:11]
	buffer_load_dword v136, off, s[0:3], 0 offset:96
	v_cmp_lt_u32_e64 s[4:5], 24, v0
	s_waitcnt vmcnt(0)
	ds_write_b32 v122, v136
	s_waitcnt lgkmcnt(0)
	; wave barrier
	s_waitcnt lgkmcnt(0)
	s_and_saveexec_b64 s[10:11], s[4:5]
	s_cbranch_execz .LBB123_346
; %bb.337:
	s_andn2_b64 vcc, exec, s[8:9]
	s_cbranch_vccnz .LBB123_339
; %bb.338:
	buffer_load_dword v136, v123, s[0:3], 0 offen
	ds_read_b32 v137, v122
	s_waitcnt vmcnt(0) lgkmcnt(0)
	v_mul_f32_e32 v136, v136, v137
	s_cbranch_execz .LBB123_340
	s_branch .LBB123_341
.LBB123_339:
                                        ; implicit-def: $vgpr136
.LBB123_340:
	ds_read_b32 v136, v122
.LBB123_341:
	s_and_saveexec_b64 s[12:13], s[6:7]
	s_cbranch_execz .LBB123_345
; %bb.342:
	v_mov_b32_e32 v137, 0
	v_add_u32_e32 v137, 0x64, v137
	v_subrev_u32_e32 v138, 25, v0
	s_movk_i32 s14, 0x154
	s_mov_b64 s[6:7], 0
.LBB123_343:                            ; =>This Inner Loop Header: Depth=1
	buffer_load_dword v139, v137, s[0:3], 0 offen
	v_mov_b32_e32 v140, s14
	ds_read_b32 v140, v140
	v_add_u32_e32 v138, -1, v138
	s_add_i32 s14, s14, 4
	v_cmp_eq_u32_e32 vcc, 0, v138
	v_add_u32_e32 v137, 4, v137
	s_or_b64 s[6:7], vcc, s[6:7]
	s_waitcnt vmcnt(0) lgkmcnt(0)
	v_fmac_f32_e32 v136, v139, v140
	s_andn2_b64 exec, exec, s[6:7]
	s_cbranch_execnz .LBB123_343
; %bb.344:
	s_or_b64 exec, exec, s[6:7]
.LBB123_345:
	s_or_b64 exec, exec, s[12:13]
	v_mov_b32_e32 v137, 0
	ds_read_b32 v137, v137 offset:96
	s_waitcnt lgkmcnt(0)
	v_mul_f32_e32 v136, v136, v137
	buffer_store_dword v136, off, s[0:3], 0 offset:96
.LBB123_346:
	s_or_b64 exec, exec, s[10:11]
	buffer_load_dword v136, off, s[0:3], 0 offset:92
	v_cmp_lt_u32_e64 s[6:7], 23, v0
	s_waitcnt vmcnt(0)
	ds_write_b32 v122, v136
	s_waitcnt lgkmcnt(0)
	; wave barrier
	s_waitcnt lgkmcnt(0)
	s_and_saveexec_b64 s[10:11], s[6:7]
	s_cbranch_execz .LBB123_356
; %bb.347:
	s_andn2_b64 vcc, exec, s[8:9]
	s_cbranch_vccnz .LBB123_349
; %bb.348:
	buffer_load_dword v136, v123, s[0:3], 0 offen
	ds_read_b32 v137, v122
	s_waitcnt vmcnt(0) lgkmcnt(0)
	v_mul_f32_e32 v136, v136, v137
	s_cbranch_execz .LBB123_350
	s_branch .LBB123_351
.LBB123_349:
                                        ; implicit-def: $vgpr136
.LBB123_350:
	ds_read_b32 v136, v122
.LBB123_351:
	s_and_saveexec_b64 s[12:13], s[4:5]
	s_cbranch_execz .LBB123_355
; %bb.352:
	v_subrev_u32_e32 v137, 24, v0
	s_movk_i32 s14, 0x150
	s_mov_b64 s[4:5], 0
.LBB123_353:                            ; =>This Inner Loop Header: Depth=1
	buffer_load_dword v138, v135, s[0:3], 0 offen
	v_mov_b32_e32 v139, s14
	ds_read_b32 v139, v139
	v_add_u32_e32 v137, -1, v137
	s_add_i32 s14, s14, 4
	v_cmp_eq_u32_e32 vcc, 0, v137
	v_add_u32_e32 v135, 4, v135
	s_or_b64 s[4:5], vcc, s[4:5]
	s_waitcnt vmcnt(0) lgkmcnt(0)
	v_fmac_f32_e32 v136, v138, v139
	s_andn2_b64 exec, exec, s[4:5]
	s_cbranch_execnz .LBB123_353
; %bb.354:
	s_or_b64 exec, exec, s[4:5]
.LBB123_355:
	s_or_b64 exec, exec, s[12:13]
	v_mov_b32_e32 v135, 0
	ds_read_b32 v135, v135 offset:92
	s_waitcnt lgkmcnt(0)
	v_mul_f32_e32 v135, v136, v135
	buffer_store_dword v135, off, s[0:3], 0 offset:92
.LBB123_356:
	s_or_b64 exec, exec, s[10:11]
	buffer_load_dword v135, off, s[0:3], 0 offset:88
	v_cmp_lt_u32_e64 s[4:5], 22, v0
	s_waitcnt vmcnt(0)
	ds_write_b32 v122, v135
	s_waitcnt lgkmcnt(0)
	; wave barrier
	s_waitcnt lgkmcnt(0)
	s_and_saveexec_b64 s[10:11], s[4:5]
	s_cbranch_execz .LBB123_366
; %bb.357:
	s_andn2_b64 vcc, exec, s[8:9]
	s_cbranch_vccnz .LBB123_359
; %bb.358:
	buffer_load_dword v135, v123, s[0:3], 0 offen
	ds_read_b32 v136, v122
	s_waitcnt vmcnt(0) lgkmcnt(0)
	v_mul_f32_e32 v135, v135, v136
	s_cbranch_execz .LBB123_360
	s_branch .LBB123_361
.LBB123_359:
                                        ; implicit-def: $vgpr135
.LBB123_360:
	ds_read_b32 v135, v122
.LBB123_361:
	s_and_saveexec_b64 s[12:13], s[6:7]
	s_cbranch_execz .LBB123_365
; %bb.362:
	v_mov_b32_e32 v136, 0
	v_add_u32_e32 v136, 0x5c, v136
	v_subrev_u32_e32 v137, 23, v0
	s_movk_i32 s14, 0x14c
	s_mov_b64 s[6:7], 0
.LBB123_363:                            ; =>This Inner Loop Header: Depth=1
	buffer_load_dword v138, v136, s[0:3], 0 offen
	v_mov_b32_e32 v139, s14
	ds_read_b32 v139, v139
	v_add_u32_e32 v137, -1, v137
	s_add_i32 s14, s14, 4
	v_cmp_eq_u32_e32 vcc, 0, v137
	v_add_u32_e32 v136, 4, v136
	s_or_b64 s[6:7], vcc, s[6:7]
	s_waitcnt vmcnt(0) lgkmcnt(0)
	v_fmac_f32_e32 v135, v138, v139
	s_andn2_b64 exec, exec, s[6:7]
	s_cbranch_execnz .LBB123_363
; %bb.364:
	s_or_b64 exec, exec, s[6:7]
.LBB123_365:
	s_or_b64 exec, exec, s[12:13]
	v_mov_b32_e32 v136, 0
	ds_read_b32 v136, v136 offset:88
	s_waitcnt lgkmcnt(0)
	v_mul_f32_e32 v135, v135, v136
	buffer_store_dword v135, off, s[0:3], 0 offset:88
.LBB123_366:
	s_or_b64 exec, exec, s[10:11]
	buffer_load_dword v135, off, s[0:3], 0 offset:84
	v_cmp_lt_u32_e64 s[6:7], 21, v0
	s_waitcnt vmcnt(0)
	ds_write_b32 v122, v135
	s_waitcnt lgkmcnt(0)
	; wave barrier
	s_waitcnt lgkmcnt(0)
	s_and_saveexec_b64 s[10:11], s[6:7]
	s_cbranch_execz .LBB123_376
; %bb.367:
	s_andn2_b64 vcc, exec, s[8:9]
	s_cbranch_vccnz .LBB123_369
; %bb.368:
	buffer_load_dword v135, v123, s[0:3], 0 offen
	ds_read_b32 v136, v122
	s_waitcnt vmcnt(0) lgkmcnt(0)
	v_mul_f32_e32 v135, v135, v136
	s_cbranch_execz .LBB123_370
	s_branch .LBB123_371
.LBB123_369:
                                        ; implicit-def: $vgpr135
.LBB123_370:
	ds_read_b32 v135, v122
.LBB123_371:
	s_and_saveexec_b64 s[12:13], s[4:5]
	s_cbranch_execz .LBB123_375
; %bb.372:
	v_subrev_u32_e32 v136, 22, v0
	s_movk_i32 s14, 0x148
	s_mov_b64 s[4:5], 0
.LBB123_373:                            ; =>This Inner Loop Header: Depth=1
	buffer_load_dword v137, v134, s[0:3], 0 offen
	v_mov_b32_e32 v138, s14
	ds_read_b32 v138, v138
	v_add_u32_e32 v136, -1, v136
	s_add_i32 s14, s14, 4
	v_cmp_eq_u32_e32 vcc, 0, v136
	v_add_u32_e32 v134, 4, v134
	s_or_b64 s[4:5], vcc, s[4:5]
	s_waitcnt vmcnt(0) lgkmcnt(0)
	v_fmac_f32_e32 v135, v137, v138
	s_andn2_b64 exec, exec, s[4:5]
	s_cbranch_execnz .LBB123_373
; %bb.374:
	s_or_b64 exec, exec, s[4:5]
.LBB123_375:
	s_or_b64 exec, exec, s[12:13]
	v_mov_b32_e32 v134, 0
	ds_read_b32 v134, v134 offset:84
	s_waitcnt lgkmcnt(0)
	v_mul_f32_e32 v134, v135, v134
	buffer_store_dword v134, off, s[0:3], 0 offset:84
.LBB123_376:
	s_or_b64 exec, exec, s[10:11]
	buffer_load_dword v134, off, s[0:3], 0 offset:80
	v_cmp_lt_u32_e64 s[4:5], 20, v0
	s_waitcnt vmcnt(0)
	ds_write_b32 v122, v134
	s_waitcnt lgkmcnt(0)
	; wave barrier
	s_waitcnt lgkmcnt(0)
	s_and_saveexec_b64 s[10:11], s[4:5]
	s_cbranch_execz .LBB123_386
; %bb.377:
	s_andn2_b64 vcc, exec, s[8:9]
	s_cbranch_vccnz .LBB123_379
; %bb.378:
	buffer_load_dword v134, v123, s[0:3], 0 offen
	ds_read_b32 v135, v122
	s_waitcnt vmcnt(0) lgkmcnt(0)
	v_mul_f32_e32 v134, v134, v135
	s_cbranch_execz .LBB123_380
	s_branch .LBB123_381
.LBB123_379:
                                        ; implicit-def: $vgpr134
.LBB123_380:
	ds_read_b32 v134, v122
.LBB123_381:
	s_and_saveexec_b64 s[12:13], s[6:7]
	s_cbranch_execz .LBB123_385
; %bb.382:
	v_mov_b32_e32 v135, 0
	v_add_u32_e32 v135, 0x54, v135
	v_subrev_u32_e32 v136, 21, v0
	s_movk_i32 s14, 0x144
	s_mov_b64 s[6:7], 0
.LBB123_383:                            ; =>This Inner Loop Header: Depth=1
	buffer_load_dword v137, v135, s[0:3], 0 offen
	v_mov_b32_e32 v138, s14
	ds_read_b32 v138, v138
	v_add_u32_e32 v136, -1, v136
	s_add_i32 s14, s14, 4
	v_cmp_eq_u32_e32 vcc, 0, v136
	v_add_u32_e32 v135, 4, v135
	s_or_b64 s[6:7], vcc, s[6:7]
	s_waitcnt vmcnt(0) lgkmcnt(0)
	v_fmac_f32_e32 v134, v137, v138
	s_andn2_b64 exec, exec, s[6:7]
	s_cbranch_execnz .LBB123_383
; %bb.384:
	s_or_b64 exec, exec, s[6:7]
.LBB123_385:
	s_or_b64 exec, exec, s[12:13]
	v_mov_b32_e32 v135, 0
	ds_read_b32 v135, v135 offset:80
	s_waitcnt lgkmcnt(0)
	v_mul_f32_e32 v134, v134, v135
	buffer_store_dword v134, off, s[0:3], 0 offset:80
.LBB123_386:
	s_or_b64 exec, exec, s[10:11]
	buffer_load_dword v134, off, s[0:3], 0 offset:76
	v_cmp_lt_u32_e64 s[6:7], 19, v0
	s_waitcnt vmcnt(0)
	ds_write_b32 v122, v134
	s_waitcnt lgkmcnt(0)
	; wave barrier
	s_waitcnt lgkmcnt(0)
	s_and_saveexec_b64 s[10:11], s[6:7]
	s_cbranch_execz .LBB123_396
; %bb.387:
	s_andn2_b64 vcc, exec, s[8:9]
	s_cbranch_vccnz .LBB123_389
; %bb.388:
	buffer_load_dword v134, v123, s[0:3], 0 offen
	ds_read_b32 v135, v122
	s_waitcnt vmcnt(0) lgkmcnt(0)
	v_mul_f32_e32 v134, v134, v135
	s_cbranch_execz .LBB123_390
	s_branch .LBB123_391
.LBB123_389:
                                        ; implicit-def: $vgpr134
.LBB123_390:
	ds_read_b32 v134, v122
.LBB123_391:
	s_and_saveexec_b64 s[12:13], s[4:5]
	s_cbranch_execz .LBB123_395
; %bb.392:
	v_subrev_u32_e32 v135, 20, v0
	s_movk_i32 s14, 0x140
	s_mov_b64 s[4:5], 0
.LBB123_393:                            ; =>This Inner Loop Header: Depth=1
	buffer_load_dword v136, v133, s[0:3], 0 offen
	v_mov_b32_e32 v137, s14
	ds_read_b32 v137, v137
	v_add_u32_e32 v135, -1, v135
	s_add_i32 s14, s14, 4
	v_cmp_eq_u32_e32 vcc, 0, v135
	v_add_u32_e32 v133, 4, v133
	s_or_b64 s[4:5], vcc, s[4:5]
	s_waitcnt vmcnt(0) lgkmcnt(0)
	v_fmac_f32_e32 v134, v136, v137
	s_andn2_b64 exec, exec, s[4:5]
	s_cbranch_execnz .LBB123_393
; %bb.394:
	s_or_b64 exec, exec, s[4:5]
.LBB123_395:
	s_or_b64 exec, exec, s[12:13]
	v_mov_b32_e32 v133, 0
	ds_read_b32 v133, v133 offset:76
	s_waitcnt lgkmcnt(0)
	v_mul_f32_e32 v133, v134, v133
	buffer_store_dword v133, off, s[0:3], 0 offset:76
.LBB123_396:
	s_or_b64 exec, exec, s[10:11]
	buffer_load_dword v133, off, s[0:3], 0 offset:72
	v_cmp_lt_u32_e64 s[4:5], 18, v0
	s_waitcnt vmcnt(0)
	ds_write_b32 v122, v133
	s_waitcnt lgkmcnt(0)
	; wave barrier
	s_waitcnt lgkmcnt(0)
	s_and_saveexec_b64 s[10:11], s[4:5]
	s_cbranch_execz .LBB123_406
; %bb.397:
	s_andn2_b64 vcc, exec, s[8:9]
	s_cbranch_vccnz .LBB123_399
; %bb.398:
	buffer_load_dword v133, v123, s[0:3], 0 offen
	ds_read_b32 v134, v122
	s_waitcnt vmcnt(0) lgkmcnt(0)
	v_mul_f32_e32 v133, v133, v134
	s_cbranch_execz .LBB123_400
	s_branch .LBB123_401
.LBB123_399:
                                        ; implicit-def: $vgpr133
.LBB123_400:
	ds_read_b32 v133, v122
.LBB123_401:
	s_and_saveexec_b64 s[12:13], s[6:7]
	s_cbranch_execz .LBB123_405
; %bb.402:
	v_mov_b32_e32 v134, 0
	v_add_u32_e32 v134, 0x4c, v134
	v_subrev_u32_e32 v135, 19, v0
	s_movk_i32 s14, 0x13c
	s_mov_b64 s[6:7], 0
.LBB123_403:                            ; =>This Inner Loop Header: Depth=1
	buffer_load_dword v136, v134, s[0:3], 0 offen
	v_mov_b32_e32 v137, s14
	ds_read_b32 v137, v137
	v_add_u32_e32 v135, -1, v135
	s_add_i32 s14, s14, 4
	v_cmp_eq_u32_e32 vcc, 0, v135
	v_add_u32_e32 v134, 4, v134
	s_or_b64 s[6:7], vcc, s[6:7]
	s_waitcnt vmcnt(0) lgkmcnt(0)
	v_fmac_f32_e32 v133, v136, v137
	s_andn2_b64 exec, exec, s[6:7]
	s_cbranch_execnz .LBB123_403
; %bb.404:
	s_or_b64 exec, exec, s[6:7]
.LBB123_405:
	s_or_b64 exec, exec, s[12:13]
	v_mov_b32_e32 v134, 0
	ds_read_b32 v134, v134 offset:72
	s_waitcnt lgkmcnt(0)
	v_mul_f32_e32 v133, v133, v134
	buffer_store_dword v133, off, s[0:3], 0 offset:72
.LBB123_406:
	s_or_b64 exec, exec, s[10:11]
	buffer_load_dword v133, off, s[0:3], 0 offset:68
	v_cmp_lt_u32_e64 s[6:7], 17, v0
	s_waitcnt vmcnt(0)
	ds_write_b32 v122, v133
	s_waitcnt lgkmcnt(0)
	; wave barrier
	s_waitcnt lgkmcnt(0)
	s_and_saveexec_b64 s[10:11], s[6:7]
	s_cbranch_execz .LBB123_416
; %bb.407:
	s_andn2_b64 vcc, exec, s[8:9]
	s_cbranch_vccnz .LBB123_409
; %bb.408:
	buffer_load_dword v133, v123, s[0:3], 0 offen
	ds_read_b32 v134, v122
	s_waitcnt vmcnt(0) lgkmcnt(0)
	v_mul_f32_e32 v133, v133, v134
	s_cbranch_execz .LBB123_410
	s_branch .LBB123_411
.LBB123_409:
                                        ; implicit-def: $vgpr133
.LBB123_410:
	ds_read_b32 v133, v122
.LBB123_411:
	s_and_saveexec_b64 s[12:13], s[4:5]
	s_cbranch_execz .LBB123_415
; %bb.412:
	v_subrev_u32_e32 v134, 18, v0
	s_movk_i32 s14, 0x138
	s_mov_b64 s[4:5], 0
.LBB123_413:                            ; =>This Inner Loop Header: Depth=1
	buffer_load_dword v135, v132, s[0:3], 0 offen
	v_mov_b32_e32 v136, s14
	ds_read_b32 v136, v136
	v_add_u32_e32 v134, -1, v134
	s_add_i32 s14, s14, 4
	v_cmp_eq_u32_e32 vcc, 0, v134
	v_add_u32_e32 v132, 4, v132
	s_or_b64 s[4:5], vcc, s[4:5]
	s_waitcnt vmcnt(0) lgkmcnt(0)
	v_fmac_f32_e32 v133, v135, v136
	s_andn2_b64 exec, exec, s[4:5]
	s_cbranch_execnz .LBB123_413
; %bb.414:
	s_or_b64 exec, exec, s[4:5]
.LBB123_415:
	s_or_b64 exec, exec, s[12:13]
	v_mov_b32_e32 v132, 0
	ds_read_b32 v132, v132 offset:68
	s_waitcnt lgkmcnt(0)
	v_mul_f32_e32 v132, v133, v132
	buffer_store_dword v132, off, s[0:3], 0 offset:68
.LBB123_416:
	s_or_b64 exec, exec, s[10:11]
	buffer_load_dword v132, off, s[0:3], 0 offset:64
	v_cmp_lt_u32_e64 s[4:5], 16, v0
	s_waitcnt vmcnt(0)
	ds_write_b32 v122, v132
	s_waitcnt lgkmcnt(0)
	; wave barrier
	s_waitcnt lgkmcnt(0)
	s_and_saveexec_b64 s[10:11], s[4:5]
	s_cbranch_execz .LBB123_426
; %bb.417:
	s_andn2_b64 vcc, exec, s[8:9]
	s_cbranch_vccnz .LBB123_419
; %bb.418:
	buffer_load_dword v132, v123, s[0:3], 0 offen
	ds_read_b32 v133, v122
	s_waitcnt vmcnt(0) lgkmcnt(0)
	v_mul_f32_e32 v132, v132, v133
	s_cbranch_execz .LBB123_420
	s_branch .LBB123_421
.LBB123_419:
                                        ; implicit-def: $vgpr132
.LBB123_420:
	ds_read_b32 v132, v122
.LBB123_421:
	s_and_saveexec_b64 s[12:13], s[6:7]
	s_cbranch_execz .LBB123_425
; %bb.422:
	v_mov_b32_e32 v133, 0
	v_add_u32_e32 v133, 0x44, v133
	v_subrev_u32_e32 v134, 17, v0
	s_movk_i32 s14, 0x134
	s_mov_b64 s[6:7], 0
.LBB123_423:                            ; =>This Inner Loop Header: Depth=1
	buffer_load_dword v135, v133, s[0:3], 0 offen
	v_mov_b32_e32 v136, s14
	ds_read_b32 v136, v136
	v_add_u32_e32 v134, -1, v134
	s_add_i32 s14, s14, 4
	v_cmp_eq_u32_e32 vcc, 0, v134
	v_add_u32_e32 v133, 4, v133
	s_or_b64 s[6:7], vcc, s[6:7]
	s_waitcnt vmcnt(0) lgkmcnt(0)
	v_fmac_f32_e32 v132, v135, v136
	s_andn2_b64 exec, exec, s[6:7]
	s_cbranch_execnz .LBB123_423
; %bb.424:
	s_or_b64 exec, exec, s[6:7]
.LBB123_425:
	s_or_b64 exec, exec, s[12:13]
	v_mov_b32_e32 v133, 0
	ds_read_b32 v133, v133 offset:64
	s_waitcnt lgkmcnt(0)
	v_mul_f32_e32 v132, v132, v133
	buffer_store_dword v132, off, s[0:3], 0 offset:64
.LBB123_426:
	s_or_b64 exec, exec, s[10:11]
	buffer_load_dword v132, off, s[0:3], 0 offset:60
	v_cmp_lt_u32_e64 s[6:7], 15, v0
	s_waitcnt vmcnt(0)
	ds_write_b32 v122, v132
	s_waitcnt lgkmcnt(0)
	; wave barrier
	s_waitcnt lgkmcnt(0)
	s_and_saveexec_b64 s[10:11], s[6:7]
	s_cbranch_execz .LBB123_436
; %bb.427:
	s_andn2_b64 vcc, exec, s[8:9]
	s_cbranch_vccnz .LBB123_429
; %bb.428:
	buffer_load_dword v132, v123, s[0:3], 0 offen
	ds_read_b32 v133, v122
	s_waitcnt vmcnt(0) lgkmcnt(0)
	v_mul_f32_e32 v132, v132, v133
	s_cbranch_execz .LBB123_430
	s_branch .LBB123_431
.LBB123_429:
                                        ; implicit-def: $vgpr132
.LBB123_430:
	ds_read_b32 v132, v122
.LBB123_431:
	s_and_saveexec_b64 s[12:13], s[4:5]
	s_cbranch_execz .LBB123_435
; %bb.432:
	v_add_u32_e32 v133, -16, v0
	s_movk_i32 s14, 0x130
	s_mov_b64 s[4:5], 0
.LBB123_433:                            ; =>This Inner Loop Header: Depth=1
	buffer_load_dword v134, v131, s[0:3], 0 offen
	v_mov_b32_e32 v135, s14
	ds_read_b32 v135, v135
	v_add_u32_e32 v133, -1, v133
	s_add_i32 s14, s14, 4
	v_cmp_eq_u32_e32 vcc, 0, v133
	v_add_u32_e32 v131, 4, v131
	s_or_b64 s[4:5], vcc, s[4:5]
	s_waitcnt vmcnt(0) lgkmcnt(0)
	v_fmac_f32_e32 v132, v134, v135
	s_andn2_b64 exec, exec, s[4:5]
	s_cbranch_execnz .LBB123_433
; %bb.434:
	s_or_b64 exec, exec, s[4:5]
.LBB123_435:
	s_or_b64 exec, exec, s[12:13]
	v_mov_b32_e32 v131, 0
	ds_read_b32 v131, v131 offset:60
	s_waitcnt lgkmcnt(0)
	v_mul_f32_e32 v131, v132, v131
	buffer_store_dword v131, off, s[0:3], 0 offset:60
.LBB123_436:
	s_or_b64 exec, exec, s[10:11]
	buffer_load_dword v131, off, s[0:3], 0 offset:56
	v_cmp_lt_u32_e64 s[4:5], 14, v0
	s_waitcnt vmcnt(0)
	ds_write_b32 v122, v131
	s_waitcnt lgkmcnt(0)
	; wave barrier
	s_waitcnt lgkmcnt(0)
	s_and_saveexec_b64 s[10:11], s[4:5]
	s_cbranch_execz .LBB123_446
; %bb.437:
	s_andn2_b64 vcc, exec, s[8:9]
	s_cbranch_vccnz .LBB123_439
; %bb.438:
	buffer_load_dword v131, v123, s[0:3], 0 offen
	ds_read_b32 v132, v122
	s_waitcnt vmcnt(0) lgkmcnt(0)
	v_mul_f32_e32 v131, v131, v132
	s_cbranch_execz .LBB123_440
	s_branch .LBB123_441
.LBB123_439:
                                        ; implicit-def: $vgpr131
.LBB123_440:
	ds_read_b32 v131, v122
.LBB123_441:
	s_and_saveexec_b64 s[12:13], s[6:7]
	s_cbranch_execz .LBB123_445
; %bb.442:
	v_mov_b32_e32 v132, 0
	v_add_u32_e32 v132, 60, v132
	v_add_u32_e32 v133, -15, v0
	s_movk_i32 s14, 0x12c
	s_mov_b64 s[6:7], 0
.LBB123_443:                            ; =>This Inner Loop Header: Depth=1
	buffer_load_dword v134, v132, s[0:3], 0 offen
	v_mov_b32_e32 v135, s14
	ds_read_b32 v135, v135
	v_add_u32_e32 v133, -1, v133
	s_add_i32 s14, s14, 4
	v_cmp_eq_u32_e32 vcc, 0, v133
	v_add_u32_e32 v132, 4, v132
	s_or_b64 s[6:7], vcc, s[6:7]
	s_waitcnt vmcnt(0) lgkmcnt(0)
	v_fmac_f32_e32 v131, v134, v135
	s_andn2_b64 exec, exec, s[6:7]
	s_cbranch_execnz .LBB123_443
; %bb.444:
	s_or_b64 exec, exec, s[6:7]
.LBB123_445:
	s_or_b64 exec, exec, s[12:13]
	v_mov_b32_e32 v132, 0
	ds_read_b32 v132, v132 offset:56
	s_waitcnt lgkmcnt(0)
	v_mul_f32_e32 v131, v131, v132
	buffer_store_dword v131, off, s[0:3], 0 offset:56
.LBB123_446:
	s_or_b64 exec, exec, s[10:11]
	buffer_load_dword v131, off, s[0:3], 0 offset:52
	v_cmp_lt_u32_e64 s[6:7], 13, v0
	s_waitcnt vmcnt(0)
	ds_write_b32 v122, v131
	s_waitcnt lgkmcnt(0)
	; wave barrier
	s_waitcnt lgkmcnt(0)
	s_and_saveexec_b64 s[10:11], s[6:7]
	s_cbranch_execz .LBB123_456
; %bb.447:
	s_andn2_b64 vcc, exec, s[8:9]
	s_cbranch_vccnz .LBB123_449
; %bb.448:
	buffer_load_dword v131, v123, s[0:3], 0 offen
	ds_read_b32 v132, v122
	s_waitcnt vmcnt(0) lgkmcnt(0)
	v_mul_f32_e32 v131, v131, v132
	s_cbranch_execz .LBB123_450
	s_branch .LBB123_451
.LBB123_449:
                                        ; implicit-def: $vgpr131
.LBB123_450:
	ds_read_b32 v131, v122
.LBB123_451:
	s_and_saveexec_b64 s[12:13], s[4:5]
	s_cbranch_execz .LBB123_455
; %bb.452:
	v_add_u32_e32 v132, -14, v0
	s_movk_i32 s14, 0x128
	s_mov_b64 s[4:5], 0
.LBB123_453:                            ; =>This Inner Loop Header: Depth=1
	buffer_load_dword v133, v130, s[0:3], 0 offen
	v_mov_b32_e32 v134, s14
	ds_read_b32 v134, v134
	v_add_u32_e32 v132, -1, v132
	s_add_i32 s14, s14, 4
	v_cmp_eq_u32_e32 vcc, 0, v132
	v_add_u32_e32 v130, 4, v130
	s_or_b64 s[4:5], vcc, s[4:5]
	s_waitcnt vmcnt(0) lgkmcnt(0)
	v_fmac_f32_e32 v131, v133, v134
	s_andn2_b64 exec, exec, s[4:5]
	s_cbranch_execnz .LBB123_453
; %bb.454:
	s_or_b64 exec, exec, s[4:5]
.LBB123_455:
	s_or_b64 exec, exec, s[12:13]
	v_mov_b32_e32 v130, 0
	ds_read_b32 v130, v130 offset:52
	s_waitcnt lgkmcnt(0)
	v_mul_f32_e32 v130, v131, v130
	buffer_store_dword v130, off, s[0:3], 0 offset:52
.LBB123_456:
	s_or_b64 exec, exec, s[10:11]
	buffer_load_dword v130, off, s[0:3], 0 offset:48
	v_cmp_lt_u32_e64 s[4:5], 12, v0
	s_waitcnt vmcnt(0)
	ds_write_b32 v122, v130
	s_waitcnt lgkmcnt(0)
	; wave barrier
	s_waitcnt lgkmcnt(0)
	s_and_saveexec_b64 s[10:11], s[4:5]
	s_cbranch_execz .LBB123_466
; %bb.457:
	s_andn2_b64 vcc, exec, s[8:9]
	s_cbranch_vccnz .LBB123_459
; %bb.458:
	buffer_load_dword v130, v123, s[0:3], 0 offen
	ds_read_b32 v131, v122
	s_waitcnt vmcnt(0) lgkmcnt(0)
	v_mul_f32_e32 v130, v130, v131
	s_cbranch_execz .LBB123_460
	s_branch .LBB123_461
.LBB123_459:
                                        ; implicit-def: $vgpr130
.LBB123_460:
	ds_read_b32 v130, v122
.LBB123_461:
	s_and_saveexec_b64 s[12:13], s[6:7]
	s_cbranch_execz .LBB123_465
; %bb.462:
	v_mov_b32_e32 v131, 0
	v_add_u32_e32 v131, 52, v131
	v_add_u32_e32 v132, -13, v0
	s_movk_i32 s14, 0x124
	s_mov_b64 s[6:7], 0
.LBB123_463:                            ; =>This Inner Loop Header: Depth=1
	buffer_load_dword v133, v131, s[0:3], 0 offen
	v_mov_b32_e32 v134, s14
	ds_read_b32 v134, v134
	v_add_u32_e32 v132, -1, v132
	s_add_i32 s14, s14, 4
	v_cmp_eq_u32_e32 vcc, 0, v132
	v_add_u32_e32 v131, 4, v131
	s_or_b64 s[6:7], vcc, s[6:7]
	s_waitcnt vmcnt(0) lgkmcnt(0)
	v_fmac_f32_e32 v130, v133, v134
	s_andn2_b64 exec, exec, s[6:7]
	s_cbranch_execnz .LBB123_463
; %bb.464:
	s_or_b64 exec, exec, s[6:7]
.LBB123_465:
	s_or_b64 exec, exec, s[12:13]
	v_mov_b32_e32 v131, 0
	ds_read_b32 v131, v131 offset:48
	s_waitcnt lgkmcnt(0)
	v_mul_f32_e32 v130, v130, v131
	buffer_store_dword v130, off, s[0:3], 0 offset:48
.LBB123_466:
	s_or_b64 exec, exec, s[10:11]
	buffer_load_dword v130, off, s[0:3], 0 offset:44
	v_cmp_lt_u32_e64 s[6:7], 11, v0
	s_waitcnt vmcnt(0)
	ds_write_b32 v122, v130
	s_waitcnt lgkmcnt(0)
	; wave barrier
	s_waitcnt lgkmcnt(0)
	s_and_saveexec_b64 s[10:11], s[6:7]
	s_cbranch_execz .LBB123_476
; %bb.467:
	s_andn2_b64 vcc, exec, s[8:9]
	s_cbranch_vccnz .LBB123_469
; %bb.468:
	buffer_load_dword v130, v123, s[0:3], 0 offen
	ds_read_b32 v131, v122
	s_waitcnt vmcnt(0) lgkmcnt(0)
	v_mul_f32_e32 v130, v130, v131
	s_cbranch_execz .LBB123_470
	s_branch .LBB123_471
.LBB123_469:
                                        ; implicit-def: $vgpr130
.LBB123_470:
	ds_read_b32 v130, v122
.LBB123_471:
	s_and_saveexec_b64 s[12:13], s[4:5]
	s_cbranch_execz .LBB123_475
; %bb.472:
	v_add_u32_e32 v131, -12, v0
	s_movk_i32 s14, 0x120
	s_mov_b64 s[4:5], 0
.LBB123_473:                            ; =>This Inner Loop Header: Depth=1
	buffer_load_dword v132, v129, s[0:3], 0 offen
	v_mov_b32_e32 v133, s14
	ds_read_b32 v133, v133
	v_add_u32_e32 v131, -1, v131
	s_add_i32 s14, s14, 4
	v_cmp_eq_u32_e32 vcc, 0, v131
	v_add_u32_e32 v129, 4, v129
	s_or_b64 s[4:5], vcc, s[4:5]
	s_waitcnt vmcnt(0) lgkmcnt(0)
	v_fmac_f32_e32 v130, v132, v133
	s_andn2_b64 exec, exec, s[4:5]
	s_cbranch_execnz .LBB123_473
; %bb.474:
	s_or_b64 exec, exec, s[4:5]
.LBB123_475:
	s_or_b64 exec, exec, s[12:13]
	v_mov_b32_e32 v129, 0
	ds_read_b32 v129, v129 offset:44
	s_waitcnt lgkmcnt(0)
	v_mul_f32_e32 v129, v130, v129
	buffer_store_dword v129, off, s[0:3], 0 offset:44
.LBB123_476:
	s_or_b64 exec, exec, s[10:11]
	buffer_load_dword v129, off, s[0:3], 0 offset:40
	v_cmp_lt_u32_e64 s[4:5], 10, v0
	s_waitcnt vmcnt(0)
	ds_write_b32 v122, v129
	s_waitcnt lgkmcnt(0)
	; wave barrier
	s_waitcnt lgkmcnt(0)
	s_and_saveexec_b64 s[10:11], s[4:5]
	s_cbranch_execz .LBB123_486
; %bb.477:
	s_andn2_b64 vcc, exec, s[8:9]
	s_cbranch_vccnz .LBB123_479
; %bb.478:
	buffer_load_dword v129, v123, s[0:3], 0 offen
	ds_read_b32 v130, v122
	s_waitcnt vmcnt(0) lgkmcnt(0)
	v_mul_f32_e32 v129, v129, v130
	s_cbranch_execz .LBB123_480
	s_branch .LBB123_481
.LBB123_479:
                                        ; implicit-def: $vgpr129
.LBB123_480:
	ds_read_b32 v129, v122
.LBB123_481:
	s_and_saveexec_b64 s[12:13], s[6:7]
	s_cbranch_execz .LBB123_485
; %bb.482:
	v_mov_b32_e32 v130, 0
	v_add_u32_e32 v130, 44, v130
	v_add_u32_e32 v131, -11, v0
	s_movk_i32 s14, 0x11c
	s_mov_b64 s[6:7], 0
.LBB123_483:                            ; =>This Inner Loop Header: Depth=1
	buffer_load_dword v132, v130, s[0:3], 0 offen
	v_mov_b32_e32 v133, s14
	ds_read_b32 v133, v133
	v_add_u32_e32 v131, -1, v131
	s_add_i32 s14, s14, 4
	v_cmp_eq_u32_e32 vcc, 0, v131
	v_add_u32_e32 v130, 4, v130
	s_or_b64 s[6:7], vcc, s[6:7]
	s_waitcnt vmcnt(0) lgkmcnt(0)
	v_fmac_f32_e32 v129, v132, v133
	s_andn2_b64 exec, exec, s[6:7]
	s_cbranch_execnz .LBB123_483
; %bb.484:
	s_or_b64 exec, exec, s[6:7]
.LBB123_485:
	s_or_b64 exec, exec, s[12:13]
	v_mov_b32_e32 v130, 0
	ds_read_b32 v130, v130 offset:40
	s_waitcnt lgkmcnt(0)
	v_mul_f32_e32 v129, v129, v130
	buffer_store_dword v129, off, s[0:3], 0 offset:40
.LBB123_486:
	s_or_b64 exec, exec, s[10:11]
	buffer_load_dword v129, off, s[0:3], 0 offset:36
	v_cmp_lt_u32_e64 s[6:7], 9, v0
	s_waitcnt vmcnt(0)
	ds_write_b32 v122, v129
	s_waitcnt lgkmcnt(0)
	; wave barrier
	s_waitcnt lgkmcnt(0)
	s_and_saveexec_b64 s[10:11], s[6:7]
	s_cbranch_execz .LBB123_496
; %bb.487:
	s_andn2_b64 vcc, exec, s[8:9]
	s_cbranch_vccnz .LBB123_489
; %bb.488:
	buffer_load_dword v129, v123, s[0:3], 0 offen
	ds_read_b32 v130, v122
	s_waitcnt vmcnt(0) lgkmcnt(0)
	v_mul_f32_e32 v129, v129, v130
	s_cbranch_execz .LBB123_490
	s_branch .LBB123_491
.LBB123_489:
                                        ; implicit-def: $vgpr129
.LBB123_490:
	ds_read_b32 v129, v122
.LBB123_491:
	s_and_saveexec_b64 s[12:13], s[4:5]
	s_cbranch_execz .LBB123_495
; %bb.492:
	v_add_u32_e32 v130, -10, v0
	s_movk_i32 s14, 0x118
	s_mov_b64 s[4:5], 0
.LBB123_493:                            ; =>This Inner Loop Header: Depth=1
	buffer_load_dword v131, v128, s[0:3], 0 offen
	v_mov_b32_e32 v132, s14
	ds_read_b32 v132, v132
	v_add_u32_e32 v130, -1, v130
	s_add_i32 s14, s14, 4
	v_cmp_eq_u32_e32 vcc, 0, v130
	v_add_u32_e32 v128, 4, v128
	s_or_b64 s[4:5], vcc, s[4:5]
	s_waitcnt vmcnt(0) lgkmcnt(0)
	v_fmac_f32_e32 v129, v131, v132
	s_andn2_b64 exec, exec, s[4:5]
	s_cbranch_execnz .LBB123_493
; %bb.494:
	s_or_b64 exec, exec, s[4:5]
.LBB123_495:
	s_or_b64 exec, exec, s[12:13]
	v_mov_b32_e32 v128, 0
	ds_read_b32 v128, v128 offset:36
	s_waitcnt lgkmcnt(0)
	v_mul_f32_e32 v128, v129, v128
	buffer_store_dword v128, off, s[0:3], 0 offset:36
.LBB123_496:
	s_or_b64 exec, exec, s[10:11]
	buffer_load_dword v128, off, s[0:3], 0 offset:32
	v_cmp_lt_u32_e64 s[4:5], 8, v0
	s_waitcnt vmcnt(0)
	ds_write_b32 v122, v128
	s_waitcnt lgkmcnt(0)
	; wave barrier
	s_waitcnt lgkmcnt(0)
	s_and_saveexec_b64 s[10:11], s[4:5]
	s_cbranch_execz .LBB123_506
; %bb.497:
	s_andn2_b64 vcc, exec, s[8:9]
	s_cbranch_vccnz .LBB123_499
; %bb.498:
	buffer_load_dword v128, v123, s[0:3], 0 offen
	ds_read_b32 v129, v122
	s_waitcnt vmcnt(0) lgkmcnt(0)
	v_mul_f32_e32 v128, v128, v129
	s_cbranch_execz .LBB123_500
	s_branch .LBB123_501
.LBB123_499:
                                        ; implicit-def: $vgpr128
.LBB123_500:
	ds_read_b32 v128, v122
.LBB123_501:
	s_and_saveexec_b64 s[12:13], s[6:7]
	s_cbranch_execz .LBB123_505
; %bb.502:
	v_mov_b32_e32 v129, 0
	v_add_u32_e32 v129, 36, v129
	v_add_u32_e32 v130, -9, v0
	s_movk_i32 s14, 0x114
	s_mov_b64 s[6:7], 0
.LBB123_503:                            ; =>This Inner Loop Header: Depth=1
	buffer_load_dword v131, v129, s[0:3], 0 offen
	v_mov_b32_e32 v132, s14
	ds_read_b32 v132, v132
	v_add_u32_e32 v130, -1, v130
	s_add_i32 s14, s14, 4
	v_cmp_eq_u32_e32 vcc, 0, v130
	v_add_u32_e32 v129, 4, v129
	s_or_b64 s[6:7], vcc, s[6:7]
	s_waitcnt vmcnt(0) lgkmcnt(0)
	v_fmac_f32_e32 v128, v131, v132
	s_andn2_b64 exec, exec, s[6:7]
	s_cbranch_execnz .LBB123_503
; %bb.504:
	s_or_b64 exec, exec, s[6:7]
.LBB123_505:
	s_or_b64 exec, exec, s[12:13]
	v_mov_b32_e32 v129, 0
	ds_read_b32 v129, v129 offset:32
	s_waitcnt lgkmcnt(0)
	v_mul_f32_e32 v128, v128, v129
	buffer_store_dword v128, off, s[0:3], 0 offset:32
.LBB123_506:
	s_or_b64 exec, exec, s[10:11]
	buffer_load_dword v128, off, s[0:3], 0 offset:28
	v_cmp_lt_u32_e64 s[6:7], 7, v0
	s_waitcnt vmcnt(0)
	ds_write_b32 v122, v128
	s_waitcnt lgkmcnt(0)
	; wave barrier
	s_waitcnt lgkmcnt(0)
	s_and_saveexec_b64 s[10:11], s[6:7]
	s_cbranch_execz .LBB123_516
; %bb.507:
	s_andn2_b64 vcc, exec, s[8:9]
	s_cbranch_vccnz .LBB123_509
; %bb.508:
	buffer_load_dword v128, v123, s[0:3], 0 offen
	ds_read_b32 v129, v122
	s_waitcnt vmcnt(0) lgkmcnt(0)
	v_mul_f32_e32 v128, v128, v129
	s_cbranch_execz .LBB123_510
	s_branch .LBB123_511
.LBB123_509:
                                        ; implicit-def: $vgpr128
.LBB123_510:
	ds_read_b32 v128, v122
.LBB123_511:
	s_and_saveexec_b64 s[12:13], s[4:5]
	s_cbranch_execz .LBB123_515
; %bb.512:
	v_add_u32_e32 v129, -8, v0
	s_movk_i32 s14, 0x110
	s_mov_b64 s[4:5], 0
.LBB123_513:                            ; =>This Inner Loop Header: Depth=1
	buffer_load_dword v130, v127, s[0:3], 0 offen
	v_mov_b32_e32 v131, s14
	ds_read_b32 v131, v131
	v_add_u32_e32 v129, -1, v129
	s_add_i32 s14, s14, 4
	v_cmp_eq_u32_e32 vcc, 0, v129
	v_add_u32_e32 v127, 4, v127
	s_or_b64 s[4:5], vcc, s[4:5]
	s_waitcnt vmcnt(0) lgkmcnt(0)
	v_fmac_f32_e32 v128, v130, v131
	s_andn2_b64 exec, exec, s[4:5]
	s_cbranch_execnz .LBB123_513
; %bb.514:
	s_or_b64 exec, exec, s[4:5]
.LBB123_515:
	s_or_b64 exec, exec, s[12:13]
	v_mov_b32_e32 v127, 0
	ds_read_b32 v127, v127 offset:28
	s_waitcnt lgkmcnt(0)
	v_mul_f32_e32 v127, v128, v127
	buffer_store_dword v127, off, s[0:3], 0 offset:28
.LBB123_516:
	s_or_b64 exec, exec, s[10:11]
	buffer_load_dword v127, off, s[0:3], 0 offset:24
	v_cmp_lt_u32_e64 s[4:5], 6, v0
	s_waitcnt vmcnt(0)
	ds_write_b32 v122, v127
	s_waitcnt lgkmcnt(0)
	; wave barrier
	s_waitcnt lgkmcnt(0)
	s_and_saveexec_b64 s[10:11], s[4:5]
	s_cbranch_execz .LBB123_526
; %bb.517:
	s_andn2_b64 vcc, exec, s[8:9]
	s_cbranch_vccnz .LBB123_519
; %bb.518:
	buffer_load_dword v127, v123, s[0:3], 0 offen
	ds_read_b32 v128, v122
	s_waitcnt vmcnt(0) lgkmcnt(0)
	v_mul_f32_e32 v127, v127, v128
	s_cbranch_execz .LBB123_520
	s_branch .LBB123_521
.LBB123_519:
                                        ; implicit-def: $vgpr127
.LBB123_520:
	ds_read_b32 v127, v122
.LBB123_521:
	s_and_saveexec_b64 s[12:13], s[6:7]
	s_cbranch_execz .LBB123_525
; %bb.522:
	v_mov_b32_e32 v128, 0
	v_add_u32_e32 v128, 28, v128
	v_add_u32_e32 v129, -7, v0
	s_movk_i32 s14, 0x10c
	s_mov_b64 s[6:7], 0
.LBB123_523:                            ; =>This Inner Loop Header: Depth=1
	buffer_load_dword v130, v128, s[0:3], 0 offen
	v_mov_b32_e32 v131, s14
	ds_read_b32 v131, v131
	v_add_u32_e32 v129, -1, v129
	s_add_i32 s14, s14, 4
	v_cmp_eq_u32_e32 vcc, 0, v129
	v_add_u32_e32 v128, 4, v128
	s_or_b64 s[6:7], vcc, s[6:7]
	s_waitcnt vmcnt(0) lgkmcnt(0)
	v_fmac_f32_e32 v127, v130, v131
	s_andn2_b64 exec, exec, s[6:7]
	s_cbranch_execnz .LBB123_523
; %bb.524:
	s_or_b64 exec, exec, s[6:7]
.LBB123_525:
	s_or_b64 exec, exec, s[12:13]
	v_mov_b32_e32 v128, 0
	ds_read_b32 v128, v128 offset:24
	s_waitcnt lgkmcnt(0)
	v_mul_f32_e32 v127, v127, v128
	buffer_store_dword v127, off, s[0:3], 0 offset:24
.LBB123_526:
	s_or_b64 exec, exec, s[10:11]
	buffer_load_dword v127, off, s[0:3], 0 offset:20
	v_cmp_lt_u32_e64 s[6:7], 5, v0
	s_waitcnt vmcnt(0)
	ds_write_b32 v122, v127
	s_waitcnt lgkmcnt(0)
	; wave barrier
	s_waitcnt lgkmcnt(0)
	s_and_saveexec_b64 s[10:11], s[6:7]
	s_cbranch_execz .LBB123_536
; %bb.527:
	s_andn2_b64 vcc, exec, s[8:9]
	s_cbranch_vccnz .LBB123_529
; %bb.528:
	buffer_load_dword v127, v123, s[0:3], 0 offen
	ds_read_b32 v128, v122
	s_waitcnt vmcnt(0) lgkmcnt(0)
	v_mul_f32_e32 v127, v127, v128
	s_cbranch_execz .LBB123_530
	s_branch .LBB123_531
.LBB123_529:
                                        ; implicit-def: $vgpr127
.LBB123_530:
	ds_read_b32 v127, v122
.LBB123_531:
	s_and_saveexec_b64 s[12:13], s[4:5]
	s_cbranch_execz .LBB123_535
; %bb.532:
	v_add_u32_e32 v128, -6, v0
	s_movk_i32 s14, 0x108
	s_mov_b64 s[4:5], 0
.LBB123_533:                            ; =>This Inner Loop Header: Depth=1
	buffer_load_dword v129, v126, s[0:3], 0 offen
	v_mov_b32_e32 v130, s14
	ds_read_b32 v130, v130
	v_add_u32_e32 v128, -1, v128
	s_add_i32 s14, s14, 4
	v_cmp_eq_u32_e32 vcc, 0, v128
	v_add_u32_e32 v126, 4, v126
	s_or_b64 s[4:5], vcc, s[4:5]
	s_waitcnt vmcnt(0) lgkmcnt(0)
	v_fmac_f32_e32 v127, v129, v130
	s_andn2_b64 exec, exec, s[4:5]
	s_cbranch_execnz .LBB123_533
; %bb.534:
	s_or_b64 exec, exec, s[4:5]
.LBB123_535:
	s_or_b64 exec, exec, s[12:13]
	v_mov_b32_e32 v126, 0
	ds_read_b32 v126, v126 offset:20
	s_waitcnt lgkmcnt(0)
	v_mul_f32_e32 v126, v127, v126
	buffer_store_dword v126, off, s[0:3], 0 offset:20
.LBB123_536:
	s_or_b64 exec, exec, s[10:11]
	buffer_load_dword v126, off, s[0:3], 0 offset:16
	v_cmp_lt_u32_e64 s[4:5], 4, v0
	s_waitcnt vmcnt(0)
	ds_write_b32 v122, v126
	s_waitcnt lgkmcnt(0)
	; wave barrier
	s_waitcnt lgkmcnt(0)
	s_and_saveexec_b64 s[10:11], s[4:5]
	s_cbranch_execz .LBB123_546
; %bb.537:
	s_andn2_b64 vcc, exec, s[8:9]
	s_cbranch_vccnz .LBB123_539
; %bb.538:
	buffer_load_dword v126, v123, s[0:3], 0 offen
	ds_read_b32 v127, v122
	s_waitcnt vmcnt(0) lgkmcnt(0)
	v_mul_f32_e32 v126, v126, v127
	s_cbranch_execz .LBB123_540
	s_branch .LBB123_541
.LBB123_539:
                                        ; implicit-def: $vgpr126
.LBB123_540:
	ds_read_b32 v126, v122
.LBB123_541:
	s_and_saveexec_b64 s[12:13], s[6:7]
	s_cbranch_execz .LBB123_545
; %bb.542:
	v_mov_b32_e32 v127, 0
	v_add_u32_e32 v127, 20, v127
	v_add_u32_e32 v128, -5, v0
	s_movk_i32 s14, 0x104
	s_mov_b64 s[6:7], 0
.LBB123_543:                            ; =>This Inner Loop Header: Depth=1
	buffer_load_dword v129, v127, s[0:3], 0 offen
	v_mov_b32_e32 v130, s14
	ds_read_b32 v130, v130
	v_add_u32_e32 v128, -1, v128
	s_add_i32 s14, s14, 4
	v_cmp_eq_u32_e32 vcc, 0, v128
	v_add_u32_e32 v127, 4, v127
	s_or_b64 s[6:7], vcc, s[6:7]
	s_waitcnt vmcnt(0) lgkmcnt(0)
	v_fmac_f32_e32 v126, v129, v130
	s_andn2_b64 exec, exec, s[6:7]
	s_cbranch_execnz .LBB123_543
; %bb.544:
	s_or_b64 exec, exec, s[6:7]
.LBB123_545:
	s_or_b64 exec, exec, s[12:13]
	v_mov_b32_e32 v127, 0
	ds_read_b32 v127, v127 offset:16
	s_waitcnt lgkmcnt(0)
	v_mul_f32_e32 v126, v126, v127
	buffer_store_dword v126, off, s[0:3], 0 offset:16
.LBB123_546:
	s_or_b64 exec, exec, s[10:11]
	buffer_load_dword v126, off, s[0:3], 0 offset:12
	v_cmp_lt_u32_e64 s[6:7], 3, v0
	s_waitcnt vmcnt(0)
	ds_write_b32 v122, v126
	s_waitcnt lgkmcnt(0)
	; wave barrier
	s_waitcnt lgkmcnt(0)
	s_and_saveexec_b64 s[10:11], s[6:7]
	s_cbranch_execz .LBB123_556
; %bb.547:
	s_andn2_b64 vcc, exec, s[8:9]
	s_cbranch_vccnz .LBB123_549
; %bb.548:
	buffer_load_dword v126, v123, s[0:3], 0 offen
	ds_read_b32 v127, v122
	s_waitcnt vmcnt(0) lgkmcnt(0)
	v_mul_f32_e32 v126, v126, v127
	s_cbranch_execz .LBB123_550
	s_branch .LBB123_551
.LBB123_549:
                                        ; implicit-def: $vgpr126
.LBB123_550:
	ds_read_b32 v126, v122
.LBB123_551:
	s_and_saveexec_b64 s[12:13], s[4:5]
	s_cbranch_execz .LBB123_555
; %bb.552:
	v_add_u32_e32 v127, -4, v0
	s_movk_i32 s14, 0x100
	s_mov_b64 s[4:5], 0
.LBB123_553:                            ; =>This Inner Loop Header: Depth=1
	buffer_load_dword v128, v125, s[0:3], 0 offen
	v_mov_b32_e32 v129, s14
	ds_read_b32 v129, v129
	v_add_u32_e32 v127, -1, v127
	s_add_i32 s14, s14, 4
	v_cmp_eq_u32_e32 vcc, 0, v127
	v_add_u32_e32 v125, 4, v125
	s_or_b64 s[4:5], vcc, s[4:5]
	s_waitcnt vmcnt(0) lgkmcnt(0)
	v_fmac_f32_e32 v126, v128, v129
	s_andn2_b64 exec, exec, s[4:5]
	s_cbranch_execnz .LBB123_553
; %bb.554:
	s_or_b64 exec, exec, s[4:5]
.LBB123_555:
	s_or_b64 exec, exec, s[12:13]
	v_mov_b32_e32 v125, 0
	ds_read_b32 v125, v125 offset:12
	s_waitcnt lgkmcnt(0)
	v_mul_f32_e32 v125, v126, v125
	buffer_store_dword v125, off, s[0:3], 0 offset:12
.LBB123_556:
	s_or_b64 exec, exec, s[10:11]
	buffer_load_dword v125, off, s[0:3], 0 offset:8
	v_cmp_lt_u32_e64 s[4:5], 2, v0
	s_waitcnt vmcnt(0)
	ds_write_b32 v122, v125
	s_waitcnt lgkmcnt(0)
	; wave barrier
	s_waitcnt lgkmcnt(0)
	s_and_saveexec_b64 s[10:11], s[4:5]
	s_cbranch_execz .LBB123_566
; %bb.557:
	s_andn2_b64 vcc, exec, s[8:9]
	s_cbranch_vccnz .LBB123_559
; %bb.558:
	buffer_load_dword v125, v123, s[0:3], 0 offen
	ds_read_b32 v126, v122
	s_waitcnt vmcnt(0) lgkmcnt(0)
	v_mul_f32_e32 v125, v125, v126
	s_cbranch_execz .LBB123_560
	s_branch .LBB123_561
.LBB123_559:
                                        ; implicit-def: $vgpr125
.LBB123_560:
	ds_read_b32 v125, v122
.LBB123_561:
	s_and_saveexec_b64 s[12:13], s[6:7]
	s_cbranch_execz .LBB123_565
; %bb.562:
	v_mov_b32_e32 v126, 0
	v_or_b32_e32 v126, 12, v126
	v_add_u32_e32 v127, -3, v0
	s_movk_i32 s14, 0xfc
	s_mov_b64 s[6:7], 0
.LBB123_563:                            ; =>This Inner Loop Header: Depth=1
	buffer_load_dword v128, v126, s[0:3], 0 offen
	v_mov_b32_e32 v129, s14
	ds_read_b32 v129, v129
	v_add_u32_e32 v127, -1, v127
	s_add_i32 s14, s14, 4
	v_cmp_eq_u32_e32 vcc, 0, v127
	v_add_u32_e32 v126, 4, v126
	s_or_b64 s[6:7], vcc, s[6:7]
	s_waitcnt vmcnt(0) lgkmcnt(0)
	v_fmac_f32_e32 v125, v128, v129
	s_andn2_b64 exec, exec, s[6:7]
	s_cbranch_execnz .LBB123_563
; %bb.564:
	s_or_b64 exec, exec, s[6:7]
.LBB123_565:
	s_or_b64 exec, exec, s[12:13]
	v_mov_b32_e32 v126, 0
	ds_read_b32 v126, v126 offset:8
	s_waitcnt lgkmcnt(0)
	v_mul_f32_e32 v125, v125, v126
	buffer_store_dword v125, off, s[0:3], 0 offset:8
.LBB123_566:
	s_or_b64 exec, exec, s[10:11]
	buffer_load_dword v125, off, s[0:3], 0 offset:4
	v_cmp_lt_u32_e64 s[6:7], 1, v0
	s_waitcnt vmcnt(0)
	ds_write_b32 v122, v125
	s_waitcnt lgkmcnt(0)
	; wave barrier
	s_waitcnt lgkmcnt(0)
	s_and_saveexec_b64 s[10:11], s[6:7]
	s_cbranch_execz .LBB123_576
; %bb.567:
	s_andn2_b64 vcc, exec, s[8:9]
	s_cbranch_vccnz .LBB123_569
; %bb.568:
	buffer_load_dword v125, v123, s[0:3], 0 offen
	ds_read_b32 v126, v122
	s_waitcnt vmcnt(0) lgkmcnt(0)
	v_mul_f32_e32 v125, v125, v126
	s_cbranch_execz .LBB123_570
	s_branch .LBB123_571
.LBB123_569:
                                        ; implicit-def: $vgpr125
.LBB123_570:
	ds_read_b32 v125, v122
.LBB123_571:
	s_and_saveexec_b64 s[12:13], s[4:5]
	s_cbranch_execz .LBB123_575
; %bb.572:
	v_add_u32_e32 v126, -2, v0
	s_movk_i32 s14, 0xf8
	s_mov_b64 s[4:5], 0
.LBB123_573:                            ; =>This Inner Loop Header: Depth=1
	buffer_load_dword v127, v124, s[0:3], 0 offen
	v_mov_b32_e32 v128, s14
	ds_read_b32 v128, v128
	v_add_u32_e32 v126, -1, v126
	s_add_i32 s14, s14, 4
	v_cmp_eq_u32_e32 vcc, 0, v126
	v_add_u32_e32 v124, 4, v124
	s_or_b64 s[4:5], vcc, s[4:5]
	s_waitcnt vmcnt(0) lgkmcnt(0)
	v_fmac_f32_e32 v125, v127, v128
	s_andn2_b64 exec, exec, s[4:5]
	s_cbranch_execnz .LBB123_573
; %bb.574:
	s_or_b64 exec, exec, s[4:5]
.LBB123_575:
	s_or_b64 exec, exec, s[12:13]
	v_mov_b32_e32 v124, 0
	ds_read_b32 v124, v124 offset:4
	s_waitcnt lgkmcnt(0)
	v_mul_f32_e32 v124, v125, v124
	buffer_store_dword v124, off, s[0:3], 0 offset:4
.LBB123_576:
	s_or_b64 exec, exec, s[10:11]
	buffer_load_dword v124, off, s[0:3], 0
	v_cmp_ne_u32_e32 vcc, 0, v0
	s_waitcnt vmcnt(0)
	ds_write_b32 v122, v124
	s_waitcnt lgkmcnt(0)
	; wave barrier
	s_waitcnt lgkmcnt(0)
	s_and_saveexec_b64 s[4:5], vcc
	s_cbranch_execz .LBB123_586
; %bb.577:
	s_andn2_b64 vcc, exec, s[8:9]
	s_cbranch_vccnz .LBB123_579
; %bb.578:
	buffer_load_dword v124, v123, s[0:3], 0 offen
	ds_read_b32 v125, v122
	s_waitcnt vmcnt(0) lgkmcnt(0)
	v_mul_f32_e32 v124, v124, v125
	s_cbranch_execz .LBB123_580
	s_branch .LBB123_581
.LBB123_579:
                                        ; implicit-def: $vgpr124
.LBB123_580:
	ds_read_b32 v124, v122
.LBB123_581:
	s_and_saveexec_b64 s[10:11], s[6:7]
	s_cbranch_execz .LBB123_585
; %bb.582:
	v_mov_b32_e32 v125, 0
	v_or_b32_e32 v125, 4, v125
	v_add_u32_e32 v126, -1, v0
	s_movk_i32 s12, 0xf4
	s_mov_b64 s[6:7], 0
.LBB123_583:                            ; =>This Inner Loop Header: Depth=1
	buffer_load_dword v127, v125, s[0:3], 0 offen
	v_mov_b32_e32 v128, s12
	ds_read_b32 v128, v128
	v_add_u32_e32 v126, -1, v126
	s_add_i32 s12, s12, 4
	v_cmp_eq_u32_e32 vcc, 0, v126
	v_add_u32_e32 v125, 4, v125
	s_or_b64 s[6:7], vcc, s[6:7]
	s_waitcnt vmcnt(0) lgkmcnt(0)
	v_fmac_f32_e32 v124, v127, v128
	s_andn2_b64 exec, exec, s[6:7]
	s_cbranch_execnz .LBB123_583
; %bb.584:
	s_or_b64 exec, exec, s[6:7]
.LBB123_585:
	s_or_b64 exec, exec, s[10:11]
	v_mov_b32_e32 v125, 0
	ds_read_b32 v125, v125
	s_waitcnt lgkmcnt(0)
	v_mul_f32_e32 v124, v124, v125
	buffer_store_dword v124, off, s[0:3], 0
.LBB123_586:
	s_or_b64 exec, exec, s[4:5]
	s_mov_b64 s[4:5], 0
.LBB123_587:
	s_and_b64 vcc, exec, s[4:5]
	s_cbranch_vccz .LBB123_1171
; %bb.588:
	buffer_load_dword v124, off, s[0:3], 0 offset:4
	v_cmp_eq_u32_e64 s[6:7], 0, v0
	s_waitcnt vmcnt(0)
	ds_write_b32 v122, v124
	s_waitcnt lgkmcnt(0)
	; wave barrier
	s_waitcnt lgkmcnt(0)
	s_and_saveexec_b64 s[4:5], s[6:7]
	s_cbranch_execz .LBB123_594
; %bb.589:
	s_and_b64 vcc, exec, s[8:9]
	s_cbranch_vccz .LBB123_591
; %bb.590:
	buffer_load_dword v124, v123, s[0:3], 0 offen
	ds_read_b32 v125, v122
	s_waitcnt vmcnt(0) lgkmcnt(0)
	v_mul_f32_e32 v124, v124, v125
	s_cbranch_execz .LBB123_592
	s_branch .LBB123_593
.LBB123_591:
                                        ; implicit-def: $vgpr124
.LBB123_592:
	ds_read_b32 v124, v122
.LBB123_593:
	v_mov_b32_e32 v125, 0
	ds_read_b32 v125, v125 offset:4
	s_waitcnt lgkmcnt(0)
	v_mul_f32_e32 v124, v124, v125
	buffer_store_dword v124, off, s[0:3], 0 offset:4
.LBB123_594:
	s_or_b64 exec, exec, s[4:5]
	buffer_load_dword v124, off, s[0:3], 0 offset:8
	v_cndmask_b32_e64 v125, 0, 1, s[8:9]
	v_cmp_gt_u32_e32 vcc, 2, v0
	v_cmp_ne_u32_e64 s[4:5], 1, v125
	s_waitcnt vmcnt(0)
	ds_write_b32 v122, v124
	s_waitcnt lgkmcnt(0)
	; wave barrier
	s_waitcnt lgkmcnt(0)
	s_and_saveexec_b64 s[8:9], vcc
	s_cbranch_execz .LBB123_602
; %bb.595:
	s_and_b64 vcc, exec, s[4:5]
	s_cbranch_vccnz .LBB123_597
; %bb.596:
	buffer_load_dword v124, v123, s[0:3], 0 offen
	ds_read_b32 v125, v122
	s_waitcnt vmcnt(0) lgkmcnt(0)
	v_mul_f32_e32 v124, v124, v125
	s_cbranch_execz .LBB123_598
	s_branch .LBB123_599
.LBB123_597:
                                        ; implicit-def: $vgpr124
.LBB123_598:
	ds_read_b32 v124, v122
.LBB123_599:
	s_and_saveexec_b64 s[10:11], s[6:7]
	s_cbranch_execz .LBB123_601
; %bb.600:
	buffer_load_dword v125, v123, s[0:3], 0 offen offset:4
	ds_read_b32 v126, v122 offset:4
	s_waitcnt vmcnt(0) lgkmcnt(0)
	v_fmac_f32_e32 v124, v125, v126
.LBB123_601:
	s_or_b64 exec, exec, s[10:11]
	v_mov_b32_e32 v125, 0
	ds_read_b32 v125, v125 offset:8
	s_waitcnt lgkmcnt(0)
	v_mul_f32_e32 v124, v124, v125
	buffer_store_dword v124, off, s[0:3], 0 offset:8
.LBB123_602:
	s_or_b64 exec, exec, s[8:9]
	buffer_load_dword v124, off, s[0:3], 0 offset:12
	v_cmp_gt_u32_e32 vcc, 3, v0
	s_waitcnt vmcnt(0)
	ds_write_b32 v122, v124
	s_waitcnt lgkmcnt(0)
	; wave barrier
	s_waitcnt lgkmcnt(0)
	s_and_saveexec_b64 s[8:9], vcc
	s_cbranch_execz .LBB123_610
; %bb.603:
	s_and_b64 vcc, exec, s[4:5]
	s_cbranch_vccnz .LBB123_605
; %bb.604:
	buffer_load_dword v124, v123, s[0:3], 0 offen
	ds_read_b32 v125, v122
	s_waitcnt vmcnt(0) lgkmcnt(0)
	v_mul_f32_e32 v124, v124, v125
	s_cbranch_execz .LBB123_606
	s_branch .LBB123_607
.LBB123_605:
                                        ; implicit-def: $vgpr124
.LBB123_606:
	ds_read_b32 v124, v122
.LBB123_607:
	v_cmp_ne_u32_e32 vcc, 2, v0
	s_and_saveexec_b64 s[10:11], vcc
	s_cbranch_execz .LBB123_609
; %bb.608:
	buffer_load_dword v125, v123, s[0:3], 0 offen offset:4
	buffer_load_dword v126, off, s[0:3], 0 offset:8
	v_mov_b32_e32 v127, 0
	ds_read_b32 v128, v122 offset:4
	ds_read_b32 v127, v127 offset:248
	s_waitcnt vmcnt(1) lgkmcnt(1)
	v_fmac_f32_e32 v124, v125, v128
	s_waitcnt vmcnt(0) lgkmcnt(0)
	v_fma_f32 v125, v126, v127, v124
	v_cndmask_b32_e64 v124, v124, v125, s[6:7]
.LBB123_609:
	s_or_b64 exec, exec, s[10:11]
	v_mov_b32_e32 v125, 0
	ds_read_b32 v125, v125 offset:12
	s_waitcnt lgkmcnt(0)
	v_mul_f32_e32 v124, v124, v125
	buffer_store_dword v124, off, s[0:3], 0 offset:12
.LBB123_610:
	s_or_b64 exec, exec, s[8:9]
	buffer_load_dword v124, off, s[0:3], 0 offset:16
	v_cmp_gt_u32_e32 vcc, 4, v0
	s_waitcnt vmcnt(0)
	ds_write_b32 v122, v124
	s_waitcnt lgkmcnt(0)
	; wave barrier
	s_waitcnt lgkmcnt(0)
	s_and_saveexec_b64 s[6:7], vcc
	s_cbranch_execz .LBB123_620
; %bb.611:
	s_and_b64 vcc, exec, s[4:5]
	s_cbranch_vccnz .LBB123_613
; %bb.612:
	buffer_load_dword v124, v123, s[0:3], 0 offen
	ds_read_b32 v125, v122
	s_waitcnt vmcnt(0) lgkmcnt(0)
	v_mul_f32_e32 v124, v124, v125
	s_cbranch_execz .LBB123_614
	s_branch .LBB123_615
.LBB123_613:
                                        ; implicit-def: $vgpr124
.LBB123_614:
	ds_read_b32 v124, v122
.LBB123_615:
	v_cmp_ne_u32_e32 vcc, 3, v0
	s_and_saveexec_b64 s[8:9], vcc
	s_cbranch_execz .LBB123_619
; %bb.616:
	v_mov_b32_e32 v126, 0
	v_add_u32_e32 v125, 0xf4, v1
	v_add3_u32 v126, v1, v126, 4
	s_mov_b64 s[10:11], 0
	v_mov_b32_e32 v127, v0
.LBB123_617:                            ; =>This Inner Loop Header: Depth=1
	buffer_load_dword v128, v126, s[0:3], 0 offen
	ds_read_b32 v129, v125
	v_add_u32_e32 v127, 1, v127
	v_cmp_lt_u32_e32 vcc, 2, v127
	v_add_u32_e32 v125, 4, v125
	v_add_u32_e32 v126, 4, v126
	s_or_b64 s[10:11], vcc, s[10:11]
	s_waitcnt vmcnt(0) lgkmcnt(0)
	v_fmac_f32_e32 v124, v128, v129
	s_andn2_b64 exec, exec, s[10:11]
	s_cbranch_execnz .LBB123_617
; %bb.618:
	s_or_b64 exec, exec, s[10:11]
.LBB123_619:
	s_or_b64 exec, exec, s[8:9]
	v_mov_b32_e32 v125, 0
	ds_read_b32 v125, v125 offset:16
	s_waitcnt lgkmcnt(0)
	v_mul_f32_e32 v124, v124, v125
	buffer_store_dword v124, off, s[0:3], 0 offset:16
.LBB123_620:
	s_or_b64 exec, exec, s[6:7]
	buffer_load_dword v124, off, s[0:3], 0 offset:20
	v_cmp_gt_u32_e32 vcc, 5, v0
	s_waitcnt vmcnt(0)
	ds_write_b32 v122, v124
	s_waitcnt lgkmcnt(0)
	; wave barrier
	s_waitcnt lgkmcnt(0)
	s_and_saveexec_b64 s[6:7], vcc
	s_cbranch_execz .LBB123_630
; %bb.621:
	s_and_b64 vcc, exec, s[4:5]
	s_cbranch_vccnz .LBB123_623
; %bb.622:
	buffer_load_dword v124, v123, s[0:3], 0 offen
	ds_read_b32 v125, v122
	s_waitcnt vmcnt(0) lgkmcnt(0)
	v_mul_f32_e32 v124, v124, v125
	s_cbranch_execz .LBB123_624
	s_branch .LBB123_625
.LBB123_623:
                                        ; implicit-def: $vgpr124
.LBB123_624:
	ds_read_b32 v124, v122
.LBB123_625:
	v_cmp_ne_u32_e32 vcc, 4, v0
	s_and_saveexec_b64 s[8:9], vcc
	s_cbranch_execz .LBB123_629
; %bb.626:
	v_mov_b32_e32 v126, 0
	v_add_u32_e32 v125, 0xf4, v1
	v_add3_u32 v126, v1, v126, 4
	s_mov_b64 s[10:11], 0
	v_mov_b32_e32 v127, v0
.LBB123_627:                            ; =>This Inner Loop Header: Depth=1
	buffer_load_dword v128, v126, s[0:3], 0 offen
	ds_read_b32 v129, v125
	v_add_u32_e32 v127, 1, v127
	v_cmp_lt_u32_e32 vcc, 3, v127
	v_add_u32_e32 v125, 4, v125
	v_add_u32_e32 v126, 4, v126
	s_or_b64 s[10:11], vcc, s[10:11]
	s_waitcnt vmcnt(0) lgkmcnt(0)
	v_fmac_f32_e32 v124, v128, v129
	s_andn2_b64 exec, exec, s[10:11]
	s_cbranch_execnz .LBB123_627
; %bb.628:
	s_or_b64 exec, exec, s[10:11]
.LBB123_629:
	s_or_b64 exec, exec, s[8:9]
	v_mov_b32_e32 v125, 0
	ds_read_b32 v125, v125 offset:20
	s_waitcnt lgkmcnt(0)
	v_mul_f32_e32 v124, v124, v125
	buffer_store_dword v124, off, s[0:3], 0 offset:20
.LBB123_630:
	;; [unrolled: 56-line block ×39, first 2 shown]
	s_or_b64 exec, exec, s[6:7]
	buffer_load_dword v124, off, s[0:3], 0 offset:172
	v_cmp_gt_u32_e32 vcc, 43, v0
	s_waitcnt vmcnt(0)
	ds_write_b32 v122, v124
	s_waitcnt lgkmcnt(0)
	; wave barrier
	s_waitcnt lgkmcnt(0)
	s_and_saveexec_b64 s[6:7], vcc
	s_cbranch_execz .LBB123_1010
; %bb.1001:
	s_and_b64 vcc, exec, s[4:5]
	s_cbranch_vccnz .LBB123_1003
; %bb.1002:
	buffer_load_dword v124, v123, s[0:3], 0 offen
	ds_read_b32 v125, v122
	s_waitcnt vmcnt(0) lgkmcnt(0)
	v_mul_f32_e32 v124, v124, v125
	s_cbranch_execz .LBB123_1004
	s_branch .LBB123_1005
.LBB123_1003:
                                        ; implicit-def: $vgpr124
.LBB123_1004:
	ds_read_b32 v124, v122
.LBB123_1005:
	v_cmp_ne_u32_e32 vcc, 42, v0
	s_and_saveexec_b64 s[8:9], vcc
	s_cbranch_execz .LBB123_1009
; %bb.1006:
	v_mov_b32_e32 v126, 0
	v_add_u32_e32 v125, 0xf4, v1
	v_add3_u32 v126, v1, v126, 4
	s_mov_b64 s[10:11], 0
	v_mov_b32_e32 v127, v0
.LBB123_1007:                           ; =>This Inner Loop Header: Depth=1
	buffer_load_dword v128, v126, s[0:3], 0 offen
	ds_read_b32 v129, v125
	v_add_u32_e32 v127, 1, v127
	v_cmp_lt_u32_e32 vcc, 41, v127
	v_add_u32_e32 v125, 4, v125
	v_add_u32_e32 v126, 4, v126
	s_or_b64 s[10:11], vcc, s[10:11]
	s_waitcnt vmcnt(0) lgkmcnt(0)
	v_fmac_f32_e32 v124, v128, v129
	s_andn2_b64 exec, exec, s[10:11]
	s_cbranch_execnz .LBB123_1007
; %bb.1008:
	s_or_b64 exec, exec, s[10:11]
.LBB123_1009:
	s_or_b64 exec, exec, s[8:9]
	v_mov_b32_e32 v125, 0
	ds_read_b32 v125, v125 offset:172
	s_waitcnt lgkmcnt(0)
	v_mul_f32_e32 v124, v124, v125
	buffer_store_dword v124, off, s[0:3], 0 offset:172
.LBB123_1010:
	s_or_b64 exec, exec, s[6:7]
	buffer_load_dword v124, off, s[0:3], 0 offset:176
	v_cmp_gt_u32_e32 vcc, 44, v0
	s_waitcnt vmcnt(0)
	ds_write_b32 v122, v124
	s_waitcnt lgkmcnt(0)
	; wave barrier
	s_waitcnt lgkmcnt(0)
	s_and_saveexec_b64 s[6:7], vcc
	s_cbranch_execz .LBB123_1020
; %bb.1011:
	s_and_b64 vcc, exec, s[4:5]
	s_cbranch_vccnz .LBB123_1013
; %bb.1012:
	buffer_load_dword v124, v123, s[0:3], 0 offen
	ds_read_b32 v125, v122
	s_waitcnt vmcnt(0) lgkmcnt(0)
	v_mul_f32_e32 v124, v124, v125
	s_cbranch_execz .LBB123_1014
	s_branch .LBB123_1015
.LBB123_1013:
                                        ; implicit-def: $vgpr124
.LBB123_1014:
	ds_read_b32 v124, v122
.LBB123_1015:
	v_cmp_ne_u32_e32 vcc, 43, v0
	s_and_saveexec_b64 s[8:9], vcc
	s_cbranch_execz .LBB123_1019
; %bb.1016:
	v_mov_b32_e32 v126, 0
	v_add_u32_e32 v125, 0xf4, v1
	v_add3_u32 v126, v1, v126, 4
	s_mov_b64 s[10:11], 0
	v_mov_b32_e32 v127, v0
.LBB123_1017:                           ; =>This Inner Loop Header: Depth=1
	buffer_load_dword v128, v126, s[0:3], 0 offen
	ds_read_b32 v129, v125
	v_add_u32_e32 v127, 1, v127
	v_cmp_lt_u32_e32 vcc, 42, v127
	v_add_u32_e32 v125, 4, v125
	v_add_u32_e32 v126, 4, v126
	s_or_b64 s[10:11], vcc, s[10:11]
	s_waitcnt vmcnt(0) lgkmcnt(0)
	v_fmac_f32_e32 v124, v128, v129
	s_andn2_b64 exec, exec, s[10:11]
	s_cbranch_execnz .LBB123_1017
; %bb.1018:
	s_or_b64 exec, exec, s[10:11]
.LBB123_1019:
	s_or_b64 exec, exec, s[8:9]
	v_mov_b32_e32 v125, 0
	ds_read_b32 v125, v125 offset:176
	s_waitcnt lgkmcnt(0)
	v_mul_f32_e32 v124, v124, v125
	buffer_store_dword v124, off, s[0:3], 0 offset:176
.LBB123_1020:
	;; [unrolled: 56-line block ×15, first 2 shown]
	s_or_b64 exec, exec, s[6:7]
	buffer_load_dword v124, off, s[0:3], 0 offset:232
	v_cmp_gt_u32_e64 s[6:7], 58, v0
	s_waitcnt vmcnt(0)
	ds_write_b32 v122, v124
	s_waitcnt lgkmcnt(0)
	; wave barrier
	s_waitcnt lgkmcnt(0)
	s_and_saveexec_b64 s[8:9], s[6:7]
	s_cbranch_execz .LBB123_1160
; %bb.1151:
	s_and_b64 vcc, exec, s[4:5]
	s_cbranch_vccnz .LBB123_1153
; %bb.1152:
	buffer_load_dword v124, v123, s[0:3], 0 offen
	ds_read_b32 v125, v122
	s_waitcnt vmcnt(0) lgkmcnt(0)
	v_mul_f32_e32 v124, v124, v125
	s_cbranch_execz .LBB123_1154
	s_branch .LBB123_1155
.LBB123_1153:
                                        ; implicit-def: $vgpr124
.LBB123_1154:
	ds_read_b32 v124, v122
.LBB123_1155:
	v_cmp_ne_u32_e32 vcc, 57, v0
	s_and_saveexec_b64 s[10:11], vcc
	s_cbranch_execz .LBB123_1159
; %bb.1156:
	v_mov_b32_e32 v126, 0
	v_add_u32_e32 v125, 0xf4, v1
	v_add3_u32 v126, v1, v126, 4
	s_mov_b64 s[12:13], 0
	v_mov_b32_e32 v127, v0
.LBB123_1157:                           ; =>This Inner Loop Header: Depth=1
	buffer_load_dword v128, v126, s[0:3], 0 offen
	ds_read_b32 v129, v125
	v_add_u32_e32 v127, 1, v127
	v_cmp_lt_u32_e32 vcc, 56, v127
	v_add_u32_e32 v125, 4, v125
	v_add_u32_e32 v126, 4, v126
	s_or_b64 s[12:13], vcc, s[12:13]
	s_waitcnt vmcnt(0) lgkmcnt(0)
	v_fmac_f32_e32 v124, v128, v129
	s_andn2_b64 exec, exec, s[12:13]
	s_cbranch_execnz .LBB123_1157
; %bb.1158:
	s_or_b64 exec, exec, s[12:13]
.LBB123_1159:
	s_or_b64 exec, exec, s[10:11]
	v_mov_b32_e32 v125, 0
	ds_read_b32 v125, v125 offset:232
	s_waitcnt lgkmcnt(0)
	v_mul_f32_e32 v124, v124, v125
	buffer_store_dword v124, off, s[0:3], 0 offset:232
.LBB123_1160:
	s_or_b64 exec, exec, s[8:9]
	buffer_load_dword v124, off, s[0:3], 0 offset:236
	v_cmp_ne_u32_e32 vcc, 59, v0
	s_waitcnt vmcnt(0)
	ds_write_b32 v122, v124
	s_waitcnt lgkmcnt(0)
	; wave barrier
	s_waitcnt lgkmcnt(0)
	s_and_saveexec_b64 s[8:9], vcc
	s_cbranch_execz .LBB123_1170
; %bb.1161:
	s_and_b64 vcc, exec, s[4:5]
	s_cbranch_vccnz .LBB123_1163
; %bb.1162:
	buffer_load_dword v123, v123, s[0:3], 0 offen
	ds_read_b32 v124, v122
	s_waitcnt vmcnt(0) lgkmcnt(0)
	v_mul_f32_e32 v123, v123, v124
	s_cbranch_execz .LBB123_1164
	s_branch .LBB123_1165
.LBB123_1163:
                                        ; implicit-def: $vgpr123
.LBB123_1164:
	ds_read_b32 v123, v122
.LBB123_1165:
	s_and_saveexec_b64 s[4:5], s[6:7]
	s_cbranch_execz .LBB123_1169
; %bb.1166:
	v_mov_b32_e32 v124, 0
	v_add_u32_e32 v122, 0xf4, v1
	v_add3_u32 v1, v1, v124, 4
	s_mov_b64 s[6:7], 0
.LBB123_1167:                           ; =>This Inner Loop Header: Depth=1
	buffer_load_dword v124, v1, s[0:3], 0 offen
	ds_read_b32 v125, v122
	v_add_u32_e32 v0, 1, v0
	v_cmp_lt_u32_e32 vcc, 57, v0
	v_add_u32_e32 v122, 4, v122
	v_add_u32_e32 v1, 4, v1
	s_or_b64 s[6:7], vcc, s[6:7]
	s_waitcnt vmcnt(0) lgkmcnt(0)
	v_fmac_f32_e32 v123, v124, v125
	s_andn2_b64 exec, exec, s[6:7]
	s_cbranch_execnz .LBB123_1167
; %bb.1168:
	s_or_b64 exec, exec, s[6:7]
.LBB123_1169:
	s_or_b64 exec, exec, s[4:5]
	v_mov_b32_e32 v0, 0
	ds_read_b32 v0, v0 offset:236
	s_waitcnt lgkmcnt(0)
	v_mul_f32_e32 v0, v123, v0
	buffer_store_dword v0, off, s[0:3], 0 offset:236
.LBB123_1170:
	s_or_b64 exec, exec, s[8:9]
.LBB123_1171:
	buffer_load_dword v0, off, s[0:3], 0
	buffer_load_dword v1, off, s[0:3], 0 offset:4
	buffer_load_dword v122, off, s[0:3], 0 offset:8
	;; [unrolled: 1-line block ×39, first 2 shown]
	s_waitcnt vmcnt(39)
	global_store_dword v[2:3], v0, off
	s_waitcnt vmcnt(39)
	global_store_dword v[4:5], v1, off
	buffer_load_dword v0, off, s[0:3], 0 offset:160
	s_nop 0
	buffer_load_dword v1, off, s[0:3], 0 offset:164
	buffer_load_dword v2, off, s[0:3], 0 offset:168
	;; [unrolled: 1-line block ×7, first 2 shown]
	s_waitcnt vmcnt(47)
	global_store_dword v[6:7], v122, off
	s_waitcnt vmcnt(47)
	global_store_dword v[8:9], v123, off
	buffer_load_dword v6, off, s[0:3], 0 offset:192
	buffer_load_dword v7, off, s[0:3], 0 offset:196
	s_nop 0
	buffer_load_dword v8, off, s[0:3], 0 offset:200
	buffer_load_dword v9, off, s[0:3], 0 offset:204
	;; [unrolled: 1-line block ×6, first 2 shown]
	s_waitcnt vmcnt(55)
	global_store_dword v[10:11], v124, off
	s_waitcnt vmcnt(55)
	global_store_dword v[12:13], v125, off
	buffer_load_dword v10, off, s[0:3], 0 offset:224
	buffer_load_dword v11, off, s[0:3], 0 offset:228
	s_nop 0
	buffer_load_dword v12, off, s[0:3], 0 offset:232
	buffer_load_dword v13, off, s[0:3], 0 offset:236
	s_waitcnt vmcnt(59)
	global_store_dword v[14:15], v126, off
	s_waitcnt vmcnt(59)
	global_store_dword v[16:17], v127, off
	;; [unrolled: 2-line block ×54, first 2 shown]
.LBB123_1172:
	s_endpgm
	.section	.rodata,"a",@progbits
	.p2align	6, 0x0
	.amdhsa_kernel _ZN9rocsolver6v33100L18trti2_kernel_smallILi60EfPKPfEEv13rocblas_fill_17rocblas_diagonal_T1_iil
		.amdhsa_group_segment_fixed_size 480
		.amdhsa_private_segment_fixed_size 256
		.amdhsa_kernarg_size 32
		.amdhsa_user_sgpr_count 8
		.amdhsa_user_sgpr_private_segment_buffer 1
		.amdhsa_user_sgpr_dispatch_ptr 0
		.amdhsa_user_sgpr_queue_ptr 0
		.amdhsa_user_sgpr_kernarg_segment_ptr 1
		.amdhsa_user_sgpr_dispatch_id 0
		.amdhsa_user_sgpr_flat_scratch_init 1
		.amdhsa_user_sgpr_kernarg_preload_length 0
		.amdhsa_user_sgpr_kernarg_preload_offset 0
		.amdhsa_user_sgpr_private_segment_size 0
		.amdhsa_uses_dynamic_stack 0
		.amdhsa_system_sgpr_private_segment_wavefront_offset 1
		.amdhsa_system_sgpr_workgroup_id_x 1
		.amdhsa_system_sgpr_workgroup_id_y 0
		.amdhsa_system_sgpr_workgroup_id_z 0
		.amdhsa_system_sgpr_workgroup_info 0
		.amdhsa_system_vgpr_workitem_id 0
		.amdhsa_next_free_vgpr 165
		.amdhsa_next_free_sgpr 16
		.amdhsa_accum_offset 168
		.amdhsa_reserve_vcc 1
		.amdhsa_reserve_flat_scratch 0
		.amdhsa_float_round_mode_32 0
		.amdhsa_float_round_mode_16_64 0
		.amdhsa_float_denorm_mode_32 3
		.amdhsa_float_denorm_mode_16_64 3
		.amdhsa_dx10_clamp 1
		.amdhsa_ieee_mode 1
		.amdhsa_fp16_overflow 0
		.amdhsa_tg_split 0
		.amdhsa_exception_fp_ieee_invalid_op 0
		.amdhsa_exception_fp_denorm_src 0
		.amdhsa_exception_fp_ieee_div_zero 0
		.amdhsa_exception_fp_ieee_overflow 0
		.amdhsa_exception_fp_ieee_underflow 0
		.amdhsa_exception_fp_ieee_inexact 0
		.amdhsa_exception_int_div_zero 0
	.end_amdhsa_kernel
	.section	.text._ZN9rocsolver6v33100L18trti2_kernel_smallILi60EfPKPfEEv13rocblas_fill_17rocblas_diagonal_T1_iil,"axG",@progbits,_ZN9rocsolver6v33100L18trti2_kernel_smallILi60EfPKPfEEv13rocblas_fill_17rocblas_diagonal_T1_iil,comdat
.Lfunc_end123:
	.size	_ZN9rocsolver6v33100L18trti2_kernel_smallILi60EfPKPfEEv13rocblas_fill_17rocblas_diagonal_T1_iil, .Lfunc_end123-_ZN9rocsolver6v33100L18trti2_kernel_smallILi60EfPKPfEEv13rocblas_fill_17rocblas_diagonal_T1_iil
                                        ; -- End function
	.section	.AMDGPU.csdata,"",@progbits
; Kernel info:
; codeLenInByte = 29712
; NumSgprs: 20
; NumVgprs: 165
; NumAgprs: 0
; TotalNumVgprs: 165
; ScratchSize: 256
; MemoryBound: 0
; FloatMode: 240
; IeeeMode: 1
; LDSByteSize: 480 bytes/workgroup (compile time only)
; SGPRBlocks: 2
; VGPRBlocks: 20
; NumSGPRsForWavesPerEU: 20
; NumVGPRsForWavesPerEU: 165
; AccumOffset: 168
; Occupancy: 3
; WaveLimiterHint : 1
; COMPUTE_PGM_RSRC2:SCRATCH_EN: 1
; COMPUTE_PGM_RSRC2:USER_SGPR: 8
; COMPUTE_PGM_RSRC2:TRAP_HANDLER: 0
; COMPUTE_PGM_RSRC2:TGID_X_EN: 1
; COMPUTE_PGM_RSRC2:TGID_Y_EN: 0
; COMPUTE_PGM_RSRC2:TGID_Z_EN: 0
; COMPUTE_PGM_RSRC2:TIDIG_COMP_CNT: 0
; COMPUTE_PGM_RSRC3_GFX90A:ACCUM_OFFSET: 41
; COMPUTE_PGM_RSRC3_GFX90A:TG_SPLIT: 0
	.section	.text._ZN9rocsolver6v33100L18trti2_kernel_smallILi61EfPKPfEEv13rocblas_fill_17rocblas_diagonal_T1_iil,"axG",@progbits,_ZN9rocsolver6v33100L18trti2_kernel_smallILi61EfPKPfEEv13rocblas_fill_17rocblas_diagonal_T1_iil,comdat
	.globl	_ZN9rocsolver6v33100L18trti2_kernel_smallILi61EfPKPfEEv13rocblas_fill_17rocblas_diagonal_T1_iil ; -- Begin function _ZN9rocsolver6v33100L18trti2_kernel_smallILi61EfPKPfEEv13rocblas_fill_17rocblas_diagonal_T1_iil
	.p2align	8
	.type	_ZN9rocsolver6v33100L18trti2_kernel_smallILi61EfPKPfEEv13rocblas_fill_17rocblas_diagonal_T1_iil,@function
_ZN9rocsolver6v33100L18trti2_kernel_smallILi61EfPKPfEEv13rocblas_fill_17rocblas_diagonal_T1_iil: ; @_ZN9rocsolver6v33100L18trti2_kernel_smallILi61EfPKPfEEv13rocblas_fill_17rocblas_diagonal_T1_iil
; %bb.0:
	s_add_u32 s0, s0, s9
	s_addc_u32 s1, s1, 0
	v_cmp_gt_u32_e32 vcc, 61, v0
	s_and_saveexec_b64 s[6:7], vcc
	s_cbranch_execz .LBB124_1192
; %bb.1:
	s_load_dwordx2 s[6:7], s[4:5], 0x10
	s_load_dwordx4 s[12:15], s[4:5], 0x0
	s_ashr_i32 s9, s8, 31
	s_lshl_b64 s[4:5], s[8:9], 3
	v_lshlrev_b32_e32 v1, 2, v0
	s_waitcnt lgkmcnt(0)
	s_ashr_i32 s9, s6, 31
	s_add_u32 s4, s14, s4
	s_addc_u32 s5, s15, s5
	s_load_dwordx2 s[4:5], s[4:5], 0x0
	s_mov_b32 s8, s6
	s_lshl_b64 s[8:9], s[8:9], 2
	s_waitcnt lgkmcnt(0)
	s_add_u32 s4, s4, s8
	s_addc_u32 s5, s5, s9
	v_mov_b32_e32 v3, s5
	v_add_co_u32_e32 v2, vcc, s4, v1
	s_ashr_i32 s9, s7, 31
	s_mov_b32 s8, s7
	s_add_i32 s6, s7, s7
	v_addc_co_u32_e32 v3, vcc, 0, v3, vcc
	s_lshl_b64 s[8:9], s[8:9], 2
	v_add_u32_e32 v8, s6, v0
	v_mov_b32_e32 v5, s9
	v_add_co_u32_e32 v4, vcc, s8, v2
	v_ashrrev_i32_e32 v9, 31, v8
	v_addc_co_u32_e32 v5, vcc, v3, v5, vcc
	v_lshlrev_b64 v[6:7], 2, v[8:9]
	v_add_u32_e32 v10, s7, v8
	v_mov_b32_e32 v9, s5
	v_add_co_u32_e32 v6, vcc, s4, v6
	v_ashrrev_i32_e32 v11, 31, v10
	v_addc_co_u32_e32 v7, vcc, v9, v7, vcc
	v_lshlrev_b64 v[8:9], 2, v[10:11]
	v_mov_b32_e32 v11, s5
	v_add_co_u32_e32 v8, vcc, s4, v8
	v_add_u32_e32 v10, s7, v10
	v_addc_co_u32_e32 v9, vcc, v11, v9, vcc
	v_ashrrev_i32_e32 v11, 31, v10
	v_lshlrev_b64 v[12:13], 2, v[10:11]
	v_add_u32_e32 v14, s7, v10
	v_mov_b32_e32 v11, s5
	v_add_co_u32_e32 v12, vcc, s4, v12
	v_ashrrev_i32_e32 v15, 31, v14
	v_addc_co_u32_e32 v13, vcc, v11, v13, vcc
	v_lshlrev_b64 v[10:11], 2, v[14:15]
	v_add_u32_e32 v16, s7, v14
	v_mov_b32_e32 v15, s5
	v_add_co_u32_e32 v10, vcc, s4, v10
	v_ashrrev_i32_e32 v17, 31, v16
	v_addc_co_u32_e32 v11, vcc, v15, v11, vcc
	;; [unrolled: 6-line block ×12, first 2 shown]
	v_lshlrev_b64 v[34:35], 2, v[36:37]
	v_mov_b32_e32 v37, s5
	v_add_co_u32_e32 v34, vcc, s4, v34
	global_load_dword v45, v1, s[4:5]
	global_load_dword v47, v[4:5], off
	global_load_dword v49, v[6:7], off
	;; [unrolled: 1-line block ×8, first 2 shown]
	v_addc_co_u32_e32 v35, vcc, v37, v35, vcc
	global_load_dword v69, v[20:21], off
	global_load_dword v67, v[22:23], off
	;; [unrolled: 1-line block ×8, first 2 shown]
	v_add_u32_e32 v38, s7, v36
	v_ashrrev_i32_e32 v39, 31, v38
	v_lshlrev_b64 v[36:37], 2, v[38:39]
	v_add_u32_e32 v40, s7, v38
	v_mov_b32_e32 v39, s5
	v_add_co_u32_e32 v36, vcc, s4, v36
	v_ashrrev_i32_e32 v41, 31, v40
	v_addc_co_u32_e32 v37, vcc, v39, v37, vcc
	v_lshlrev_b64 v[38:39], 2, v[40:41]
	v_mov_b32_e32 v41, s5
	v_add_co_u32_e32 v38, vcc, s4, v38
	v_addc_co_u32_e32 v39, vcc, v41, v39, vcc
	global_load_dword v63, v[36:37], off
	global_load_dword v65, v[38:39], off
	v_add_u32_e32 v44, s7, v40
	v_add_u32_e32 v46, s7, v44
	;; [unrolled: 1-line block ×41, first 2 shown]
	v_ashrrev_i32_e32 v43, 31, v42
	v_lshlrev_b64 v[40:41], 2, v[42:43]
	v_mov_b32_e32 v43, s5
	v_add_co_u32_e32 v40, vcc, s4, v40
	v_add_u32_e32 v42, s7, v42
	v_addc_co_u32_e32 v41, vcc, v43, v41, vcc
	v_ashrrev_i32_e32 v43, 31, v42
	v_lshlrev_b64 v[42:43], 2, v[42:43]
	v_mov_b32_e32 v83, s5
	v_add_co_u32_e32 v42, vcc, s4, v42
	v_addc_co_u32_e32 v43, vcc, v83, v43, vcc
	global_load_dword v124, v[40:41], off
	global_load_dword v125, v[42:43], off
	s_waitcnt vmcnt(20)
	buffer_store_dword v45, off, s[0:3], 0
	s_waitcnt vmcnt(20)
	buffer_store_dword v47, off, s[0:3], 0 offset:4
	s_waitcnt vmcnt(20)
	buffer_store_dword v49, off, s[0:3], 0 offset:8
	;; [unrolled: 2-line block ×10, first 2 shown]
	buffer_store_dword v67, off, s[0:3], 0 offset:40
	s_waitcnt vmcnt(20)
	buffer_store_dword v71, off, s[0:3], 0 offset:48
	s_waitcnt vmcnt(20)
	;; [unrolled: 2-line block ×5, first 2 shown]
	buffer_store_dword v79, off, s[0:3], 0 offset:64
	v_ashrrev_i32_e32 v45, 31, v44
	v_lshlrev_b64 v[44:45], 2, v[44:45]
	v_mov_b32_e32 v47, s5
	v_add_co_u32_e32 v44, vcc, s4, v44
	v_addc_co_u32_e32 v45, vcc, v47, v45, vcc
	v_ashrrev_i32_e32 v47, 31, v46
	v_lshlrev_b64 v[46:47], 2, v[46:47]
	v_mov_b32_e32 v49, s5
	v_add_co_u32_e32 v46, vcc, s4, v46
	v_addc_co_u32_e32 v47, vcc, v49, v47, vcc
	v_ashrrev_i32_e32 v49, 31, v48
	v_lshlrev_b64 v[48:49], 2, v[48:49]
	v_mov_b32_e32 v51, s5
	v_add_co_u32_e32 v48, vcc, s4, v48
	v_addc_co_u32_e32 v49, vcc, v51, v49, vcc
	v_ashrrev_i32_e32 v51, 31, v50
	v_lshlrev_b64 v[50:51], 2, v[50:51]
	v_mov_b32_e32 v53, s5
	v_add_co_u32_e32 v50, vcc, s4, v50
	v_addc_co_u32_e32 v51, vcc, v53, v51, vcc
	v_ashrrev_i32_e32 v53, 31, v52
	v_lshlrev_b64 v[52:53], 2, v[52:53]
	v_mov_b32_e32 v55, s5
	v_add_co_u32_e32 v52, vcc, s4, v52
	v_addc_co_u32_e32 v53, vcc, v55, v53, vcc
	v_ashrrev_i32_e32 v55, 31, v54
	v_lshlrev_b64 v[54:55], 2, v[54:55]
	v_mov_b32_e32 v57, s5
	v_add_co_u32_e32 v54, vcc, s4, v54
	v_addc_co_u32_e32 v55, vcc, v57, v55, vcc
	v_ashrrev_i32_e32 v57, 31, v56
	v_lshlrev_b64 v[56:57], 2, v[56:57]
	v_mov_b32_e32 v59, s5
	v_add_co_u32_e32 v56, vcc, s4, v56
	v_addc_co_u32_e32 v57, vcc, v59, v57, vcc
	v_ashrrev_i32_e32 v59, 31, v58
	v_lshlrev_b64 v[58:59], 2, v[58:59]
	v_mov_b32_e32 v61, s5
	v_add_co_u32_e32 v58, vcc, s4, v58
	v_addc_co_u32_e32 v59, vcc, v61, v59, vcc
	v_ashrrev_i32_e32 v61, 31, v60
	v_lshlrev_b64 v[60:61], 2, v[60:61]
	global_load_dword v126, v[44:45], off
	global_load_dword v127, v[46:47], off
	global_load_dword v128, v[48:49], off
	global_load_dword v129, v[50:51], off
	global_load_dword v130, v[52:53], off
	global_load_dword v131, v[54:55], off
	s_waitcnt vmcnt(26)
	buffer_store_dword v63, off, s[0:3], 0 offset:68
	s_waitcnt vmcnt(26)
	buffer_store_dword v65, off, s[0:3], 0 offset:72
	v_mov_b32_e32 v63, s5
	v_add_co_u32_e32 v60, vcc, s4, v60
	v_addc_co_u32_e32 v61, vcc, v63, v61, vcc
	v_ashrrev_i32_e32 v63, 31, v62
	v_lshlrev_b64 v[62:63], 2, v[62:63]
	v_mov_b32_e32 v65, s5
	v_add_co_u32_e32 v62, vcc, s4, v62
	v_addc_co_u32_e32 v63, vcc, v65, v63, vcc
	v_ashrrev_i32_e32 v65, 31, v64
	v_lshlrev_b64 v[64:65], 2, v[64:65]
	;; [unrolled: 5-line block ×10, first 2 shown]
	v_add_co_u32_e32 v80, vcc, s4, v80
	v_addc_co_u32_e32 v81, vcc, v83, v81, vcc
	v_ashrrev_i32_e32 v83, 31, v82
	v_lshlrev_b64 v[82:83], 2, v[82:83]
	v_mov_b32_e32 v85, s5
	v_add_co_u32_e32 v82, vcc, s4, v82
	v_addc_co_u32_e32 v83, vcc, v85, v83, vcc
	v_ashrrev_i32_e32 v85, 31, v84
	v_lshlrev_b64 v[84:85], 2, v[84:85]
	v_mov_b32_e32 v87, s5
	;; [unrolled: 5-line block ×20, first 2 shown]
	v_add_co_u32_e32 v120, vcc, s4, v120
	global_load_dword v132, v[56:57], off
	global_load_dword v133, v[58:59], off
	;; [unrolled: 1-line block ×24, first 2 shown]
	v_addc_co_u32_e32 v121, vcc, v123, v121, vcc
	global_load_dword v157, v[104:105], off
	global_load_dword v158, v[106:107], off
	;; [unrolled: 1-line block ×7, first 2 shown]
	v_ashrrev_i32_e32 v123, 31, v122
	s_waitcnt vmcnt(38)
	buffer_store_dword v126, off, s[0:3], 0 offset:76
	global_load_dword v126, v[120:121], off
	s_nop 0
	global_load_dword v164, v[118:119], off
	v_lshlrev_b64 v[122:123], 2, v[122:123]
	v_mov_b32_e32 v154, s5
	v_add_co_u32_e32 v122, vcc, s4, v122
	v_addc_co_u32_e32 v123, vcc, v154, v123, vcc
	s_waitcnt vmcnt(39)
	buffer_store_dword v128, off, s[0:3], 0 offset:84
	global_load_dword v128, v[122:123], off
	s_cmpk_lg_i32 s13, 0x84
	buffer_store_dword v127, off, s[0:3], 0 offset:80
	v_mov_b32_e32 v154, 0
	s_waitcnt vmcnt(40)
	buffer_store_dword v130, off, s[0:3], 0 offset:92
	buffer_store_dword v129, off, s[0:3], 0 offset:88
	s_waitcnt vmcnt(38)
	buffer_store_dword v132, off, s[0:3], 0 offset:100
	buffer_store_dword v131, off, s[0:3], 0 offset:96
	;; [unrolled: 3-line block ×17, first 2 shown]
	s_waitcnt vmcnt(38)
	buffer_store_dword v126, off, s[0:3], 0 offset:228
	s_waitcnt vmcnt(38)
	buffer_store_dword v164, off, s[0:3], 0 offset:224
	buffer_store_dword v124, off, s[0:3], 0 offset:236
	s_waitcnt vmcnt(38)
	buffer_store_dword v128, off, s[0:3], 0 offset:232
	buffer_store_dword v125, off, s[0:3], 0 offset:240
	s_cselect_b64 s[10:11], -1, 0
	s_cmpk_eq_i32 s13, 0x84
	v_mov_b32_e32 v124, -1.0
	s_cbranch_scc1 .LBB124_3
; %bb.2:
	v_lshl_add_u32 v124, v0, 2, v154
	buffer_load_dword v125, v124, s[0:3], 0 offen
	s_waitcnt vmcnt(0)
	v_div_scale_f32 v126, s[4:5], v125, v125, 1.0
	v_rcp_f32_e32 v127, v126
	v_div_scale_f32 v128, vcc, 1.0, v125, 1.0
	v_fma_f32 v129, -v126, v127, 1.0
	v_fmac_f32_e32 v127, v129, v127
	v_mul_f32_e32 v129, v128, v127
	v_fma_f32 v130, -v126, v129, v128
	v_fmac_f32_e32 v129, v130, v127
	v_fma_f32 v126, -v126, v129, v128
	v_div_fmas_f32 v126, v126, v127, v129
	v_div_fixup_f32 v125, v126, v125, 1.0
	buffer_store_dword v125, v124, s[0:3], 0 offen
	v_xor_b32_e32 v124, 0x80000000, v125
.LBB124_3:
	ds_write_b32 v1, v124
	s_cmpk_eq_i32 s12, 0x79
	v_or_b32_e32 v124, 0x100, v1
	v_add_u32_e32 v125, 0, v1
	s_mov_b64 s[4:5], -1
	s_cbranch_scc1 .LBB124_597
; %bb.4:
	buffer_load_dword v126, off, s[0:3], 0 offset:236
	v_cmp_eq_u32_e64 s[4:5], 60, v0
	s_waitcnt vmcnt(0)
	ds_write_b32 v124, v126
	s_waitcnt lgkmcnt(0)
	; wave barrier
	s_waitcnt lgkmcnt(0)
	s_and_saveexec_b64 s[6:7], s[4:5]
	s_cbranch_execz .LBB124_10
; %bb.5:
	s_and_b64 vcc, exec, s[10:11]
	s_cbranch_vccz .LBB124_7
; %bb.6:
	buffer_load_dword v126, v125, s[0:3], 0 offen
	ds_read_b32 v127, v124
	s_waitcnt vmcnt(0) lgkmcnt(0)
	v_mul_f32_e32 v126, v126, v127
	s_cbranch_execz .LBB124_8
	s_branch .LBB124_9
.LBB124_7:
                                        ; implicit-def: $vgpr126
.LBB124_8:
	ds_read_b32 v126, v124
.LBB124_9:
	v_mov_b32_e32 v127, 0
	ds_read_b32 v127, v127 offset:236
	s_waitcnt lgkmcnt(0)
	v_mul_f32_e32 v126, v126, v127
	buffer_store_dword v126, off, s[0:3], 0 offset:236
.LBB124_10:
	s_or_b64 exec, exec, s[6:7]
	buffer_load_dword v155, off, s[0:3], 0 offset:232
	v_or_b32_e32 v126, 8, v154
	v_add_u32_e32 v127, 16, v154
	v_add_u32_e32 v128, 24, v154
	;; [unrolled: 1-line block ×28, first 2 shown]
	v_cmp_lt_u32_e64 s[8:9], 58, v0
	s_waitcnt vmcnt(0)
	ds_write_b32 v124, v155
	s_waitcnt lgkmcnt(0)
	; wave barrier
	s_waitcnt lgkmcnt(0)
	s_and_saveexec_b64 s[6:7], s[8:9]
	s_cbranch_execz .LBB124_16
; %bb.11:
	s_andn2_b64 vcc, exec, s[10:11]
	s_cbranch_vccnz .LBB124_13
; %bb.12:
	buffer_load_dword v155, v125, s[0:3], 0 offen
	ds_read_b32 v156, v124
	s_waitcnt vmcnt(0) lgkmcnt(0)
	v_mul_f32_e32 v155, v155, v156
	s_cbranch_execz .LBB124_14
	s_branch .LBB124_15
.LBB124_13:
                                        ; implicit-def: $vgpr155
.LBB124_14:
	ds_read_b32 v155, v124
.LBB124_15:
	buffer_load_dword v158, off, s[0:3], 0 offset:236
	v_mov_b32_e32 v156, 0
	ds_read2_b32 v[156:157], v156 offset0:58 offset1:123
	s_waitcnt vmcnt(0) lgkmcnt(0)
	v_fma_f32 v157, v158, v157, v155
	v_cndmask_b32_e64 v155, v155, v157, s[4:5]
	v_mul_f32_e32 v155, v155, v156
	buffer_store_dword v155, off, s[0:3], 0 offset:232
.LBB124_16:
	s_or_b64 exec, exec, s[6:7]
	buffer_load_dword v155, off, s[0:3], 0 offset:228
	v_cmp_lt_u32_e64 s[6:7], 57, v0
	s_waitcnt vmcnt(0)
	ds_write_b32 v124, v155
	s_waitcnt lgkmcnt(0)
	; wave barrier
	s_waitcnt lgkmcnt(0)
	s_and_saveexec_b64 s[4:5], s[6:7]
	s_cbranch_execz .LBB124_26
; %bb.17:
	s_andn2_b64 vcc, exec, s[10:11]
	s_cbranch_vccnz .LBB124_19
; %bb.18:
	buffer_load_dword v155, v125, s[0:3], 0 offen
	ds_read_b32 v156, v124
	s_waitcnt vmcnt(0) lgkmcnt(0)
	v_mul_f32_e32 v155, v155, v156
	s_cbranch_execz .LBB124_20
	s_branch .LBB124_21
.LBB124_19:
                                        ; implicit-def: $vgpr155
.LBB124_20:
	ds_read_b32 v155, v124
.LBB124_21:
	s_and_saveexec_b64 s[12:13], s[8:9]
	s_cbranch_execz .LBB124_25
; %bb.22:
	v_subrev_u32_e32 v156, 58, v0
	s_movk_i32 s14, 0x1e8
	s_mov_b64 s[8:9], 0
.LBB124_23:                             ; =>This Inner Loop Header: Depth=1
	buffer_load_dword v157, v154, s[0:3], 0 offen
	v_mov_b32_e32 v158, s14
	ds_read_b32 v158, v158
	v_add_u32_e32 v156, -1, v156
	s_add_i32 s14, s14, 4
	v_cmp_eq_u32_e32 vcc, 0, v156
	v_add_u32_e32 v154, 4, v154
	s_or_b64 s[8:9], vcc, s[8:9]
	s_waitcnt vmcnt(0) lgkmcnt(0)
	v_fmac_f32_e32 v155, v157, v158
	s_andn2_b64 exec, exec, s[8:9]
	s_cbranch_execnz .LBB124_23
; %bb.24:
	s_or_b64 exec, exec, s[8:9]
.LBB124_25:
	s_or_b64 exec, exec, s[12:13]
	v_mov_b32_e32 v154, 0
	ds_read_b32 v154, v154 offset:228
	s_waitcnt lgkmcnt(0)
	v_mul_f32_e32 v154, v155, v154
	buffer_store_dword v154, off, s[0:3], 0 offset:228
.LBB124_26:
	s_or_b64 exec, exec, s[4:5]
	buffer_load_dword v154, off, s[0:3], 0 offset:224
	v_cmp_lt_u32_e64 s[4:5], 56, v0
	s_waitcnt vmcnt(0)
	ds_write_b32 v124, v154
	s_waitcnt lgkmcnt(0)
	; wave barrier
	s_waitcnt lgkmcnt(0)
	s_and_saveexec_b64 s[8:9], s[4:5]
	s_cbranch_execz .LBB124_36
; %bb.27:
	s_andn2_b64 vcc, exec, s[10:11]
	s_cbranch_vccnz .LBB124_29
; %bb.28:
	buffer_load_dword v154, v125, s[0:3], 0 offen
	ds_read_b32 v155, v124
	s_waitcnt vmcnt(0) lgkmcnt(0)
	v_mul_f32_e32 v154, v154, v155
	s_cbranch_execz .LBB124_30
	s_branch .LBB124_31
.LBB124_29:
                                        ; implicit-def: $vgpr154
.LBB124_30:
	ds_read_b32 v154, v124
.LBB124_31:
	s_and_saveexec_b64 s[12:13], s[6:7]
	s_cbranch_execz .LBB124_35
; %bb.32:
	v_mov_b32_e32 v155, 0
	v_add_u32_e32 v155, 0xe4, v155
	v_subrev_u32_e32 v156, 57, v0
	s_movk_i32 s14, 0x1e4
	s_mov_b64 s[6:7], 0
.LBB124_33:                             ; =>This Inner Loop Header: Depth=1
	buffer_load_dword v157, v155, s[0:3], 0 offen
	v_mov_b32_e32 v158, s14
	ds_read_b32 v158, v158
	v_add_u32_e32 v156, -1, v156
	s_add_i32 s14, s14, 4
	v_cmp_eq_u32_e32 vcc, 0, v156
	v_add_u32_e32 v155, 4, v155
	s_or_b64 s[6:7], vcc, s[6:7]
	s_waitcnt vmcnt(0) lgkmcnt(0)
	v_fmac_f32_e32 v154, v157, v158
	s_andn2_b64 exec, exec, s[6:7]
	s_cbranch_execnz .LBB124_33
; %bb.34:
	s_or_b64 exec, exec, s[6:7]
.LBB124_35:
	s_or_b64 exec, exec, s[12:13]
	v_mov_b32_e32 v155, 0
	ds_read_b32 v155, v155 offset:224
	s_waitcnt lgkmcnt(0)
	v_mul_f32_e32 v154, v154, v155
	buffer_store_dword v154, off, s[0:3], 0 offset:224
.LBB124_36:
	s_or_b64 exec, exec, s[8:9]
	buffer_load_dword v154, off, s[0:3], 0 offset:220
	v_cmp_lt_u32_e64 s[6:7], 55, v0
	s_waitcnt vmcnt(0)
	ds_write_b32 v124, v154
	s_waitcnt lgkmcnt(0)
	; wave barrier
	s_waitcnt lgkmcnt(0)
	s_and_saveexec_b64 s[8:9], s[6:7]
	s_cbranch_execz .LBB124_46
; %bb.37:
	s_andn2_b64 vcc, exec, s[10:11]
	s_cbranch_vccnz .LBB124_39
; %bb.38:
	buffer_load_dword v154, v125, s[0:3], 0 offen
	ds_read_b32 v155, v124
	s_waitcnt vmcnt(0) lgkmcnt(0)
	v_mul_f32_e32 v154, v154, v155
	s_cbranch_execz .LBB124_40
	s_branch .LBB124_41
.LBB124_39:
                                        ; implicit-def: $vgpr154
.LBB124_40:
	ds_read_b32 v154, v124
.LBB124_41:
	s_and_saveexec_b64 s[12:13], s[4:5]
	s_cbranch_execz .LBB124_45
; %bb.42:
	v_subrev_u32_e32 v155, 56, v0
	s_movk_i32 s14, 0x1e0
	s_mov_b64 s[4:5], 0
.LBB124_43:                             ; =>This Inner Loop Header: Depth=1
	buffer_load_dword v156, v153, s[0:3], 0 offen
	v_mov_b32_e32 v157, s14
	ds_read_b32 v157, v157
	v_add_u32_e32 v155, -1, v155
	s_add_i32 s14, s14, 4
	v_cmp_eq_u32_e32 vcc, 0, v155
	v_add_u32_e32 v153, 4, v153
	s_or_b64 s[4:5], vcc, s[4:5]
	s_waitcnt vmcnt(0) lgkmcnt(0)
	v_fmac_f32_e32 v154, v156, v157
	s_andn2_b64 exec, exec, s[4:5]
	s_cbranch_execnz .LBB124_43
; %bb.44:
	s_or_b64 exec, exec, s[4:5]
.LBB124_45:
	s_or_b64 exec, exec, s[12:13]
	v_mov_b32_e32 v153, 0
	ds_read_b32 v153, v153 offset:220
	s_waitcnt lgkmcnt(0)
	v_mul_f32_e32 v153, v154, v153
	buffer_store_dword v153, off, s[0:3], 0 offset:220
.LBB124_46:
	s_or_b64 exec, exec, s[8:9]
	buffer_load_dword v153, off, s[0:3], 0 offset:216
	v_cmp_lt_u32_e64 s[4:5], 54, v0
	s_waitcnt vmcnt(0)
	ds_write_b32 v124, v153
	s_waitcnt lgkmcnt(0)
	; wave barrier
	s_waitcnt lgkmcnt(0)
	s_and_saveexec_b64 s[8:9], s[4:5]
	s_cbranch_execz .LBB124_56
; %bb.47:
	s_andn2_b64 vcc, exec, s[10:11]
	s_cbranch_vccnz .LBB124_49
; %bb.48:
	buffer_load_dword v153, v125, s[0:3], 0 offen
	ds_read_b32 v154, v124
	s_waitcnt vmcnt(0) lgkmcnt(0)
	v_mul_f32_e32 v153, v153, v154
	s_cbranch_execz .LBB124_50
	s_branch .LBB124_51
.LBB124_49:
                                        ; implicit-def: $vgpr153
.LBB124_50:
	ds_read_b32 v153, v124
.LBB124_51:
	s_and_saveexec_b64 s[12:13], s[6:7]
	s_cbranch_execz .LBB124_55
; %bb.52:
	v_mov_b32_e32 v154, 0
	v_add_u32_e32 v154, 0xdc, v154
	v_subrev_u32_e32 v155, 55, v0
	s_movk_i32 s14, 0x1dc
	s_mov_b64 s[6:7], 0
.LBB124_53:                             ; =>This Inner Loop Header: Depth=1
	buffer_load_dword v156, v154, s[0:3], 0 offen
	v_mov_b32_e32 v157, s14
	ds_read_b32 v157, v157
	v_add_u32_e32 v155, -1, v155
	s_add_i32 s14, s14, 4
	v_cmp_eq_u32_e32 vcc, 0, v155
	v_add_u32_e32 v154, 4, v154
	s_or_b64 s[6:7], vcc, s[6:7]
	s_waitcnt vmcnt(0) lgkmcnt(0)
	v_fmac_f32_e32 v153, v156, v157
	s_andn2_b64 exec, exec, s[6:7]
	s_cbranch_execnz .LBB124_53
; %bb.54:
	s_or_b64 exec, exec, s[6:7]
.LBB124_55:
	s_or_b64 exec, exec, s[12:13]
	v_mov_b32_e32 v154, 0
	ds_read_b32 v154, v154 offset:216
	s_waitcnt lgkmcnt(0)
	v_mul_f32_e32 v153, v153, v154
	buffer_store_dword v153, off, s[0:3], 0 offset:216
.LBB124_56:
	s_or_b64 exec, exec, s[8:9]
	buffer_load_dword v153, off, s[0:3], 0 offset:212
	v_cmp_lt_u32_e64 s[6:7], 53, v0
	s_waitcnt vmcnt(0)
	ds_write_b32 v124, v153
	s_waitcnt lgkmcnt(0)
	; wave barrier
	s_waitcnt lgkmcnt(0)
	s_and_saveexec_b64 s[8:9], s[6:7]
	s_cbranch_execz .LBB124_66
; %bb.57:
	s_andn2_b64 vcc, exec, s[10:11]
	s_cbranch_vccnz .LBB124_59
; %bb.58:
	buffer_load_dword v153, v125, s[0:3], 0 offen
	ds_read_b32 v154, v124
	s_waitcnt vmcnt(0) lgkmcnt(0)
	v_mul_f32_e32 v153, v153, v154
	s_cbranch_execz .LBB124_60
	s_branch .LBB124_61
.LBB124_59:
                                        ; implicit-def: $vgpr153
.LBB124_60:
	ds_read_b32 v153, v124
.LBB124_61:
	s_and_saveexec_b64 s[12:13], s[4:5]
	s_cbranch_execz .LBB124_65
; %bb.62:
	v_subrev_u32_e32 v154, 54, v0
	s_movk_i32 s14, 0x1d8
	s_mov_b64 s[4:5], 0
.LBB124_63:                             ; =>This Inner Loop Header: Depth=1
	buffer_load_dword v155, v152, s[0:3], 0 offen
	v_mov_b32_e32 v156, s14
	ds_read_b32 v156, v156
	v_add_u32_e32 v154, -1, v154
	s_add_i32 s14, s14, 4
	v_cmp_eq_u32_e32 vcc, 0, v154
	v_add_u32_e32 v152, 4, v152
	s_or_b64 s[4:5], vcc, s[4:5]
	s_waitcnt vmcnt(0) lgkmcnt(0)
	v_fmac_f32_e32 v153, v155, v156
	s_andn2_b64 exec, exec, s[4:5]
	s_cbranch_execnz .LBB124_63
; %bb.64:
	s_or_b64 exec, exec, s[4:5]
.LBB124_65:
	s_or_b64 exec, exec, s[12:13]
	v_mov_b32_e32 v152, 0
	ds_read_b32 v152, v152 offset:212
	s_waitcnt lgkmcnt(0)
	v_mul_f32_e32 v152, v153, v152
	buffer_store_dword v152, off, s[0:3], 0 offset:212
.LBB124_66:
	s_or_b64 exec, exec, s[8:9]
	buffer_load_dword v152, off, s[0:3], 0 offset:208
	v_cmp_lt_u32_e64 s[4:5], 52, v0
	s_waitcnt vmcnt(0)
	ds_write_b32 v124, v152
	s_waitcnt lgkmcnt(0)
	; wave barrier
	s_waitcnt lgkmcnt(0)
	s_and_saveexec_b64 s[8:9], s[4:5]
	s_cbranch_execz .LBB124_76
; %bb.67:
	s_andn2_b64 vcc, exec, s[10:11]
	s_cbranch_vccnz .LBB124_69
; %bb.68:
	buffer_load_dword v152, v125, s[0:3], 0 offen
	ds_read_b32 v153, v124
	s_waitcnt vmcnt(0) lgkmcnt(0)
	v_mul_f32_e32 v152, v152, v153
	s_cbranch_execz .LBB124_70
	s_branch .LBB124_71
.LBB124_69:
                                        ; implicit-def: $vgpr152
.LBB124_70:
	ds_read_b32 v152, v124
.LBB124_71:
	s_and_saveexec_b64 s[12:13], s[6:7]
	s_cbranch_execz .LBB124_75
; %bb.72:
	v_mov_b32_e32 v153, 0
	v_add_u32_e32 v153, 0xd4, v153
	v_subrev_u32_e32 v154, 53, v0
	s_movk_i32 s14, 0x1d4
	s_mov_b64 s[6:7], 0
.LBB124_73:                             ; =>This Inner Loop Header: Depth=1
	buffer_load_dword v155, v153, s[0:3], 0 offen
	v_mov_b32_e32 v156, s14
	ds_read_b32 v156, v156
	v_add_u32_e32 v154, -1, v154
	s_add_i32 s14, s14, 4
	v_cmp_eq_u32_e32 vcc, 0, v154
	v_add_u32_e32 v153, 4, v153
	s_or_b64 s[6:7], vcc, s[6:7]
	s_waitcnt vmcnt(0) lgkmcnt(0)
	v_fmac_f32_e32 v152, v155, v156
	s_andn2_b64 exec, exec, s[6:7]
	s_cbranch_execnz .LBB124_73
; %bb.74:
	s_or_b64 exec, exec, s[6:7]
.LBB124_75:
	s_or_b64 exec, exec, s[12:13]
	v_mov_b32_e32 v153, 0
	ds_read_b32 v153, v153 offset:208
	s_waitcnt lgkmcnt(0)
	v_mul_f32_e32 v152, v152, v153
	buffer_store_dword v152, off, s[0:3], 0 offset:208
.LBB124_76:
	s_or_b64 exec, exec, s[8:9]
	buffer_load_dword v152, off, s[0:3], 0 offset:204
	v_cmp_lt_u32_e64 s[6:7], 51, v0
	s_waitcnt vmcnt(0)
	ds_write_b32 v124, v152
	s_waitcnt lgkmcnt(0)
	; wave barrier
	s_waitcnt lgkmcnt(0)
	s_and_saveexec_b64 s[8:9], s[6:7]
	s_cbranch_execz .LBB124_86
; %bb.77:
	s_andn2_b64 vcc, exec, s[10:11]
	s_cbranch_vccnz .LBB124_79
; %bb.78:
	buffer_load_dword v152, v125, s[0:3], 0 offen
	ds_read_b32 v153, v124
	s_waitcnt vmcnt(0) lgkmcnt(0)
	v_mul_f32_e32 v152, v152, v153
	s_cbranch_execz .LBB124_80
	s_branch .LBB124_81
.LBB124_79:
                                        ; implicit-def: $vgpr152
.LBB124_80:
	ds_read_b32 v152, v124
.LBB124_81:
	s_and_saveexec_b64 s[12:13], s[4:5]
	s_cbranch_execz .LBB124_85
; %bb.82:
	v_subrev_u32_e32 v153, 52, v0
	s_movk_i32 s14, 0x1d0
	s_mov_b64 s[4:5], 0
.LBB124_83:                             ; =>This Inner Loop Header: Depth=1
	buffer_load_dword v154, v151, s[0:3], 0 offen
	v_mov_b32_e32 v155, s14
	ds_read_b32 v155, v155
	v_add_u32_e32 v153, -1, v153
	s_add_i32 s14, s14, 4
	v_cmp_eq_u32_e32 vcc, 0, v153
	v_add_u32_e32 v151, 4, v151
	s_or_b64 s[4:5], vcc, s[4:5]
	s_waitcnt vmcnt(0) lgkmcnt(0)
	v_fmac_f32_e32 v152, v154, v155
	s_andn2_b64 exec, exec, s[4:5]
	s_cbranch_execnz .LBB124_83
; %bb.84:
	s_or_b64 exec, exec, s[4:5]
.LBB124_85:
	s_or_b64 exec, exec, s[12:13]
	v_mov_b32_e32 v151, 0
	ds_read_b32 v151, v151 offset:204
	s_waitcnt lgkmcnt(0)
	v_mul_f32_e32 v151, v152, v151
	buffer_store_dword v151, off, s[0:3], 0 offset:204
.LBB124_86:
	s_or_b64 exec, exec, s[8:9]
	buffer_load_dword v151, off, s[0:3], 0 offset:200
	v_cmp_lt_u32_e64 s[4:5], 50, v0
	s_waitcnt vmcnt(0)
	ds_write_b32 v124, v151
	s_waitcnt lgkmcnt(0)
	; wave barrier
	s_waitcnt lgkmcnt(0)
	s_and_saveexec_b64 s[8:9], s[4:5]
	s_cbranch_execz .LBB124_96
; %bb.87:
	s_andn2_b64 vcc, exec, s[10:11]
	s_cbranch_vccnz .LBB124_89
; %bb.88:
	buffer_load_dword v151, v125, s[0:3], 0 offen
	ds_read_b32 v152, v124
	s_waitcnt vmcnt(0) lgkmcnt(0)
	v_mul_f32_e32 v151, v151, v152
	s_cbranch_execz .LBB124_90
	s_branch .LBB124_91
.LBB124_89:
                                        ; implicit-def: $vgpr151
.LBB124_90:
	ds_read_b32 v151, v124
.LBB124_91:
	s_and_saveexec_b64 s[12:13], s[6:7]
	s_cbranch_execz .LBB124_95
; %bb.92:
	v_mov_b32_e32 v152, 0
	v_add_u32_e32 v152, 0xcc, v152
	v_subrev_u32_e32 v153, 51, v0
	s_movk_i32 s14, 0x1cc
	s_mov_b64 s[6:7], 0
.LBB124_93:                             ; =>This Inner Loop Header: Depth=1
	buffer_load_dword v154, v152, s[0:3], 0 offen
	v_mov_b32_e32 v155, s14
	ds_read_b32 v155, v155
	v_add_u32_e32 v153, -1, v153
	s_add_i32 s14, s14, 4
	v_cmp_eq_u32_e32 vcc, 0, v153
	v_add_u32_e32 v152, 4, v152
	s_or_b64 s[6:7], vcc, s[6:7]
	s_waitcnt vmcnt(0) lgkmcnt(0)
	v_fmac_f32_e32 v151, v154, v155
	s_andn2_b64 exec, exec, s[6:7]
	s_cbranch_execnz .LBB124_93
; %bb.94:
	s_or_b64 exec, exec, s[6:7]
.LBB124_95:
	s_or_b64 exec, exec, s[12:13]
	v_mov_b32_e32 v152, 0
	ds_read_b32 v152, v152 offset:200
	s_waitcnt lgkmcnt(0)
	v_mul_f32_e32 v151, v151, v152
	buffer_store_dword v151, off, s[0:3], 0 offset:200
.LBB124_96:
	s_or_b64 exec, exec, s[8:9]
	buffer_load_dword v151, off, s[0:3], 0 offset:196
	v_cmp_lt_u32_e64 s[6:7], 49, v0
	s_waitcnt vmcnt(0)
	ds_write_b32 v124, v151
	s_waitcnt lgkmcnt(0)
	; wave barrier
	s_waitcnt lgkmcnt(0)
	s_and_saveexec_b64 s[8:9], s[6:7]
	s_cbranch_execz .LBB124_106
; %bb.97:
	s_andn2_b64 vcc, exec, s[10:11]
	s_cbranch_vccnz .LBB124_99
; %bb.98:
	buffer_load_dword v151, v125, s[0:3], 0 offen
	ds_read_b32 v152, v124
	s_waitcnt vmcnt(0) lgkmcnt(0)
	v_mul_f32_e32 v151, v151, v152
	s_cbranch_execz .LBB124_100
	s_branch .LBB124_101
.LBB124_99:
                                        ; implicit-def: $vgpr151
.LBB124_100:
	ds_read_b32 v151, v124
.LBB124_101:
	s_and_saveexec_b64 s[12:13], s[4:5]
	s_cbranch_execz .LBB124_105
; %bb.102:
	v_subrev_u32_e32 v152, 50, v0
	s_movk_i32 s14, 0x1c8
	s_mov_b64 s[4:5], 0
.LBB124_103:                            ; =>This Inner Loop Header: Depth=1
	buffer_load_dword v153, v150, s[0:3], 0 offen
	v_mov_b32_e32 v154, s14
	ds_read_b32 v154, v154
	v_add_u32_e32 v152, -1, v152
	s_add_i32 s14, s14, 4
	v_cmp_eq_u32_e32 vcc, 0, v152
	v_add_u32_e32 v150, 4, v150
	s_or_b64 s[4:5], vcc, s[4:5]
	s_waitcnt vmcnt(0) lgkmcnt(0)
	v_fmac_f32_e32 v151, v153, v154
	s_andn2_b64 exec, exec, s[4:5]
	s_cbranch_execnz .LBB124_103
; %bb.104:
	s_or_b64 exec, exec, s[4:5]
.LBB124_105:
	s_or_b64 exec, exec, s[12:13]
	v_mov_b32_e32 v150, 0
	ds_read_b32 v150, v150 offset:196
	s_waitcnt lgkmcnt(0)
	v_mul_f32_e32 v150, v151, v150
	buffer_store_dword v150, off, s[0:3], 0 offset:196
.LBB124_106:
	s_or_b64 exec, exec, s[8:9]
	buffer_load_dword v150, off, s[0:3], 0 offset:192
	v_cmp_lt_u32_e64 s[4:5], 48, v0
	s_waitcnt vmcnt(0)
	ds_write_b32 v124, v150
	s_waitcnt lgkmcnt(0)
	; wave barrier
	s_waitcnt lgkmcnt(0)
	s_and_saveexec_b64 s[8:9], s[4:5]
	s_cbranch_execz .LBB124_116
; %bb.107:
	s_andn2_b64 vcc, exec, s[10:11]
	s_cbranch_vccnz .LBB124_109
; %bb.108:
	buffer_load_dword v150, v125, s[0:3], 0 offen
	ds_read_b32 v151, v124
	s_waitcnt vmcnt(0) lgkmcnt(0)
	v_mul_f32_e32 v150, v150, v151
	s_cbranch_execz .LBB124_110
	s_branch .LBB124_111
.LBB124_109:
                                        ; implicit-def: $vgpr150
.LBB124_110:
	ds_read_b32 v150, v124
.LBB124_111:
	s_and_saveexec_b64 s[12:13], s[6:7]
	s_cbranch_execz .LBB124_115
; %bb.112:
	v_mov_b32_e32 v151, 0
	v_add_u32_e32 v151, 0xc4, v151
	v_subrev_u32_e32 v152, 49, v0
	s_movk_i32 s14, 0x1c4
	s_mov_b64 s[6:7], 0
.LBB124_113:                            ; =>This Inner Loop Header: Depth=1
	buffer_load_dword v153, v151, s[0:3], 0 offen
	v_mov_b32_e32 v154, s14
	ds_read_b32 v154, v154
	v_add_u32_e32 v152, -1, v152
	s_add_i32 s14, s14, 4
	v_cmp_eq_u32_e32 vcc, 0, v152
	v_add_u32_e32 v151, 4, v151
	s_or_b64 s[6:7], vcc, s[6:7]
	s_waitcnt vmcnt(0) lgkmcnt(0)
	v_fmac_f32_e32 v150, v153, v154
	s_andn2_b64 exec, exec, s[6:7]
	s_cbranch_execnz .LBB124_113
; %bb.114:
	s_or_b64 exec, exec, s[6:7]
.LBB124_115:
	s_or_b64 exec, exec, s[12:13]
	v_mov_b32_e32 v151, 0
	ds_read_b32 v151, v151 offset:192
	s_waitcnt lgkmcnt(0)
	v_mul_f32_e32 v150, v150, v151
	buffer_store_dword v150, off, s[0:3], 0 offset:192
.LBB124_116:
	s_or_b64 exec, exec, s[8:9]
	buffer_load_dword v150, off, s[0:3], 0 offset:188
	v_cmp_lt_u32_e64 s[6:7], 47, v0
	s_waitcnt vmcnt(0)
	ds_write_b32 v124, v150
	s_waitcnt lgkmcnt(0)
	; wave barrier
	s_waitcnt lgkmcnt(0)
	s_and_saveexec_b64 s[8:9], s[6:7]
	s_cbranch_execz .LBB124_126
; %bb.117:
	s_andn2_b64 vcc, exec, s[10:11]
	s_cbranch_vccnz .LBB124_119
; %bb.118:
	buffer_load_dword v150, v125, s[0:3], 0 offen
	ds_read_b32 v151, v124
	s_waitcnt vmcnt(0) lgkmcnt(0)
	v_mul_f32_e32 v150, v150, v151
	s_cbranch_execz .LBB124_120
	s_branch .LBB124_121
.LBB124_119:
                                        ; implicit-def: $vgpr150
.LBB124_120:
	ds_read_b32 v150, v124
.LBB124_121:
	s_and_saveexec_b64 s[12:13], s[4:5]
	s_cbranch_execz .LBB124_125
; %bb.122:
	v_subrev_u32_e32 v151, 48, v0
	s_movk_i32 s14, 0x1c0
	s_mov_b64 s[4:5], 0
.LBB124_123:                            ; =>This Inner Loop Header: Depth=1
	buffer_load_dword v152, v149, s[0:3], 0 offen
	v_mov_b32_e32 v153, s14
	ds_read_b32 v153, v153
	v_add_u32_e32 v151, -1, v151
	s_add_i32 s14, s14, 4
	v_cmp_eq_u32_e32 vcc, 0, v151
	v_add_u32_e32 v149, 4, v149
	s_or_b64 s[4:5], vcc, s[4:5]
	s_waitcnt vmcnt(0) lgkmcnt(0)
	v_fmac_f32_e32 v150, v152, v153
	s_andn2_b64 exec, exec, s[4:5]
	s_cbranch_execnz .LBB124_123
; %bb.124:
	s_or_b64 exec, exec, s[4:5]
.LBB124_125:
	s_or_b64 exec, exec, s[12:13]
	v_mov_b32_e32 v149, 0
	ds_read_b32 v149, v149 offset:188
	s_waitcnt lgkmcnt(0)
	v_mul_f32_e32 v149, v150, v149
	buffer_store_dword v149, off, s[0:3], 0 offset:188
.LBB124_126:
	s_or_b64 exec, exec, s[8:9]
	buffer_load_dword v149, off, s[0:3], 0 offset:184
	v_cmp_lt_u32_e64 s[4:5], 46, v0
	s_waitcnt vmcnt(0)
	ds_write_b32 v124, v149
	s_waitcnt lgkmcnt(0)
	; wave barrier
	s_waitcnt lgkmcnt(0)
	s_and_saveexec_b64 s[8:9], s[4:5]
	s_cbranch_execz .LBB124_136
; %bb.127:
	s_andn2_b64 vcc, exec, s[10:11]
	s_cbranch_vccnz .LBB124_129
; %bb.128:
	buffer_load_dword v149, v125, s[0:3], 0 offen
	ds_read_b32 v150, v124
	s_waitcnt vmcnt(0) lgkmcnt(0)
	v_mul_f32_e32 v149, v149, v150
	s_cbranch_execz .LBB124_130
	s_branch .LBB124_131
.LBB124_129:
                                        ; implicit-def: $vgpr149
.LBB124_130:
	ds_read_b32 v149, v124
.LBB124_131:
	s_and_saveexec_b64 s[12:13], s[6:7]
	s_cbranch_execz .LBB124_135
; %bb.132:
	v_mov_b32_e32 v150, 0
	v_add_u32_e32 v150, 0xbc, v150
	v_subrev_u32_e32 v151, 47, v0
	s_movk_i32 s14, 0x1bc
	s_mov_b64 s[6:7], 0
.LBB124_133:                            ; =>This Inner Loop Header: Depth=1
	buffer_load_dword v152, v150, s[0:3], 0 offen
	v_mov_b32_e32 v153, s14
	ds_read_b32 v153, v153
	v_add_u32_e32 v151, -1, v151
	s_add_i32 s14, s14, 4
	v_cmp_eq_u32_e32 vcc, 0, v151
	v_add_u32_e32 v150, 4, v150
	s_or_b64 s[6:7], vcc, s[6:7]
	s_waitcnt vmcnt(0) lgkmcnt(0)
	v_fmac_f32_e32 v149, v152, v153
	s_andn2_b64 exec, exec, s[6:7]
	s_cbranch_execnz .LBB124_133
; %bb.134:
	s_or_b64 exec, exec, s[6:7]
.LBB124_135:
	s_or_b64 exec, exec, s[12:13]
	v_mov_b32_e32 v150, 0
	ds_read_b32 v150, v150 offset:184
	s_waitcnt lgkmcnt(0)
	v_mul_f32_e32 v149, v149, v150
	buffer_store_dword v149, off, s[0:3], 0 offset:184
.LBB124_136:
	s_or_b64 exec, exec, s[8:9]
	buffer_load_dword v149, off, s[0:3], 0 offset:180
	v_cmp_lt_u32_e64 s[6:7], 45, v0
	s_waitcnt vmcnt(0)
	ds_write_b32 v124, v149
	s_waitcnt lgkmcnt(0)
	; wave barrier
	s_waitcnt lgkmcnt(0)
	s_and_saveexec_b64 s[8:9], s[6:7]
	s_cbranch_execz .LBB124_146
; %bb.137:
	s_andn2_b64 vcc, exec, s[10:11]
	s_cbranch_vccnz .LBB124_139
; %bb.138:
	buffer_load_dword v149, v125, s[0:3], 0 offen
	ds_read_b32 v150, v124
	s_waitcnt vmcnt(0) lgkmcnt(0)
	v_mul_f32_e32 v149, v149, v150
	s_cbranch_execz .LBB124_140
	s_branch .LBB124_141
.LBB124_139:
                                        ; implicit-def: $vgpr149
.LBB124_140:
	ds_read_b32 v149, v124
.LBB124_141:
	s_and_saveexec_b64 s[12:13], s[4:5]
	s_cbranch_execz .LBB124_145
; %bb.142:
	v_subrev_u32_e32 v150, 46, v0
	s_movk_i32 s14, 0x1b8
	s_mov_b64 s[4:5], 0
.LBB124_143:                            ; =>This Inner Loop Header: Depth=1
	buffer_load_dword v151, v148, s[0:3], 0 offen
	v_mov_b32_e32 v152, s14
	ds_read_b32 v152, v152
	v_add_u32_e32 v150, -1, v150
	s_add_i32 s14, s14, 4
	v_cmp_eq_u32_e32 vcc, 0, v150
	v_add_u32_e32 v148, 4, v148
	s_or_b64 s[4:5], vcc, s[4:5]
	s_waitcnt vmcnt(0) lgkmcnt(0)
	v_fmac_f32_e32 v149, v151, v152
	s_andn2_b64 exec, exec, s[4:5]
	s_cbranch_execnz .LBB124_143
; %bb.144:
	s_or_b64 exec, exec, s[4:5]
.LBB124_145:
	s_or_b64 exec, exec, s[12:13]
	v_mov_b32_e32 v148, 0
	ds_read_b32 v148, v148 offset:180
	s_waitcnt lgkmcnt(0)
	v_mul_f32_e32 v148, v149, v148
	buffer_store_dword v148, off, s[0:3], 0 offset:180
.LBB124_146:
	s_or_b64 exec, exec, s[8:9]
	buffer_load_dword v148, off, s[0:3], 0 offset:176
	v_cmp_lt_u32_e64 s[4:5], 44, v0
	s_waitcnt vmcnt(0)
	ds_write_b32 v124, v148
	s_waitcnt lgkmcnt(0)
	; wave barrier
	s_waitcnt lgkmcnt(0)
	s_and_saveexec_b64 s[8:9], s[4:5]
	s_cbranch_execz .LBB124_156
; %bb.147:
	s_andn2_b64 vcc, exec, s[10:11]
	s_cbranch_vccnz .LBB124_149
; %bb.148:
	buffer_load_dword v148, v125, s[0:3], 0 offen
	ds_read_b32 v149, v124
	s_waitcnt vmcnt(0) lgkmcnt(0)
	v_mul_f32_e32 v148, v148, v149
	s_cbranch_execz .LBB124_150
	s_branch .LBB124_151
.LBB124_149:
                                        ; implicit-def: $vgpr148
.LBB124_150:
	ds_read_b32 v148, v124
.LBB124_151:
	s_and_saveexec_b64 s[12:13], s[6:7]
	s_cbranch_execz .LBB124_155
; %bb.152:
	v_mov_b32_e32 v149, 0
	v_add_u32_e32 v149, 0xb4, v149
	v_subrev_u32_e32 v150, 45, v0
	s_movk_i32 s14, 0x1b4
	s_mov_b64 s[6:7], 0
.LBB124_153:                            ; =>This Inner Loop Header: Depth=1
	buffer_load_dword v151, v149, s[0:3], 0 offen
	v_mov_b32_e32 v152, s14
	ds_read_b32 v152, v152
	v_add_u32_e32 v150, -1, v150
	s_add_i32 s14, s14, 4
	v_cmp_eq_u32_e32 vcc, 0, v150
	v_add_u32_e32 v149, 4, v149
	s_or_b64 s[6:7], vcc, s[6:7]
	s_waitcnt vmcnt(0) lgkmcnt(0)
	v_fmac_f32_e32 v148, v151, v152
	s_andn2_b64 exec, exec, s[6:7]
	s_cbranch_execnz .LBB124_153
; %bb.154:
	s_or_b64 exec, exec, s[6:7]
.LBB124_155:
	s_or_b64 exec, exec, s[12:13]
	v_mov_b32_e32 v149, 0
	ds_read_b32 v149, v149 offset:176
	s_waitcnt lgkmcnt(0)
	v_mul_f32_e32 v148, v148, v149
	buffer_store_dword v148, off, s[0:3], 0 offset:176
.LBB124_156:
	s_or_b64 exec, exec, s[8:9]
	buffer_load_dword v148, off, s[0:3], 0 offset:172
	v_cmp_lt_u32_e64 s[6:7], 43, v0
	s_waitcnt vmcnt(0)
	ds_write_b32 v124, v148
	s_waitcnt lgkmcnt(0)
	; wave barrier
	s_waitcnt lgkmcnt(0)
	s_and_saveexec_b64 s[8:9], s[6:7]
	s_cbranch_execz .LBB124_166
; %bb.157:
	s_andn2_b64 vcc, exec, s[10:11]
	s_cbranch_vccnz .LBB124_159
; %bb.158:
	buffer_load_dword v148, v125, s[0:3], 0 offen
	ds_read_b32 v149, v124
	s_waitcnt vmcnt(0) lgkmcnt(0)
	v_mul_f32_e32 v148, v148, v149
	s_cbranch_execz .LBB124_160
	s_branch .LBB124_161
.LBB124_159:
                                        ; implicit-def: $vgpr148
.LBB124_160:
	ds_read_b32 v148, v124
.LBB124_161:
	s_and_saveexec_b64 s[12:13], s[4:5]
	s_cbranch_execz .LBB124_165
; %bb.162:
	v_subrev_u32_e32 v149, 44, v0
	s_movk_i32 s14, 0x1b0
	s_mov_b64 s[4:5], 0
.LBB124_163:                            ; =>This Inner Loop Header: Depth=1
	buffer_load_dword v150, v147, s[0:3], 0 offen
	v_mov_b32_e32 v151, s14
	ds_read_b32 v151, v151
	v_add_u32_e32 v149, -1, v149
	s_add_i32 s14, s14, 4
	v_cmp_eq_u32_e32 vcc, 0, v149
	v_add_u32_e32 v147, 4, v147
	s_or_b64 s[4:5], vcc, s[4:5]
	s_waitcnt vmcnt(0) lgkmcnt(0)
	v_fmac_f32_e32 v148, v150, v151
	s_andn2_b64 exec, exec, s[4:5]
	s_cbranch_execnz .LBB124_163
; %bb.164:
	s_or_b64 exec, exec, s[4:5]
.LBB124_165:
	s_or_b64 exec, exec, s[12:13]
	v_mov_b32_e32 v147, 0
	ds_read_b32 v147, v147 offset:172
	s_waitcnt lgkmcnt(0)
	v_mul_f32_e32 v147, v148, v147
	buffer_store_dword v147, off, s[0:3], 0 offset:172
.LBB124_166:
	s_or_b64 exec, exec, s[8:9]
	buffer_load_dword v147, off, s[0:3], 0 offset:168
	v_cmp_lt_u32_e64 s[4:5], 42, v0
	s_waitcnt vmcnt(0)
	ds_write_b32 v124, v147
	s_waitcnt lgkmcnt(0)
	; wave barrier
	s_waitcnt lgkmcnt(0)
	s_and_saveexec_b64 s[8:9], s[4:5]
	s_cbranch_execz .LBB124_176
; %bb.167:
	s_andn2_b64 vcc, exec, s[10:11]
	s_cbranch_vccnz .LBB124_169
; %bb.168:
	buffer_load_dword v147, v125, s[0:3], 0 offen
	ds_read_b32 v148, v124
	s_waitcnt vmcnt(0) lgkmcnt(0)
	v_mul_f32_e32 v147, v147, v148
	s_cbranch_execz .LBB124_170
	s_branch .LBB124_171
.LBB124_169:
                                        ; implicit-def: $vgpr147
.LBB124_170:
	ds_read_b32 v147, v124
.LBB124_171:
	s_and_saveexec_b64 s[12:13], s[6:7]
	s_cbranch_execz .LBB124_175
; %bb.172:
	v_mov_b32_e32 v148, 0
	v_add_u32_e32 v148, 0xac, v148
	v_subrev_u32_e32 v149, 43, v0
	s_movk_i32 s14, 0x1ac
	s_mov_b64 s[6:7], 0
.LBB124_173:                            ; =>This Inner Loop Header: Depth=1
	buffer_load_dword v150, v148, s[0:3], 0 offen
	v_mov_b32_e32 v151, s14
	ds_read_b32 v151, v151
	v_add_u32_e32 v149, -1, v149
	s_add_i32 s14, s14, 4
	v_cmp_eq_u32_e32 vcc, 0, v149
	v_add_u32_e32 v148, 4, v148
	s_or_b64 s[6:7], vcc, s[6:7]
	s_waitcnt vmcnt(0) lgkmcnt(0)
	v_fmac_f32_e32 v147, v150, v151
	s_andn2_b64 exec, exec, s[6:7]
	s_cbranch_execnz .LBB124_173
; %bb.174:
	s_or_b64 exec, exec, s[6:7]
.LBB124_175:
	s_or_b64 exec, exec, s[12:13]
	v_mov_b32_e32 v148, 0
	ds_read_b32 v148, v148 offset:168
	s_waitcnt lgkmcnt(0)
	v_mul_f32_e32 v147, v147, v148
	buffer_store_dword v147, off, s[0:3], 0 offset:168
.LBB124_176:
	s_or_b64 exec, exec, s[8:9]
	buffer_load_dword v147, off, s[0:3], 0 offset:164
	v_cmp_lt_u32_e64 s[6:7], 41, v0
	s_waitcnt vmcnt(0)
	ds_write_b32 v124, v147
	s_waitcnt lgkmcnt(0)
	; wave barrier
	s_waitcnt lgkmcnt(0)
	s_and_saveexec_b64 s[8:9], s[6:7]
	s_cbranch_execz .LBB124_186
; %bb.177:
	s_andn2_b64 vcc, exec, s[10:11]
	s_cbranch_vccnz .LBB124_179
; %bb.178:
	buffer_load_dword v147, v125, s[0:3], 0 offen
	ds_read_b32 v148, v124
	s_waitcnt vmcnt(0) lgkmcnt(0)
	v_mul_f32_e32 v147, v147, v148
	s_cbranch_execz .LBB124_180
	s_branch .LBB124_181
.LBB124_179:
                                        ; implicit-def: $vgpr147
.LBB124_180:
	ds_read_b32 v147, v124
.LBB124_181:
	s_and_saveexec_b64 s[12:13], s[4:5]
	s_cbranch_execz .LBB124_185
; %bb.182:
	v_subrev_u32_e32 v148, 42, v0
	s_movk_i32 s14, 0x1a8
	s_mov_b64 s[4:5], 0
.LBB124_183:                            ; =>This Inner Loop Header: Depth=1
	buffer_load_dword v149, v146, s[0:3], 0 offen
	v_mov_b32_e32 v150, s14
	ds_read_b32 v150, v150
	v_add_u32_e32 v148, -1, v148
	s_add_i32 s14, s14, 4
	v_cmp_eq_u32_e32 vcc, 0, v148
	v_add_u32_e32 v146, 4, v146
	s_or_b64 s[4:5], vcc, s[4:5]
	s_waitcnt vmcnt(0) lgkmcnt(0)
	v_fmac_f32_e32 v147, v149, v150
	s_andn2_b64 exec, exec, s[4:5]
	s_cbranch_execnz .LBB124_183
; %bb.184:
	s_or_b64 exec, exec, s[4:5]
.LBB124_185:
	s_or_b64 exec, exec, s[12:13]
	v_mov_b32_e32 v146, 0
	ds_read_b32 v146, v146 offset:164
	s_waitcnt lgkmcnt(0)
	v_mul_f32_e32 v146, v147, v146
	buffer_store_dword v146, off, s[0:3], 0 offset:164
.LBB124_186:
	s_or_b64 exec, exec, s[8:9]
	buffer_load_dword v146, off, s[0:3], 0 offset:160
	v_cmp_lt_u32_e64 s[4:5], 40, v0
	s_waitcnt vmcnt(0)
	ds_write_b32 v124, v146
	s_waitcnt lgkmcnt(0)
	; wave barrier
	s_waitcnt lgkmcnt(0)
	s_and_saveexec_b64 s[8:9], s[4:5]
	s_cbranch_execz .LBB124_196
; %bb.187:
	s_andn2_b64 vcc, exec, s[10:11]
	s_cbranch_vccnz .LBB124_189
; %bb.188:
	buffer_load_dword v146, v125, s[0:3], 0 offen
	ds_read_b32 v147, v124
	s_waitcnt vmcnt(0) lgkmcnt(0)
	v_mul_f32_e32 v146, v146, v147
	s_cbranch_execz .LBB124_190
	s_branch .LBB124_191
.LBB124_189:
                                        ; implicit-def: $vgpr146
.LBB124_190:
	ds_read_b32 v146, v124
.LBB124_191:
	s_and_saveexec_b64 s[12:13], s[6:7]
	s_cbranch_execz .LBB124_195
; %bb.192:
	v_mov_b32_e32 v147, 0
	v_add_u32_e32 v147, 0xa4, v147
	v_subrev_u32_e32 v148, 41, v0
	s_movk_i32 s14, 0x1a4
	s_mov_b64 s[6:7], 0
.LBB124_193:                            ; =>This Inner Loop Header: Depth=1
	buffer_load_dword v149, v147, s[0:3], 0 offen
	v_mov_b32_e32 v150, s14
	ds_read_b32 v150, v150
	v_add_u32_e32 v148, -1, v148
	s_add_i32 s14, s14, 4
	v_cmp_eq_u32_e32 vcc, 0, v148
	v_add_u32_e32 v147, 4, v147
	s_or_b64 s[6:7], vcc, s[6:7]
	s_waitcnt vmcnt(0) lgkmcnt(0)
	v_fmac_f32_e32 v146, v149, v150
	s_andn2_b64 exec, exec, s[6:7]
	s_cbranch_execnz .LBB124_193
; %bb.194:
	s_or_b64 exec, exec, s[6:7]
.LBB124_195:
	s_or_b64 exec, exec, s[12:13]
	v_mov_b32_e32 v147, 0
	ds_read_b32 v147, v147 offset:160
	s_waitcnt lgkmcnt(0)
	v_mul_f32_e32 v146, v146, v147
	buffer_store_dword v146, off, s[0:3], 0 offset:160
.LBB124_196:
	s_or_b64 exec, exec, s[8:9]
	buffer_load_dword v146, off, s[0:3], 0 offset:156
	v_cmp_lt_u32_e64 s[6:7], 39, v0
	s_waitcnt vmcnt(0)
	ds_write_b32 v124, v146
	s_waitcnt lgkmcnt(0)
	; wave barrier
	s_waitcnt lgkmcnt(0)
	s_and_saveexec_b64 s[8:9], s[6:7]
	s_cbranch_execz .LBB124_206
; %bb.197:
	s_andn2_b64 vcc, exec, s[10:11]
	s_cbranch_vccnz .LBB124_199
; %bb.198:
	buffer_load_dword v146, v125, s[0:3], 0 offen
	ds_read_b32 v147, v124
	s_waitcnt vmcnt(0) lgkmcnt(0)
	v_mul_f32_e32 v146, v146, v147
	s_cbranch_execz .LBB124_200
	s_branch .LBB124_201
.LBB124_199:
                                        ; implicit-def: $vgpr146
.LBB124_200:
	ds_read_b32 v146, v124
.LBB124_201:
	s_and_saveexec_b64 s[12:13], s[4:5]
	s_cbranch_execz .LBB124_205
; %bb.202:
	v_subrev_u32_e32 v147, 40, v0
	s_movk_i32 s14, 0x1a0
	s_mov_b64 s[4:5], 0
.LBB124_203:                            ; =>This Inner Loop Header: Depth=1
	buffer_load_dword v148, v145, s[0:3], 0 offen
	v_mov_b32_e32 v149, s14
	ds_read_b32 v149, v149
	v_add_u32_e32 v147, -1, v147
	s_add_i32 s14, s14, 4
	v_cmp_eq_u32_e32 vcc, 0, v147
	v_add_u32_e32 v145, 4, v145
	s_or_b64 s[4:5], vcc, s[4:5]
	s_waitcnt vmcnt(0) lgkmcnt(0)
	v_fmac_f32_e32 v146, v148, v149
	s_andn2_b64 exec, exec, s[4:5]
	s_cbranch_execnz .LBB124_203
; %bb.204:
	s_or_b64 exec, exec, s[4:5]
.LBB124_205:
	s_or_b64 exec, exec, s[12:13]
	v_mov_b32_e32 v145, 0
	ds_read_b32 v145, v145 offset:156
	s_waitcnt lgkmcnt(0)
	v_mul_f32_e32 v145, v146, v145
	buffer_store_dword v145, off, s[0:3], 0 offset:156
.LBB124_206:
	s_or_b64 exec, exec, s[8:9]
	buffer_load_dword v145, off, s[0:3], 0 offset:152
	v_cmp_lt_u32_e64 s[4:5], 38, v0
	s_waitcnt vmcnt(0)
	ds_write_b32 v124, v145
	s_waitcnt lgkmcnt(0)
	; wave barrier
	s_waitcnt lgkmcnt(0)
	s_and_saveexec_b64 s[8:9], s[4:5]
	s_cbranch_execz .LBB124_216
; %bb.207:
	s_andn2_b64 vcc, exec, s[10:11]
	s_cbranch_vccnz .LBB124_209
; %bb.208:
	buffer_load_dword v145, v125, s[0:3], 0 offen
	ds_read_b32 v146, v124
	s_waitcnt vmcnt(0) lgkmcnt(0)
	v_mul_f32_e32 v145, v145, v146
	s_cbranch_execz .LBB124_210
	s_branch .LBB124_211
.LBB124_209:
                                        ; implicit-def: $vgpr145
.LBB124_210:
	ds_read_b32 v145, v124
.LBB124_211:
	s_and_saveexec_b64 s[12:13], s[6:7]
	s_cbranch_execz .LBB124_215
; %bb.212:
	v_mov_b32_e32 v146, 0
	v_add_u32_e32 v146, 0x9c, v146
	v_subrev_u32_e32 v147, 39, v0
	s_movk_i32 s14, 0x19c
	s_mov_b64 s[6:7], 0
.LBB124_213:                            ; =>This Inner Loop Header: Depth=1
	buffer_load_dword v148, v146, s[0:3], 0 offen
	v_mov_b32_e32 v149, s14
	ds_read_b32 v149, v149
	v_add_u32_e32 v147, -1, v147
	s_add_i32 s14, s14, 4
	v_cmp_eq_u32_e32 vcc, 0, v147
	v_add_u32_e32 v146, 4, v146
	s_or_b64 s[6:7], vcc, s[6:7]
	s_waitcnt vmcnt(0) lgkmcnt(0)
	v_fmac_f32_e32 v145, v148, v149
	s_andn2_b64 exec, exec, s[6:7]
	s_cbranch_execnz .LBB124_213
; %bb.214:
	s_or_b64 exec, exec, s[6:7]
.LBB124_215:
	s_or_b64 exec, exec, s[12:13]
	v_mov_b32_e32 v146, 0
	ds_read_b32 v146, v146 offset:152
	s_waitcnt lgkmcnt(0)
	v_mul_f32_e32 v145, v145, v146
	buffer_store_dword v145, off, s[0:3], 0 offset:152
.LBB124_216:
	s_or_b64 exec, exec, s[8:9]
	buffer_load_dword v145, off, s[0:3], 0 offset:148
	v_cmp_lt_u32_e64 s[6:7], 37, v0
	s_waitcnt vmcnt(0)
	ds_write_b32 v124, v145
	s_waitcnt lgkmcnt(0)
	; wave barrier
	s_waitcnt lgkmcnt(0)
	s_and_saveexec_b64 s[8:9], s[6:7]
	s_cbranch_execz .LBB124_226
; %bb.217:
	s_andn2_b64 vcc, exec, s[10:11]
	s_cbranch_vccnz .LBB124_219
; %bb.218:
	buffer_load_dword v145, v125, s[0:3], 0 offen
	ds_read_b32 v146, v124
	s_waitcnt vmcnt(0) lgkmcnt(0)
	v_mul_f32_e32 v145, v145, v146
	s_cbranch_execz .LBB124_220
	s_branch .LBB124_221
.LBB124_219:
                                        ; implicit-def: $vgpr145
.LBB124_220:
	ds_read_b32 v145, v124
.LBB124_221:
	s_and_saveexec_b64 s[12:13], s[4:5]
	s_cbranch_execz .LBB124_225
; %bb.222:
	v_subrev_u32_e32 v146, 38, v0
	s_movk_i32 s14, 0x198
	s_mov_b64 s[4:5], 0
.LBB124_223:                            ; =>This Inner Loop Header: Depth=1
	buffer_load_dword v147, v144, s[0:3], 0 offen
	v_mov_b32_e32 v148, s14
	ds_read_b32 v148, v148
	v_add_u32_e32 v146, -1, v146
	s_add_i32 s14, s14, 4
	v_cmp_eq_u32_e32 vcc, 0, v146
	v_add_u32_e32 v144, 4, v144
	s_or_b64 s[4:5], vcc, s[4:5]
	s_waitcnt vmcnt(0) lgkmcnt(0)
	v_fmac_f32_e32 v145, v147, v148
	s_andn2_b64 exec, exec, s[4:5]
	s_cbranch_execnz .LBB124_223
; %bb.224:
	s_or_b64 exec, exec, s[4:5]
.LBB124_225:
	s_or_b64 exec, exec, s[12:13]
	v_mov_b32_e32 v144, 0
	ds_read_b32 v144, v144 offset:148
	s_waitcnt lgkmcnt(0)
	v_mul_f32_e32 v144, v145, v144
	buffer_store_dword v144, off, s[0:3], 0 offset:148
.LBB124_226:
	s_or_b64 exec, exec, s[8:9]
	buffer_load_dword v144, off, s[0:3], 0 offset:144
	v_cmp_lt_u32_e64 s[4:5], 36, v0
	s_waitcnt vmcnt(0)
	ds_write_b32 v124, v144
	s_waitcnt lgkmcnt(0)
	; wave barrier
	s_waitcnt lgkmcnt(0)
	s_and_saveexec_b64 s[8:9], s[4:5]
	s_cbranch_execz .LBB124_236
; %bb.227:
	s_andn2_b64 vcc, exec, s[10:11]
	s_cbranch_vccnz .LBB124_229
; %bb.228:
	buffer_load_dword v144, v125, s[0:3], 0 offen
	ds_read_b32 v145, v124
	s_waitcnt vmcnt(0) lgkmcnt(0)
	v_mul_f32_e32 v144, v144, v145
	s_cbranch_execz .LBB124_230
	s_branch .LBB124_231
.LBB124_229:
                                        ; implicit-def: $vgpr144
.LBB124_230:
	ds_read_b32 v144, v124
.LBB124_231:
	s_and_saveexec_b64 s[12:13], s[6:7]
	s_cbranch_execz .LBB124_235
; %bb.232:
	v_mov_b32_e32 v145, 0
	v_add_u32_e32 v145, 0x94, v145
	v_subrev_u32_e32 v146, 37, v0
	s_movk_i32 s14, 0x194
	s_mov_b64 s[6:7], 0
.LBB124_233:                            ; =>This Inner Loop Header: Depth=1
	buffer_load_dword v147, v145, s[0:3], 0 offen
	v_mov_b32_e32 v148, s14
	ds_read_b32 v148, v148
	v_add_u32_e32 v146, -1, v146
	s_add_i32 s14, s14, 4
	v_cmp_eq_u32_e32 vcc, 0, v146
	v_add_u32_e32 v145, 4, v145
	s_or_b64 s[6:7], vcc, s[6:7]
	s_waitcnt vmcnt(0) lgkmcnt(0)
	v_fmac_f32_e32 v144, v147, v148
	s_andn2_b64 exec, exec, s[6:7]
	s_cbranch_execnz .LBB124_233
; %bb.234:
	s_or_b64 exec, exec, s[6:7]
.LBB124_235:
	s_or_b64 exec, exec, s[12:13]
	v_mov_b32_e32 v145, 0
	ds_read_b32 v145, v145 offset:144
	s_waitcnt lgkmcnt(0)
	v_mul_f32_e32 v144, v144, v145
	buffer_store_dword v144, off, s[0:3], 0 offset:144
.LBB124_236:
	s_or_b64 exec, exec, s[8:9]
	buffer_load_dword v144, off, s[0:3], 0 offset:140
	v_cmp_lt_u32_e64 s[6:7], 35, v0
	s_waitcnt vmcnt(0)
	ds_write_b32 v124, v144
	s_waitcnt lgkmcnt(0)
	; wave barrier
	s_waitcnt lgkmcnt(0)
	s_and_saveexec_b64 s[8:9], s[6:7]
	s_cbranch_execz .LBB124_246
; %bb.237:
	s_andn2_b64 vcc, exec, s[10:11]
	s_cbranch_vccnz .LBB124_239
; %bb.238:
	buffer_load_dword v144, v125, s[0:3], 0 offen
	ds_read_b32 v145, v124
	s_waitcnt vmcnt(0) lgkmcnt(0)
	v_mul_f32_e32 v144, v144, v145
	s_cbranch_execz .LBB124_240
	s_branch .LBB124_241
.LBB124_239:
                                        ; implicit-def: $vgpr144
.LBB124_240:
	ds_read_b32 v144, v124
.LBB124_241:
	s_and_saveexec_b64 s[12:13], s[4:5]
	s_cbranch_execz .LBB124_245
; %bb.242:
	v_subrev_u32_e32 v145, 36, v0
	s_movk_i32 s14, 0x190
	s_mov_b64 s[4:5], 0
.LBB124_243:                            ; =>This Inner Loop Header: Depth=1
	buffer_load_dword v146, v143, s[0:3], 0 offen
	v_mov_b32_e32 v147, s14
	ds_read_b32 v147, v147
	v_add_u32_e32 v145, -1, v145
	s_add_i32 s14, s14, 4
	v_cmp_eq_u32_e32 vcc, 0, v145
	v_add_u32_e32 v143, 4, v143
	s_or_b64 s[4:5], vcc, s[4:5]
	s_waitcnt vmcnt(0) lgkmcnt(0)
	v_fmac_f32_e32 v144, v146, v147
	s_andn2_b64 exec, exec, s[4:5]
	s_cbranch_execnz .LBB124_243
; %bb.244:
	s_or_b64 exec, exec, s[4:5]
.LBB124_245:
	s_or_b64 exec, exec, s[12:13]
	v_mov_b32_e32 v143, 0
	ds_read_b32 v143, v143 offset:140
	s_waitcnt lgkmcnt(0)
	v_mul_f32_e32 v143, v144, v143
	buffer_store_dword v143, off, s[0:3], 0 offset:140
.LBB124_246:
	s_or_b64 exec, exec, s[8:9]
	buffer_load_dword v143, off, s[0:3], 0 offset:136
	v_cmp_lt_u32_e64 s[4:5], 34, v0
	s_waitcnt vmcnt(0)
	ds_write_b32 v124, v143
	s_waitcnt lgkmcnt(0)
	; wave barrier
	s_waitcnt lgkmcnt(0)
	s_and_saveexec_b64 s[8:9], s[4:5]
	s_cbranch_execz .LBB124_256
; %bb.247:
	s_andn2_b64 vcc, exec, s[10:11]
	s_cbranch_vccnz .LBB124_249
; %bb.248:
	buffer_load_dword v143, v125, s[0:3], 0 offen
	ds_read_b32 v144, v124
	s_waitcnt vmcnt(0) lgkmcnt(0)
	v_mul_f32_e32 v143, v143, v144
	s_cbranch_execz .LBB124_250
	s_branch .LBB124_251
.LBB124_249:
                                        ; implicit-def: $vgpr143
.LBB124_250:
	ds_read_b32 v143, v124
.LBB124_251:
	s_and_saveexec_b64 s[12:13], s[6:7]
	s_cbranch_execz .LBB124_255
; %bb.252:
	v_mov_b32_e32 v144, 0
	v_add_u32_e32 v144, 0x8c, v144
	v_subrev_u32_e32 v145, 35, v0
	s_movk_i32 s14, 0x18c
	s_mov_b64 s[6:7], 0
.LBB124_253:                            ; =>This Inner Loop Header: Depth=1
	buffer_load_dword v146, v144, s[0:3], 0 offen
	v_mov_b32_e32 v147, s14
	ds_read_b32 v147, v147
	v_add_u32_e32 v145, -1, v145
	s_add_i32 s14, s14, 4
	v_cmp_eq_u32_e32 vcc, 0, v145
	v_add_u32_e32 v144, 4, v144
	s_or_b64 s[6:7], vcc, s[6:7]
	s_waitcnt vmcnt(0) lgkmcnt(0)
	v_fmac_f32_e32 v143, v146, v147
	s_andn2_b64 exec, exec, s[6:7]
	s_cbranch_execnz .LBB124_253
; %bb.254:
	s_or_b64 exec, exec, s[6:7]
.LBB124_255:
	s_or_b64 exec, exec, s[12:13]
	v_mov_b32_e32 v144, 0
	ds_read_b32 v144, v144 offset:136
	s_waitcnt lgkmcnt(0)
	v_mul_f32_e32 v143, v143, v144
	buffer_store_dword v143, off, s[0:3], 0 offset:136
.LBB124_256:
	s_or_b64 exec, exec, s[8:9]
	buffer_load_dword v143, off, s[0:3], 0 offset:132
	v_cmp_lt_u32_e64 s[6:7], 33, v0
	s_waitcnt vmcnt(0)
	ds_write_b32 v124, v143
	s_waitcnt lgkmcnt(0)
	; wave barrier
	s_waitcnt lgkmcnt(0)
	s_and_saveexec_b64 s[8:9], s[6:7]
	s_cbranch_execz .LBB124_266
; %bb.257:
	s_andn2_b64 vcc, exec, s[10:11]
	s_cbranch_vccnz .LBB124_259
; %bb.258:
	buffer_load_dword v143, v125, s[0:3], 0 offen
	ds_read_b32 v144, v124
	s_waitcnt vmcnt(0) lgkmcnt(0)
	v_mul_f32_e32 v143, v143, v144
	s_cbranch_execz .LBB124_260
	s_branch .LBB124_261
.LBB124_259:
                                        ; implicit-def: $vgpr143
.LBB124_260:
	ds_read_b32 v143, v124
.LBB124_261:
	s_and_saveexec_b64 s[12:13], s[4:5]
	s_cbranch_execz .LBB124_265
; %bb.262:
	v_subrev_u32_e32 v144, 34, v0
	s_movk_i32 s14, 0x188
	s_mov_b64 s[4:5], 0
.LBB124_263:                            ; =>This Inner Loop Header: Depth=1
	buffer_load_dword v145, v142, s[0:3], 0 offen
	v_mov_b32_e32 v146, s14
	ds_read_b32 v146, v146
	v_add_u32_e32 v144, -1, v144
	s_add_i32 s14, s14, 4
	v_cmp_eq_u32_e32 vcc, 0, v144
	v_add_u32_e32 v142, 4, v142
	s_or_b64 s[4:5], vcc, s[4:5]
	s_waitcnt vmcnt(0) lgkmcnt(0)
	v_fmac_f32_e32 v143, v145, v146
	s_andn2_b64 exec, exec, s[4:5]
	s_cbranch_execnz .LBB124_263
; %bb.264:
	s_or_b64 exec, exec, s[4:5]
.LBB124_265:
	s_or_b64 exec, exec, s[12:13]
	v_mov_b32_e32 v142, 0
	ds_read_b32 v142, v142 offset:132
	s_waitcnt lgkmcnt(0)
	v_mul_f32_e32 v142, v143, v142
	buffer_store_dword v142, off, s[0:3], 0 offset:132
.LBB124_266:
	s_or_b64 exec, exec, s[8:9]
	buffer_load_dword v142, off, s[0:3], 0 offset:128
	v_cmp_lt_u32_e64 s[4:5], 32, v0
	s_waitcnt vmcnt(0)
	ds_write_b32 v124, v142
	s_waitcnt lgkmcnt(0)
	; wave barrier
	s_waitcnt lgkmcnt(0)
	s_and_saveexec_b64 s[8:9], s[4:5]
	s_cbranch_execz .LBB124_276
; %bb.267:
	s_andn2_b64 vcc, exec, s[10:11]
	s_cbranch_vccnz .LBB124_269
; %bb.268:
	buffer_load_dword v142, v125, s[0:3], 0 offen
	ds_read_b32 v143, v124
	s_waitcnt vmcnt(0) lgkmcnt(0)
	v_mul_f32_e32 v142, v142, v143
	s_cbranch_execz .LBB124_270
	s_branch .LBB124_271
.LBB124_269:
                                        ; implicit-def: $vgpr142
.LBB124_270:
	ds_read_b32 v142, v124
.LBB124_271:
	s_and_saveexec_b64 s[12:13], s[6:7]
	s_cbranch_execz .LBB124_275
; %bb.272:
	v_mov_b32_e32 v143, 0
	v_add_u32_e32 v143, 0x84, v143
	v_subrev_u32_e32 v144, 33, v0
	s_movk_i32 s14, 0x184
	s_mov_b64 s[6:7], 0
.LBB124_273:                            ; =>This Inner Loop Header: Depth=1
	buffer_load_dword v145, v143, s[0:3], 0 offen
	v_mov_b32_e32 v146, s14
	ds_read_b32 v146, v146
	v_add_u32_e32 v144, -1, v144
	s_add_i32 s14, s14, 4
	v_cmp_eq_u32_e32 vcc, 0, v144
	v_add_u32_e32 v143, 4, v143
	s_or_b64 s[6:7], vcc, s[6:7]
	s_waitcnt vmcnt(0) lgkmcnt(0)
	v_fmac_f32_e32 v142, v145, v146
	s_andn2_b64 exec, exec, s[6:7]
	s_cbranch_execnz .LBB124_273
; %bb.274:
	s_or_b64 exec, exec, s[6:7]
.LBB124_275:
	s_or_b64 exec, exec, s[12:13]
	v_mov_b32_e32 v143, 0
	ds_read_b32 v143, v143 offset:128
	s_waitcnt lgkmcnt(0)
	v_mul_f32_e32 v142, v142, v143
	buffer_store_dword v142, off, s[0:3], 0 offset:128
.LBB124_276:
	s_or_b64 exec, exec, s[8:9]
	buffer_load_dword v142, off, s[0:3], 0 offset:124
	v_cmp_lt_u32_e64 s[6:7], 31, v0
	s_waitcnt vmcnt(0)
	ds_write_b32 v124, v142
	s_waitcnt lgkmcnt(0)
	; wave barrier
	s_waitcnt lgkmcnt(0)
	s_and_saveexec_b64 s[8:9], s[6:7]
	s_cbranch_execz .LBB124_286
; %bb.277:
	s_andn2_b64 vcc, exec, s[10:11]
	s_cbranch_vccnz .LBB124_279
; %bb.278:
	buffer_load_dword v142, v125, s[0:3], 0 offen
	ds_read_b32 v143, v124
	s_waitcnt vmcnt(0) lgkmcnt(0)
	v_mul_f32_e32 v142, v142, v143
	s_cbranch_execz .LBB124_280
	s_branch .LBB124_281
.LBB124_279:
                                        ; implicit-def: $vgpr142
.LBB124_280:
	ds_read_b32 v142, v124
.LBB124_281:
	s_and_saveexec_b64 s[12:13], s[4:5]
	s_cbranch_execz .LBB124_285
; %bb.282:
	v_subrev_u32_e32 v143, 32, v0
	s_movk_i32 s14, 0x180
	s_mov_b64 s[4:5], 0
.LBB124_283:                            ; =>This Inner Loop Header: Depth=1
	buffer_load_dword v144, v141, s[0:3], 0 offen
	v_mov_b32_e32 v145, s14
	ds_read_b32 v145, v145
	v_add_u32_e32 v143, -1, v143
	s_add_i32 s14, s14, 4
	v_cmp_eq_u32_e32 vcc, 0, v143
	v_add_u32_e32 v141, 4, v141
	s_or_b64 s[4:5], vcc, s[4:5]
	s_waitcnt vmcnt(0) lgkmcnt(0)
	v_fmac_f32_e32 v142, v144, v145
	s_andn2_b64 exec, exec, s[4:5]
	s_cbranch_execnz .LBB124_283
; %bb.284:
	s_or_b64 exec, exec, s[4:5]
.LBB124_285:
	s_or_b64 exec, exec, s[12:13]
	v_mov_b32_e32 v141, 0
	ds_read_b32 v141, v141 offset:124
	s_waitcnt lgkmcnt(0)
	v_mul_f32_e32 v141, v142, v141
	buffer_store_dword v141, off, s[0:3], 0 offset:124
.LBB124_286:
	s_or_b64 exec, exec, s[8:9]
	buffer_load_dword v141, off, s[0:3], 0 offset:120
	v_cmp_lt_u32_e64 s[4:5], 30, v0
	s_waitcnt vmcnt(0)
	ds_write_b32 v124, v141
	s_waitcnt lgkmcnt(0)
	; wave barrier
	s_waitcnt lgkmcnt(0)
	s_and_saveexec_b64 s[8:9], s[4:5]
	s_cbranch_execz .LBB124_296
; %bb.287:
	s_andn2_b64 vcc, exec, s[10:11]
	s_cbranch_vccnz .LBB124_289
; %bb.288:
	buffer_load_dword v141, v125, s[0:3], 0 offen
	ds_read_b32 v142, v124
	s_waitcnt vmcnt(0) lgkmcnt(0)
	v_mul_f32_e32 v141, v141, v142
	s_cbranch_execz .LBB124_290
	s_branch .LBB124_291
.LBB124_289:
                                        ; implicit-def: $vgpr141
.LBB124_290:
	ds_read_b32 v141, v124
.LBB124_291:
	s_and_saveexec_b64 s[12:13], s[6:7]
	s_cbranch_execz .LBB124_295
; %bb.292:
	v_mov_b32_e32 v142, 0
	v_add_u32_e32 v142, 0x7c, v142
	v_subrev_u32_e32 v143, 31, v0
	s_movk_i32 s14, 0x17c
	s_mov_b64 s[6:7], 0
.LBB124_293:                            ; =>This Inner Loop Header: Depth=1
	buffer_load_dword v144, v142, s[0:3], 0 offen
	v_mov_b32_e32 v145, s14
	ds_read_b32 v145, v145
	v_add_u32_e32 v143, -1, v143
	s_add_i32 s14, s14, 4
	v_cmp_eq_u32_e32 vcc, 0, v143
	v_add_u32_e32 v142, 4, v142
	s_or_b64 s[6:7], vcc, s[6:7]
	s_waitcnt vmcnt(0) lgkmcnt(0)
	v_fmac_f32_e32 v141, v144, v145
	s_andn2_b64 exec, exec, s[6:7]
	s_cbranch_execnz .LBB124_293
; %bb.294:
	s_or_b64 exec, exec, s[6:7]
.LBB124_295:
	s_or_b64 exec, exec, s[12:13]
	v_mov_b32_e32 v142, 0
	ds_read_b32 v142, v142 offset:120
	s_waitcnt lgkmcnt(0)
	v_mul_f32_e32 v141, v141, v142
	buffer_store_dword v141, off, s[0:3], 0 offset:120
.LBB124_296:
	s_or_b64 exec, exec, s[8:9]
	buffer_load_dword v141, off, s[0:3], 0 offset:116
	v_cmp_lt_u32_e64 s[6:7], 29, v0
	s_waitcnt vmcnt(0)
	ds_write_b32 v124, v141
	s_waitcnt lgkmcnt(0)
	; wave barrier
	s_waitcnt lgkmcnt(0)
	s_and_saveexec_b64 s[8:9], s[6:7]
	s_cbranch_execz .LBB124_306
; %bb.297:
	s_andn2_b64 vcc, exec, s[10:11]
	s_cbranch_vccnz .LBB124_299
; %bb.298:
	buffer_load_dword v141, v125, s[0:3], 0 offen
	ds_read_b32 v142, v124
	s_waitcnt vmcnt(0) lgkmcnt(0)
	v_mul_f32_e32 v141, v141, v142
	s_cbranch_execz .LBB124_300
	s_branch .LBB124_301
.LBB124_299:
                                        ; implicit-def: $vgpr141
.LBB124_300:
	ds_read_b32 v141, v124
.LBB124_301:
	s_and_saveexec_b64 s[12:13], s[4:5]
	s_cbranch_execz .LBB124_305
; %bb.302:
	v_subrev_u32_e32 v142, 30, v0
	s_movk_i32 s14, 0x178
	s_mov_b64 s[4:5], 0
.LBB124_303:                            ; =>This Inner Loop Header: Depth=1
	buffer_load_dword v143, v140, s[0:3], 0 offen
	v_mov_b32_e32 v144, s14
	ds_read_b32 v144, v144
	v_add_u32_e32 v142, -1, v142
	s_add_i32 s14, s14, 4
	v_cmp_eq_u32_e32 vcc, 0, v142
	v_add_u32_e32 v140, 4, v140
	s_or_b64 s[4:5], vcc, s[4:5]
	s_waitcnt vmcnt(0) lgkmcnt(0)
	v_fmac_f32_e32 v141, v143, v144
	s_andn2_b64 exec, exec, s[4:5]
	s_cbranch_execnz .LBB124_303
; %bb.304:
	s_or_b64 exec, exec, s[4:5]
.LBB124_305:
	s_or_b64 exec, exec, s[12:13]
	v_mov_b32_e32 v140, 0
	ds_read_b32 v140, v140 offset:116
	s_waitcnt lgkmcnt(0)
	v_mul_f32_e32 v140, v141, v140
	buffer_store_dword v140, off, s[0:3], 0 offset:116
.LBB124_306:
	s_or_b64 exec, exec, s[8:9]
	buffer_load_dword v140, off, s[0:3], 0 offset:112
	v_cmp_lt_u32_e64 s[4:5], 28, v0
	s_waitcnt vmcnt(0)
	ds_write_b32 v124, v140
	s_waitcnt lgkmcnt(0)
	; wave barrier
	s_waitcnt lgkmcnt(0)
	s_and_saveexec_b64 s[8:9], s[4:5]
	s_cbranch_execz .LBB124_316
; %bb.307:
	s_andn2_b64 vcc, exec, s[10:11]
	s_cbranch_vccnz .LBB124_309
; %bb.308:
	buffer_load_dword v140, v125, s[0:3], 0 offen
	ds_read_b32 v141, v124
	s_waitcnt vmcnt(0) lgkmcnt(0)
	v_mul_f32_e32 v140, v140, v141
	s_cbranch_execz .LBB124_310
	s_branch .LBB124_311
.LBB124_309:
                                        ; implicit-def: $vgpr140
.LBB124_310:
	ds_read_b32 v140, v124
.LBB124_311:
	s_and_saveexec_b64 s[12:13], s[6:7]
	s_cbranch_execz .LBB124_315
; %bb.312:
	v_mov_b32_e32 v141, 0
	v_add_u32_e32 v141, 0x74, v141
	v_subrev_u32_e32 v142, 29, v0
	s_movk_i32 s14, 0x174
	s_mov_b64 s[6:7], 0
.LBB124_313:                            ; =>This Inner Loop Header: Depth=1
	buffer_load_dword v143, v141, s[0:3], 0 offen
	v_mov_b32_e32 v144, s14
	ds_read_b32 v144, v144
	v_add_u32_e32 v142, -1, v142
	s_add_i32 s14, s14, 4
	v_cmp_eq_u32_e32 vcc, 0, v142
	v_add_u32_e32 v141, 4, v141
	s_or_b64 s[6:7], vcc, s[6:7]
	s_waitcnt vmcnt(0) lgkmcnt(0)
	v_fmac_f32_e32 v140, v143, v144
	s_andn2_b64 exec, exec, s[6:7]
	s_cbranch_execnz .LBB124_313
; %bb.314:
	s_or_b64 exec, exec, s[6:7]
.LBB124_315:
	s_or_b64 exec, exec, s[12:13]
	v_mov_b32_e32 v141, 0
	ds_read_b32 v141, v141 offset:112
	s_waitcnt lgkmcnt(0)
	v_mul_f32_e32 v140, v140, v141
	buffer_store_dword v140, off, s[0:3], 0 offset:112
.LBB124_316:
	s_or_b64 exec, exec, s[8:9]
	buffer_load_dword v140, off, s[0:3], 0 offset:108
	v_cmp_lt_u32_e64 s[6:7], 27, v0
	s_waitcnt vmcnt(0)
	ds_write_b32 v124, v140
	s_waitcnt lgkmcnt(0)
	; wave barrier
	s_waitcnt lgkmcnt(0)
	s_and_saveexec_b64 s[8:9], s[6:7]
	s_cbranch_execz .LBB124_326
; %bb.317:
	s_andn2_b64 vcc, exec, s[10:11]
	s_cbranch_vccnz .LBB124_319
; %bb.318:
	buffer_load_dword v140, v125, s[0:3], 0 offen
	ds_read_b32 v141, v124
	s_waitcnt vmcnt(0) lgkmcnt(0)
	v_mul_f32_e32 v140, v140, v141
	s_cbranch_execz .LBB124_320
	s_branch .LBB124_321
.LBB124_319:
                                        ; implicit-def: $vgpr140
.LBB124_320:
	ds_read_b32 v140, v124
.LBB124_321:
	s_and_saveexec_b64 s[12:13], s[4:5]
	s_cbranch_execz .LBB124_325
; %bb.322:
	v_subrev_u32_e32 v141, 28, v0
	s_movk_i32 s14, 0x170
	s_mov_b64 s[4:5], 0
.LBB124_323:                            ; =>This Inner Loop Header: Depth=1
	buffer_load_dword v142, v139, s[0:3], 0 offen
	v_mov_b32_e32 v143, s14
	ds_read_b32 v143, v143
	v_add_u32_e32 v141, -1, v141
	s_add_i32 s14, s14, 4
	v_cmp_eq_u32_e32 vcc, 0, v141
	v_add_u32_e32 v139, 4, v139
	s_or_b64 s[4:5], vcc, s[4:5]
	s_waitcnt vmcnt(0) lgkmcnt(0)
	v_fmac_f32_e32 v140, v142, v143
	s_andn2_b64 exec, exec, s[4:5]
	s_cbranch_execnz .LBB124_323
; %bb.324:
	s_or_b64 exec, exec, s[4:5]
.LBB124_325:
	s_or_b64 exec, exec, s[12:13]
	v_mov_b32_e32 v139, 0
	ds_read_b32 v139, v139 offset:108
	s_waitcnt lgkmcnt(0)
	v_mul_f32_e32 v139, v140, v139
	buffer_store_dword v139, off, s[0:3], 0 offset:108
.LBB124_326:
	s_or_b64 exec, exec, s[8:9]
	buffer_load_dword v139, off, s[0:3], 0 offset:104
	v_cmp_lt_u32_e64 s[4:5], 26, v0
	s_waitcnt vmcnt(0)
	ds_write_b32 v124, v139
	s_waitcnt lgkmcnt(0)
	; wave barrier
	s_waitcnt lgkmcnt(0)
	s_and_saveexec_b64 s[8:9], s[4:5]
	s_cbranch_execz .LBB124_336
; %bb.327:
	s_andn2_b64 vcc, exec, s[10:11]
	s_cbranch_vccnz .LBB124_329
; %bb.328:
	buffer_load_dword v139, v125, s[0:3], 0 offen
	ds_read_b32 v140, v124
	s_waitcnt vmcnt(0) lgkmcnt(0)
	v_mul_f32_e32 v139, v139, v140
	s_cbranch_execz .LBB124_330
	s_branch .LBB124_331
.LBB124_329:
                                        ; implicit-def: $vgpr139
.LBB124_330:
	ds_read_b32 v139, v124
.LBB124_331:
	s_and_saveexec_b64 s[12:13], s[6:7]
	s_cbranch_execz .LBB124_335
; %bb.332:
	v_mov_b32_e32 v140, 0
	v_add_u32_e32 v140, 0x6c, v140
	v_subrev_u32_e32 v141, 27, v0
	s_movk_i32 s14, 0x16c
	s_mov_b64 s[6:7], 0
.LBB124_333:                            ; =>This Inner Loop Header: Depth=1
	buffer_load_dword v142, v140, s[0:3], 0 offen
	v_mov_b32_e32 v143, s14
	ds_read_b32 v143, v143
	v_add_u32_e32 v141, -1, v141
	s_add_i32 s14, s14, 4
	v_cmp_eq_u32_e32 vcc, 0, v141
	v_add_u32_e32 v140, 4, v140
	s_or_b64 s[6:7], vcc, s[6:7]
	s_waitcnt vmcnt(0) lgkmcnt(0)
	v_fmac_f32_e32 v139, v142, v143
	s_andn2_b64 exec, exec, s[6:7]
	s_cbranch_execnz .LBB124_333
; %bb.334:
	s_or_b64 exec, exec, s[6:7]
.LBB124_335:
	s_or_b64 exec, exec, s[12:13]
	v_mov_b32_e32 v140, 0
	ds_read_b32 v140, v140 offset:104
	s_waitcnt lgkmcnt(0)
	v_mul_f32_e32 v139, v139, v140
	buffer_store_dword v139, off, s[0:3], 0 offset:104
.LBB124_336:
	s_or_b64 exec, exec, s[8:9]
	buffer_load_dword v139, off, s[0:3], 0 offset:100
	v_cmp_lt_u32_e64 s[6:7], 25, v0
	s_waitcnt vmcnt(0)
	ds_write_b32 v124, v139
	s_waitcnt lgkmcnt(0)
	; wave barrier
	s_waitcnt lgkmcnt(0)
	s_and_saveexec_b64 s[8:9], s[6:7]
	s_cbranch_execz .LBB124_346
; %bb.337:
	s_andn2_b64 vcc, exec, s[10:11]
	s_cbranch_vccnz .LBB124_339
; %bb.338:
	buffer_load_dword v139, v125, s[0:3], 0 offen
	ds_read_b32 v140, v124
	s_waitcnt vmcnt(0) lgkmcnt(0)
	v_mul_f32_e32 v139, v139, v140
	s_cbranch_execz .LBB124_340
	s_branch .LBB124_341
.LBB124_339:
                                        ; implicit-def: $vgpr139
.LBB124_340:
	ds_read_b32 v139, v124
.LBB124_341:
	s_and_saveexec_b64 s[12:13], s[4:5]
	s_cbranch_execz .LBB124_345
; %bb.342:
	v_subrev_u32_e32 v140, 26, v0
	s_movk_i32 s14, 0x168
	s_mov_b64 s[4:5], 0
.LBB124_343:                            ; =>This Inner Loop Header: Depth=1
	buffer_load_dword v141, v138, s[0:3], 0 offen
	v_mov_b32_e32 v142, s14
	ds_read_b32 v142, v142
	v_add_u32_e32 v140, -1, v140
	s_add_i32 s14, s14, 4
	v_cmp_eq_u32_e32 vcc, 0, v140
	v_add_u32_e32 v138, 4, v138
	s_or_b64 s[4:5], vcc, s[4:5]
	s_waitcnt vmcnt(0) lgkmcnt(0)
	v_fmac_f32_e32 v139, v141, v142
	s_andn2_b64 exec, exec, s[4:5]
	s_cbranch_execnz .LBB124_343
; %bb.344:
	s_or_b64 exec, exec, s[4:5]
.LBB124_345:
	s_or_b64 exec, exec, s[12:13]
	v_mov_b32_e32 v138, 0
	ds_read_b32 v138, v138 offset:100
	s_waitcnt lgkmcnt(0)
	v_mul_f32_e32 v138, v139, v138
	buffer_store_dword v138, off, s[0:3], 0 offset:100
.LBB124_346:
	s_or_b64 exec, exec, s[8:9]
	buffer_load_dword v138, off, s[0:3], 0 offset:96
	v_cmp_lt_u32_e64 s[4:5], 24, v0
	s_waitcnt vmcnt(0)
	ds_write_b32 v124, v138
	s_waitcnt lgkmcnt(0)
	; wave barrier
	s_waitcnt lgkmcnt(0)
	s_and_saveexec_b64 s[8:9], s[4:5]
	s_cbranch_execz .LBB124_356
; %bb.347:
	s_andn2_b64 vcc, exec, s[10:11]
	s_cbranch_vccnz .LBB124_349
; %bb.348:
	buffer_load_dword v138, v125, s[0:3], 0 offen
	ds_read_b32 v139, v124
	s_waitcnt vmcnt(0) lgkmcnt(0)
	v_mul_f32_e32 v138, v138, v139
	s_cbranch_execz .LBB124_350
	s_branch .LBB124_351
.LBB124_349:
                                        ; implicit-def: $vgpr138
.LBB124_350:
	ds_read_b32 v138, v124
.LBB124_351:
	s_and_saveexec_b64 s[12:13], s[6:7]
	s_cbranch_execz .LBB124_355
; %bb.352:
	v_mov_b32_e32 v139, 0
	v_add_u32_e32 v139, 0x64, v139
	v_subrev_u32_e32 v140, 25, v0
	s_movk_i32 s14, 0x164
	s_mov_b64 s[6:7], 0
.LBB124_353:                            ; =>This Inner Loop Header: Depth=1
	buffer_load_dword v141, v139, s[0:3], 0 offen
	v_mov_b32_e32 v142, s14
	ds_read_b32 v142, v142
	v_add_u32_e32 v140, -1, v140
	s_add_i32 s14, s14, 4
	v_cmp_eq_u32_e32 vcc, 0, v140
	v_add_u32_e32 v139, 4, v139
	s_or_b64 s[6:7], vcc, s[6:7]
	s_waitcnt vmcnt(0) lgkmcnt(0)
	v_fmac_f32_e32 v138, v141, v142
	s_andn2_b64 exec, exec, s[6:7]
	s_cbranch_execnz .LBB124_353
; %bb.354:
	s_or_b64 exec, exec, s[6:7]
.LBB124_355:
	s_or_b64 exec, exec, s[12:13]
	v_mov_b32_e32 v139, 0
	ds_read_b32 v139, v139 offset:96
	s_waitcnt lgkmcnt(0)
	v_mul_f32_e32 v138, v138, v139
	buffer_store_dword v138, off, s[0:3], 0 offset:96
.LBB124_356:
	s_or_b64 exec, exec, s[8:9]
	buffer_load_dword v138, off, s[0:3], 0 offset:92
	v_cmp_lt_u32_e64 s[6:7], 23, v0
	s_waitcnt vmcnt(0)
	ds_write_b32 v124, v138
	s_waitcnt lgkmcnt(0)
	; wave barrier
	s_waitcnt lgkmcnt(0)
	s_and_saveexec_b64 s[8:9], s[6:7]
	s_cbranch_execz .LBB124_366
; %bb.357:
	s_andn2_b64 vcc, exec, s[10:11]
	s_cbranch_vccnz .LBB124_359
; %bb.358:
	buffer_load_dword v138, v125, s[0:3], 0 offen
	ds_read_b32 v139, v124
	s_waitcnt vmcnt(0) lgkmcnt(0)
	v_mul_f32_e32 v138, v138, v139
	s_cbranch_execz .LBB124_360
	s_branch .LBB124_361
.LBB124_359:
                                        ; implicit-def: $vgpr138
.LBB124_360:
	ds_read_b32 v138, v124
.LBB124_361:
	s_and_saveexec_b64 s[12:13], s[4:5]
	s_cbranch_execz .LBB124_365
; %bb.362:
	v_subrev_u32_e32 v139, 24, v0
	s_movk_i32 s14, 0x160
	s_mov_b64 s[4:5], 0
.LBB124_363:                            ; =>This Inner Loop Header: Depth=1
	buffer_load_dword v140, v137, s[0:3], 0 offen
	v_mov_b32_e32 v141, s14
	ds_read_b32 v141, v141
	v_add_u32_e32 v139, -1, v139
	s_add_i32 s14, s14, 4
	v_cmp_eq_u32_e32 vcc, 0, v139
	v_add_u32_e32 v137, 4, v137
	s_or_b64 s[4:5], vcc, s[4:5]
	s_waitcnt vmcnt(0) lgkmcnt(0)
	v_fmac_f32_e32 v138, v140, v141
	s_andn2_b64 exec, exec, s[4:5]
	s_cbranch_execnz .LBB124_363
; %bb.364:
	s_or_b64 exec, exec, s[4:5]
.LBB124_365:
	s_or_b64 exec, exec, s[12:13]
	v_mov_b32_e32 v137, 0
	ds_read_b32 v137, v137 offset:92
	s_waitcnt lgkmcnt(0)
	v_mul_f32_e32 v137, v138, v137
	buffer_store_dword v137, off, s[0:3], 0 offset:92
.LBB124_366:
	s_or_b64 exec, exec, s[8:9]
	buffer_load_dword v137, off, s[0:3], 0 offset:88
	v_cmp_lt_u32_e64 s[4:5], 22, v0
	s_waitcnt vmcnt(0)
	ds_write_b32 v124, v137
	s_waitcnt lgkmcnt(0)
	; wave barrier
	s_waitcnt lgkmcnt(0)
	s_and_saveexec_b64 s[8:9], s[4:5]
	s_cbranch_execz .LBB124_376
; %bb.367:
	s_andn2_b64 vcc, exec, s[10:11]
	s_cbranch_vccnz .LBB124_369
; %bb.368:
	buffer_load_dword v137, v125, s[0:3], 0 offen
	ds_read_b32 v138, v124
	s_waitcnt vmcnt(0) lgkmcnt(0)
	v_mul_f32_e32 v137, v137, v138
	s_cbranch_execz .LBB124_370
	s_branch .LBB124_371
.LBB124_369:
                                        ; implicit-def: $vgpr137
.LBB124_370:
	ds_read_b32 v137, v124
.LBB124_371:
	s_and_saveexec_b64 s[12:13], s[6:7]
	s_cbranch_execz .LBB124_375
; %bb.372:
	v_mov_b32_e32 v138, 0
	v_add_u32_e32 v138, 0x5c, v138
	v_subrev_u32_e32 v139, 23, v0
	s_movk_i32 s14, 0x15c
	s_mov_b64 s[6:7], 0
.LBB124_373:                            ; =>This Inner Loop Header: Depth=1
	buffer_load_dword v140, v138, s[0:3], 0 offen
	v_mov_b32_e32 v141, s14
	ds_read_b32 v141, v141
	v_add_u32_e32 v139, -1, v139
	s_add_i32 s14, s14, 4
	v_cmp_eq_u32_e32 vcc, 0, v139
	v_add_u32_e32 v138, 4, v138
	s_or_b64 s[6:7], vcc, s[6:7]
	s_waitcnt vmcnt(0) lgkmcnt(0)
	v_fmac_f32_e32 v137, v140, v141
	s_andn2_b64 exec, exec, s[6:7]
	s_cbranch_execnz .LBB124_373
; %bb.374:
	s_or_b64 exec, exec, s[6:7]
.LBB124_375:
	s_or_b64 exec, exec, s[12:13]
	v_mov_b32_e32 v138, 0
	ds_read_b32 v138, v138 offset:88
	s_waitcnt lgkmcnt(0)
	v_mul_f32_e32 v137, v137, v138
	buffer_store_dword v137, off, s[0:3], 0 offset:88
.LBB124_376:
	s_or_b64 exec, exec, s[8:9]
	buffer_load_dword v137, off, s[0:3], 0 offset:84
	v_cmp_lt_u32_e64 s[6:7], 21, v0
	s_waitcnt vmcnt(0)
	ds_write_b32 v124, v137
	s_waitcnt lgkmcnt(0)
	; wave barrier
	s_waitcnt lgkmcnt(0)
	s_and_saveexec_b64 s[8:9], s[6:7]
	s_cbranch_execz .LBB124_386
; %bb.377:
	s_andn2_b64 vcc, exec, s[10:11]
	s_cbranch_vccnz .LBB124_379
; %bb.378:
	buffer_load_dword v137, v125, s[0:3], 0 offen
	ds_read_b32 v138, v124
	s_waitcnt vmcnt(0) lgkmcnt(0)
	v_mul_f32_e32 v137, v137, v138
	s_cbranch_execz .LBB124_380
	s_branch .LBB124_381
.LBB124_379:
                                        ; implicit-def: $vgpr137
.LBB124_380:
	ds_read_b32 v137, v124
.LBB124_381:
	s_and_saveexec_b64 s[12:13], s[4:5]
	s_cbranch_execz .LBB124_385
; %bb.382:
	v_subrev_u32_e32 v138, 22, v0
	s_movk_i32 s14, 0x158
	s_mov_b64 s[4:5], 0
.LBB124_383:                            ; =>This Inner Loop Header: Depth=1
	buffer_load_dword v139, v136, s[0:3], 0 offen
	v_mov_b32_e32 v140, s14
	ds_read_b32 v140, v140
	v_add_u32_e32 v138, -1, v138
	s_add_i32 s14, s14, 4
	v_cmp_eq_u32_e32 vcc, 0, v138
	v_add_u32_e32 v136, 4, v136
	s_or_b64 s[4:5], vcc, s[4:5]
	s_waitcnt vmcnt(0) lgkmcnt(0)
	v_fmac_f32_e32 v137, v139, v140
	s_andn2_b64 exec, exec, s[4:5]
	s_cbranch_execnz .LBB124_383
; %bb.384:
	s_or_b64 exec, exec, s[4:5]
.LBB124_385:
	s_or_b64 exec, exec, s[12:13]
	v_mov_b32_e32 v136, 0
	ds_read_b32 v136, v136 offset:84
	s_waitcnt lgkmcnt(0)
	v_mul_f32_e32 v136, v137, v136
	buffer_store_dword v136, off, s[0:3], 0 offset:84
.LBB124_386:
	s_or_b64 exec, exec, s[8:9]
	buffer_load_dword v136, off, s[0:3], 0 offset:80
	v_cmp_lt_u32_e64 s[4:5], 20, v0
	s_waitcnt vmcnt(0)
	ds_write_b32 v124, v136
	s_waitcnt lgkmcnt(0)
	; wave barrier
	s_waitcnt lgkmcnt(0)
	s_and_saveexec_b64 s[8:9], s[4:5]
	s_cbranch_execz .LBB124_396
; %bb.387:
	s_andn2_b64 vcc, exec, s[10:11]
	s_cbranch_vccnz .LBB124_389
; %bb.388:
	buffer_load_dword v136, v125, s[0:3], 0 offen
	ds_read_b32 v137, v124
	s_waitcnt vmcnt(0) lgkmcnt(0)
	v_mul_f32_e32 v136, v136, v137
	s_cbranch_execz .LBB124_390
	s_branch .LBB124_391
.LBB124_389:
                                        ; implicit-def: $vgpr136
.LBB124_390:
	ds_read_b32 v136, v124
.LBB124_391:
	s_and_saveexec_b64 s[12:13], s[6:7]
	s_cbranch_execz .LBB124_395
; %bb.392:
	v_mov_b32_e32 v137, 0
	v_add_u32_e32 v137, 0x54, v137
	v_subrev_u32_e32 v138, 21, v0
	s_movk_i32 s14, 0x154
	s_mov_b64 s[6:7], 0
.LBB124_393:                            ; =>This Inner Loop Header: Depth=1
	buffer_load_dword v139, v137, s[0:3], 0 offen
	v_mov_b32_e32 v140, s14
	ds_read_b32 v140, v140
	v_add_u32_e32 v138, -1, v138
	s_add_i32 s14, s14, 4
	v_cmp_eq_u32_e32 vcc, 0, v138
	v_add_u32_e32 v137, 4, v137
	s_or_b64 s[6:7], vcc, s[6:7]
	s_waitcnt vmcnt(0) lgkmcnt(0)
	v_fmac_f32_e32 v136, v139, v140
	s_andn2_b64 exec, exec, s[6:7]
	s_cbranch_execnz .LBB124_393
; %bb.394:
	s_or_b64 exec, exec, s[6:7]
.LBB124_395:
	s_or_b64 exec, exec, s[12:13]
	v_mov_b32_e32 v137, 0
	ds_read_b32 v137, v137 offset:80
	s_waitcnt lgkmcnt(0)
	v_mul_f32_e32 v136, v136, v137
	buffer_store_dword v136, off, s[0:3], 0 offset:80
.LBB124_396:
	s_or_b64 exec, exec, s[8:9]
	buffer_load_dword v136, off, s[0:3], 0 offset:76
	v_cmp_lt_u32_e64 s[6:7], 19, v0
	s_waitcnt vmcnt(0)
	ds_write_b32 v124, v136
	s_waitcnt lgkmcnt(0)
	; wave barrier
	s_waitcnt lgkmcnt(0)
	s_and_saveexec_b64 s[8:9], s[6:7]
	s_cbranch_execz .LBB124_406
; %bb.397:
	s_andn2_b64 vcc, exec, s[10:11]
	s_cbranch_vccnz .LBB124_399
; %bb.398:
	buffer_load_dword v136, v125, s[0:3], 0 offen
	ds_read_b32 v137, v124
	s_waitcnt vmcnt(0) lgkmcnt(0)
	v_mul_f32_e32 v136, v136, v137
	s_cbranch_execz .LBB124_400
	s_branch .LBB124_401
.LBB124_399:
                                        ; implicit-def: $vgpr136
.LBB124_400:
	ds_read_b32 v136, v124
.LBB124_401:
	s_and_saveexec_b64 s[12:13], s[4:5]
	s_cbranch_execz .LBB124_405
; %bb.402:
	v_subrev_u32_e32 v137, 20, v0
	s_movk_i32 s14, 0x150
	s_mov_b64 s[4:5], 0
.LBB124_403:                            ; =>This Inner Loop Header: Depth=1
	buffer_load_dword v138, v135, s[0:3], 0 offen
	v_mov_b32_e32 v139, s14
	ds_read_b32 v139, v139
	v_add_u32_e32 v137, -1, v137
	s_add_i32 s14, s14, 4
	v_cmp_eq_u32_e32 vcc, 0, v137
	v_add_u32_e32 v135, 4, v135
	s_or_b64 s[4:5], vcc, s[4:5]
	s_waitcnt vmcnt(0) lgkmcnt(0)
	v_fmac_f32_e32 v136, v138, v139
	s_andn2_b64 exec, exec, s[4:5]
	s_cbranch_execnz .LBB124_403
; %bb.404:
	s_or_b64 exec, exec, s[4:5]
.LBB124_405:
	s_or_b64 exec, exec, s[12:13]
	v_mov_b32_e32 v135, 0
	ds_read_b32 v135, v135 offset:76
	s_waitcnt lgkmcnt(0)
	v_mul_f32_e32 v135, v136, v135
	buffer_store_dword v135, off, s[0:3], 0 offset:76
.LBB124_406:
	s_or_b64 exec, exec, s[8:9]
	buffer_load_dword v135, off, s[0:3], 0 offset:72
	v_cmp_lt_u32_e64 s[4:5], 18, v0
	s_waitcnt vmcnt(0)
	ds_write_b32 v124, v135
	s_waitcnt lgkmcnt(0)
	; wave barrier
	s_waitcnt lgkmcnt(0)
	s_and_saveexec_b64 s[8:9], s[4:5]
	s_cbranch_execz .LBB124_416
; %bb.407:
	s_andn2_b64 vcc, exec, s[10:11]
	s_cbranch_vccnz .LBB124_409
; %bb.408:
	buffer_load_dword v135, v125, s[0:3], 0 offen
	ds_read_b32 v136, v124
	s_waitcnt vmcnt(0) lgkmcnt(0)
	v_mul_f32_e32 v135, v135, v136
	s_cbranch_execz .LBB124_410
	s_branch .LBB124_411
.LBB124_409:
                                        ; implicit-def: $vgpr135
.LBB124_410:
	ds_read_b32 v135, v124
.LBB124_411:
	s_and_saveexec_b64 s[12:13], s[6:7]
	s_cbranch_execz .LBB124_415
; %bb.412:
	v_mov_b32_e32 v136, 0
	v_add_u32_e32 v136, 0x4c, v136
	v_subrev_u32_e32 v137, 19, v0
	s_movk_i32 s14, 0x14c
	s_mov_b64 s[6:7], 0
.LBB124_413:                            ; =>This Inner Loop Header: Depth=1
	buffer_load_dword v138, v136, s[0:3], 0 offen
	v_mov_b32_e32 v139, s14
	ds_read_b32 v139, v139
	v_add_u32_e32 v137, -1, v137
	s_add_i32 s14, s14, 4
	v_cmp_eq_u32_e32 vcc, 0, v137
	v_add_u32_e32 v136, 4, v136
	s_or_b64 s[6:7], vcc, s[6:7]
	s_waitcnt vmcnt(0) lgkmcnt(0)
	v_fmac_f32_e32 v135, v138, v139
	s_andn2_b64 exec, exec, s[6:7]
	s_cbranch_execnz .LBB124_413
; %bb.414:
	s_or_b64 exec, exec, s[6:7]
.LBB124_415:
	s_or_b64 exec, exec, s[12:13]
	v_mov_b32_e32 v136, 0
	ds_read_b32 v136, v136 offset:72
	s_waitcnt lgkmcnt(0)
	v_mul_f32_e32 v135, v135, v136
	buffer_store_dword v135, off, s[0:3], 0 offset:72
.LBB124_416:
	s_or_b64 exec, exec, s[8:9]
	buffer_load_dword v135, off, s[0:3], 0 offset:68
	v_cmp_lt_u32_e64 s[6:7], 17, v0
	s_waitcnt vmcnt(0)
	ds_write_b32 v124, v135
	s_waitcnt lgkmcnt(0)
	; wave barrier
	s_waitcnt lgkmcnt(0)
	s_and_saveexec_b64 s[8:9], s[6:7]
	s_cbranch_execz .LBB124_426
; %bb.417:
	s_andn2_b64 vcc, exec, s[10:11]
	s_cbranch_vccnz .LBB124_419
; %bb.418:
	buffer_load_dword v135, v125, s[0:3], 0 offen
	ds_read_b32 v136, v124
	s_waitcnt vmcnt(0) lgkmcnt(0)
	v_mul_f32_e32 v135, v135, v136
	s_cbranch_execz .LBB124_420
	s_branch .LBB124_421
.LBB124_419:
                                        ; implicit-def: $vgpr135
.LBB124_420:
	ds_read_b32 v135, v124
.LBB124_421:
	s_and_saveexec_b64 s[12:13], s[4:5]
	s_cbranch_execz .LBB124_425
; %bb.422:
	v_subrev_u32_e32 v136, 18, v0
	s_movk_i32 s14, 0x148
	s_mov_b64 s[4:5], 0
.LBB124_423:                            ; =>This Inner Loop Header: Depth=1
	buffer_load_dword v137, v134, s[0:3], 0 offen
	v_mov_b32_e32 v138, s14
	ds_read_b32 v138, v138
	v_add_u32_e32 v136, -1, v136
	s_add_i32 s14, s14, 4
	v_cmp_eq_u32_e32 vcc, 0, v136
	v_add_u32_e32 v134, 4, v134
	s_or_b64 s[4:5], vcc, s[4:5]
	s_waitcnt vmcnt(0) lgkmcnt(0)
	v_fmac_f32_e32 v135, v137, v138
	s_andn2_b64 exec, exec, s[4:5]
	s_cbranch_execnz .LBB124_423
; %bb.424:
	s_or_b64 exec, exec, s[4:5]
.LBB124_425:
	s_or_b64 exec, exec, s[12:13]
	v_mov_b32_e32 v134, 0
	ds_read_b32 v134, v134 offset:68
	s_waitcnt lgkmcnt(0)
	v_mul_f32_e32 v134, v135, v134
	buffer_store_dword v134, off, s[0:3], 0 offset:68
.LBB124_426:
	s_or_b64 exec, exec, s[8:9]
	buffer_load_dword v134, off, s[0:3], 0 offset:64
	v_cmp_lt_u32_e64 s[4:5], 16, v0
	s_waitcnt vmcnt(0)
	ds_write_b32 v124, v134
	s_waitcnt lgkmcnt(0)
	; wave barrier
	s_waitcnt lgkmcnt(0)
	s_and_saveexec_b64 s[8:9], s[4:5]
	s_cbranch_execz .LBB124_436
; %bb.427:
	s_andn2_b64 vcc, exec, s[10:11]
	s_cbranch_vccnz .LBB124_429
; %bb.428:
	buffer_load_dword v134, v125, s[0:3], 0 offen
	ds_read_b32 v135, v124
	s_waitcnt vmcnt(0) lgkmcnt(0)
	v_mul_f32_e32 v134, v134, v135
	s_cbranch_execz .LBB124_430
	s_branch .LBB124_431
.LBB124_429:
                                        ; implicit-def: $vgpr134
.LBB124_430:
	ds_read_b32 v134, v124
.LBB124_431:
	s_and_saveexec_b64 s[12:13], s[6:7]
	s_cbranch_execz .LBB124_435
; %bb.432:
	v_mov_b32_e32 v135, 0
	v_add_u32_e32 v135, 0x44, v135
	v_subrev_u32_e32 v136, 17, v0
	s_movk_i32 s14, 0x144
	s_mov_b64 s[6:7], 0
.LBB124_433:                            ; =>This Inner Loop Header: Depth=1
	buffer_load_dword v137, v135, s[0:3], 0 offen
	v_mov_b32_e32 v138, s14
	ds_read_b32 v138, v138
	v_add_u32_e32 v136, -1, v136
	s_add_i32 s14, s14, 4
	v_cmp_eq_u32_e32 vcc, 0, v136
	v_add_u32_e32 v135, 4, v135
	s_or_b64 s[6:7], vcc, s[6:7]
	s_waitcnt vmcnt(0) lgkmcnt(0)
	v_fmac_f32_e32 v134, v137, v138
	s_andn2_b64 exec, exec, s[6:7]
	s_cbranch_execnz .LBB124_433
; %bb.434:
	s_or_b64 exec, exec, s[6:7]
.LBB124_435:
	s_or_b64 exec, exec, s[12:13]
	v_mov_b32_e32 v135, 0
	ds_read_b32 v135, v135 offset:64
	s_waitcnt lgkmcnt(0)
	v_mul_f32_e32 v134, v134, v135
	buffer_store_dword v134, off, s[0:3], 0 offset:64
.LBB124_436:
	s_or_b64 exec, exec, s[8:9]
	buffer_load_dword v134, off, s[0:3], 0 offset:60
	v_cmp_lt_u32_e64 s[6:7], 15, v0
	s_waitcnt vmcnt(0)
	ds_write_b32 v124, v134
	s_waitcnt lgkmcnt(0)
	; wave barrier
	s_waitcnt lgkmcnt(0)
	s_and_saveexec_b64 s[8:9], s[6:7]
	s_cbranch_execz .LBB124_446
; %bb.437:
	s_andn2_b64 vcc, exec, s[10:11]
	s_cbranch_vccnz .LBB124_439
; %bb.438:
	buffer_load_dword v134, v125, s[0:3], 0 offen
	ds_read_b32 v135, v124
	s_waitcnt vmcnt(0) lgkmcnt(0)
	v_mul_f32_e32 v134, v134, v135
	s_cbranch_execz .LBB124_440
	s_branch .LBB124_441
.LBB124_439:
                                        ; implicit-def: $vgpr134
.LBB124_440:
	ds_read_b32 v134, v124
.LBB124_441:
	s_and_saveexec_b64 s[12:13], s[4:5]
	s_cbranch_execz .LBB124_445
; %bb.442:
	v_add_u32_e32 v135, -16, v0
	s_movk_i32 s14, 0x140
	s_mov_b64 s[4:5], 0
.LBB124_443:                            ; =>This Inner Loop Header: Depth=1
	buffer_load_dword v136, v133, s[0:3], 0 offen
	v_mov_b32_e32 v137, s14
	ds_read_b32 v137, v137
	v_add_u32_e32 v135, -1, v135
	s_add_i32 s14, s14, 4
	v_cmp_eq_u32_e32 vcc, 0, v135
	v_add_u32_e32 v133, 4, v133
	s_or_b64 s[4:5], vcc, s[4:5]
	s_waitcnt vmcnt(0) lgkmcnt(0)
	v_fmac_f32_e32 v134, v136, v137
	s_andn2_b64 exec, exec, s[4:5]
	s_cbranch_execnz .LBB124_443
; %bb.444:
	s_or_b64 exec, exec, s[4:5]
.LBB124_445:
	s_or_b64 exec, exec, s[12:13]
	v_mov_b32_e32 v133, 0
	ds_read_b32 v133, v133 offset:60
	s_waitcnt lgkmcnt(0)
	v_mul_f32_e32 v133, v134, v133
	buffer_store_dword v133, off, s[0:3], 0 offset:60
.LBB124_446:
	s_or_b64 exec, exec, s[8:9]
	buffer_load_dword v133, off, s[0:3], 0 offset:56
	v_cmp_lt_u32_e64 s[4:5], 14, v0
	s_waitcnt vmcnt(0)
	ds_write_b32 v124, v133
	s_waitcnt lgkmcnt(0)
	; wave barrier
	s_waitcnt lgkmcnt(0)
	s_and_saveexec_b64 s[8:9], s[4:5]
	s_cbranch_execz .LBB124_456
; %bb.447:
	s_andn2_b64 vcc, exec, s[10:11]
	s_cbranch_vccnz .LBB124_449
; %bb.448:
	buffer_load_dword v133, v125, s[0:3], 0 offen
	ds_read_b32 v134, v124
	s_waitcnt vmcnt(0) lgkmcnt(0)
	v_mul_f32_e32 v133, v133, v134
	s_cbranch_execz .LBB124_450
	s_branch .LBB124_451
.LBB124_449:
                                        ; implicit-def: $vgpr133
.LBB124_450:
	ds_read_b32 v133, v124
.LBB124_451:
	s_and_saveexec_b64 s[12:13], s[6:7]
	s_cbranch_execz .LBB124_455
; %bb.452:
	v_mov_b32_e32 v134, 0
	v_add_u32_e32 v134, 60, v134
	v_add_u32_e32 v135, -15, v0
	s_movk_i32 s14, 0x13c
	s_mov_b64 s[6:7], 0
.LBB124_453:                            ; =>This Inner Loop Header: Depth=1
	buffer_load_dword v136, v134, s[0:3], 0 offen
	v_mov_b32_e32 v137, s14
	ds_read_b32 v137, v137
	v_add_u32_e32 v135, -1, v135
	s_add_i32 s14, s14, 4
	v_cmp_eq_u32_e32 vcc, 0, v135
	v_add_u32_e32 v134, 4, v134
	s_or_b64 s[6:7], vcc, s[6:7]
	s_waitcnt vmcnt(0) lgkmcnt(0)
	v_fmac_f32_e32 v133, v136, v137
	s_andn2_b64 exec, exec, s[6:7]
	s_cbranch_execnz .LBB124_453
; %bb.454:
	s_or_b64 exec, exec, s[6:7]
.LBB124_455:
	s_or_b64 exec, exec, s[12:13]
	v_mov_b32_e32 v134, 0
	ds_read_b32 v134, v134 offset:56
	s_waitcnt lgkmcnt(0)
	v_mul_f32_e32 v133, v133, v134
	buffer_store_dword v133, off, s[0:3], 0 offset:56
.LBB124_456:
	s_or_b64 exec, exec, s[8:9]
	buffer_load_dword v133, off, s[0:3], 0 offset:52
	v_cmp_lt_u32_e64 s[6:7], 13, v0
	s_waitcnt vmcnt(0)
	ds_write_b32 v124, v133
	s_waitcnt lgkmcnt(0)
	; wave barrier
	s_waitcnt lgkmcnt(0)
	s_and_saveexec_b64 s[8:9], s[6:7]
	s_cbranch_execz .LBB124_466
; %bb.457:
	s_andn2_b64 vcc, exec, s[10:11]
	s_cbranch_vccnz .LBB124_459
; %bb.458:
	buffer_load_dword v133, v125, s[0:3], 0 offen
	ds_read_b32 v134, v124
	s_waitcnt vmcnt(0) lgkmcnt(0)
	v_mul_f32_e32 v133, v133, v134
	s_cbranch_execz .LBB124_460
	s_branch .LBB124_461
.LBB124_459:
                                        ; implicit-def: $vgpr133
.LBB124_460:
	ds_read_b32 v133, v124
.LBB124_461:
	s_and_saveexec_b64 s[12:13], s[4:5]
	s_cbranch_execz .LBB124_465
; %bb.462:
	v_add_u32_e32 v134, -14, v0
	s_movk_i32 s14, 0x138
	s_mov_b64 s[4:5], 0
.LBB124_463:                            ; =>This Inner Loop Header: Depth=1
	buffer_load_dword v135, v132, s[0:3], 0 offen
	v_mov_b32_e32 v136, s14
	ds_read_b32 v136, v136
	v_add_u32_e32 v134, -1, v134
	s_add_i32 s14, s14, 4
	v_cmp_eq_u32_e32 vcc, 0, v134
	v_add_u32_e32 v132, 4, v132
	s_or_b64 s[4:5], vcc, s[4:5]
	s_waitcnt vmcnt(0) lgkmcnt(0)
	v_fmac_f32_e32 v133, v135, v136
	s_andn2_b64 exec, exec, s[4:5]
	s_cbranch_execnz .LBB124_463
; %bb.464:
	s_or_b64 exec, exec, s[4:5]
.LBB124_465:
	s_or_b64 exec, exec, s[12:13]
	v_mov_b32_e32 v132, 0
	ds_read_b32 v132, v132 offset:52
	s_waitcnt lgkmcnt(0)
	v_mul_f32_e32 v132, v133, v132
	buffer_store_dword v132, off, s[0:3], 0 offset:52
.LBB124_466:
	s_or_b64 exec, exec, s[8:9]
	buffer_load_dword v132, off, s[0:3], 0 offset:48
	v_cmp_lt_u32_e64 s[4:5], 12, v0
	s_waitcnt vmcnt(0)
	ds_write_b32 v124, v132
	s_waitcnt lgkmcnt(0)
	; wave barrier
	s_waitcnt lgkmcnt(0)
	s_and_saveexec_b64 s[8:9], s[4:5]
	s_cbranch_execz .LBB124_476
; %bb.467:
	s_andn2_b64 vcc, exec, s[10:11]
	s_cbranch_vccnz .LBB124_469
; %bb.468:
	buffer_load_dword v132, v125, s[0:3], 0 offen
	ds_read_b32 v133, v124
	s_waitcnt vmcnt(0) lgkmcnt(0)
	v_mul_f32_e32 v132, v132, v133
	s_cbranch_execz .LBB124_470
	s_branch .LBB124_471
.LBB124_469:
                                        ; implicit-def: $vgpr132
.LBB124_470:
	ds_read_b32 v132, v124
.LBB124_471:
	s_and_saveexec_b64 s[12:13], s[6:7]
	s_cbranch_execz .LBB124_475
; %bb.472:
	v_mov_b32_e32 v133, 0
	v_add_u32_e32 v133, 52, v133
	v_add_u32_e32 v134, -13, v0
	s_movk_i32 s14, 0x134
	s_mov_b64 s[6:7], 0
.LBB124_473:                            ; =>This Inner Loop Header: Depth=1
	buffer_load_dword v135, v133, s[0:3], 0 offen
	v_mov_b32_e32 v136, s14
	ds_read_b32 v136, v136
	v_add_u32_e32 v134, -1, v134
	s_add_i32 s14, s14, 4
	v_cmp_eq_u32_e32 vcc, 0, v134
	v_add_u32_e32 v133, 4, v133
	s_or_b64 s[6:7], vcc, s[6:7]
	s_waitcnt vmcnt(0) lgkmcnt(0)
	v_fmac_f32_e32 v132, v135, v136
	s_andn2_b64 exec, exec, s[6:7]
	s_cbranch_execnz .LBB124_473
; %bb.474:
	s_or_b64 exec, exec, s[6:7]
.LBB124_475:
	s_or_b64 exec, exec, s[12:13]
	v_mov_b32_e32 v133, 0
	ds_read_b32 v133, v133 offset:48
	s_waitcnt lgkmcnt(0)
	v_mul_f32_e32 v132, v132, v133
	buffer_store_dword v132, off, s[0:3], 0 offset:48
.LBB124_476:
	s_or_b64 exec, exec, s[8:9]
	buffer_load_dword v132, off, s[0:3], 0 offset:44
	v_cmp_lt_u32_e64 s[6:7], 11, v0
	s_waitcnt vmcnt(0)
	ds_write_b32 v124, v132
	s_waitcnt lgkmcnt(0)
	; wave barrier
	s_waitcnt lgkmcnt(0)
	s_and_saveexec_b64 s[8:9], s[6:7]
	s_cbranch_execz .LBB124_486
; %bb.477:
	s_andn2_b64 vcc, exec, s[10:11]
	s_cbranch_vccnz .LBB124_479
; %bb.478:
	buffer_load_dword v132, v125, s[0:3], 0 offen
	ds_read_b32 v133, v124
	s_waitcnt vmcnt(0) lgkmcnt(0)
	v_mul_f32_e32 v132, v132, v133
	s_cbranch_execz .LBB124_480
	s_branch .LBB124_481
.LBB124_479:
                                        ; implicit-def: $vgpr132
.LBB124_480:
	ds_read_b32 v132, v124
.LBB124_481:
	s_and_saveexec_b64 s[12:13], s[4:5]
	s_cbranch_execz .LBB124_485
; %bb.482:
	v_add_u32_e32 v133, -12, v0
	s_movk_i32 s14, 0x130
	s_mov_b64 s[4:5], 0
.LBB124_483:                            ; =>This Inner Loop Header: Depth=1
	buffer_load_dword v134, v131, s[0:3], 0 offen
	v_mov_b32_e32 v135, s14
	ds_read_b32 v135, v135
	v_add_u32_e32 v133, -1, v133
	s_add_i32 s14, s14, 4
	v_cmp_eq_u32_e32 vcc, 0, v133
	v_add_u32_e32 v131, 4, v131
	s_or_b64 s[4:5], vcc, s[4:5]
	s_waitcnt vmcnt(0) lgkmcnt(0)
	v_fmac_f32_e32 v132, v134, v135
	s_andn2_b64 exec, exec, s[4:5]
	s_cbranch_execnz .LBB124_483
; %bb.484:
	s_or_b64 exec, exec, s[4:5]
.LBB124_485:
	s_or_b64 exec, exec, s[12:13]
	v_mov_b32_e32 v131, 0
	ds_read_b32 v131, v131 offset:44
	s_waitcnt lgkmcnt(0)
	v_mul_f32_e32 v131, v132, v131
	buffer_store_dword v131, off, s[0:3], 0 offset:44
.LBB124_486:
	s_or_b64 exec, exec, s[8:9]
	buffer_load_dword v131, off, s[0:3], 0 offset:40
	v_cmp_lt_u32_e64 s[4:5], 10, v0
	s_waitcnt vmcnt(0)
	ds_write_b32 v124, v131
	s_waitcnt lgkmcnt(0)
	; wave barrier
	s_waitcnt lgkmcnt(0)
	s_and_saveexec_b64 s[8:9], s[4:5]
	s_cbranch_execz .LBB124_496
; %bb.487:
	s_andn2_b64 vcc, exec, s[10:11]
	s_cbranch_vccnz .LBB124_489
; %bb.488:
	buffer_load_dword v131, v125, s[0:3], 0 offen
	ds_read_b32 v132, v124
	s_waitcnt vmcnt(0) lgkmcnt(0)
	v_mul_f32_e32 v131, v131, v132
	s_cbranch_execz .LBB124_490
	s_branch .LBB124_491
.LBB124_489:
                                        ; implicit-def: $vgpr131
.LBB124_490:
	ds_read_b32 v131, v124
.LBB124_491:
	s_and_saveexec_b64 s[12:13], s[6:7]
	s_cbranch_execz .LBB124_495
; %bb.492:
	v_mov_b32_e32 v132, 0
	v_add_u32_e32 v132, 44, v132
	v_add_u32_e32 v133, -11, v0
	s_movk_i32 s14, 0x12c
	s_mov_b64 s[6:7], 0
.LBB124_493:                            ; =>This Inner Loop Header: Depth=1
	buffer_load_dword v134, v132, s[0:3], 0 offen
	v_mov_b32_e32 v135, s14
	ds_read_b32 v135, v135
	v_add_u32_e32 v133, -1, v133
	s_add_i32 s14, s14, 4
	v_cmp_eq_u32_e32 vcc, 0, v133
	v_add_u32_e32 v132, 4, v132
	s_or_b64 s[6:7], vcc, s[6:7]
	s_waitcnt vmcnt(0) lgkmcnt(0)
	v_fmac_f32_e32 v131, v134, v135
	s_andn2_b64 exec, exec, s[6:7]
	s_cbranch_execnz .LBB124_493
; %bb.494:
	s_or_b64 exec, exec, s[6:7]
.LBB124_495:
	s_or_b64 exec, exec, s[12:13]
	v_mov_b32_e32 v132, 0
	ds_read_b32 v132, v132 offset:40
	s_waitcnt lgkmcnt(0)
	v_mul_f32_e32 v131, v131, v132
	buffer_store_dword v131, off, s[0:3], 0 offset:40
.LBB124_496:
	s_or_b64 exec, exec, s[8:9]
	buffer_load_dword v131, off, s[0:3], 0 offset:36
	v_cmp_lt_u32_e64 s[6:7], 9, v0
	s_waitcnt vmcnt(0)
	ds_write_b32 v124, v131
	s_waitcnt lgkmcnt(0)
	; wave barrier
	s_waitcnt lgkmcnt(0)
	s_and_saveexec_b64 s[8:9], s[6:7]
	s_cbranch_execz .LBB124_506
; %bb.497:
	s_andn2_b64 vcc, exec, s[10:11]
	s_cbranch_vccnz .LBB124_499
; %bb.498:
	buffer_load_dword v131, v125, s[0:3], 0 offen
	ds_read_b32 v132, v124
	s_waitcnt vmcnt(0) lgkmcnt(0)
	v_mul_f32_e32 v131, v131, v132
	s_cbranch_execz .LBB124_500
	s_branch .LBB124_501
.LBB124_499:
                                        ; implicit-def: $vgpr131
.LBB124_500:
	ds_read_b32 v131, v124
.LBB124_501:
	s_and_saveexec_b64 s[12:13], s[4:5]
	s_cbranch_execz .LBB124_505
; %bb.502:
	v_add_u32_e32 v132, -10, v0
	s_movk_i32 s14, 0x128
	s_mov_b64 s[4:5], 0
.LBB124_503:                            ; =>This Inner Loop Header: Depth=1
	buffer_load_dword v133, v130, s[0:3], 0 offen
	v_mov_b32_e32 v134, s14
	ds_read_b32 v134, v134
	v_add_u32_e32 v132, -1, v132
	s_add_i32 s14, s14, 4
	v_cmp_eq_u32_e32 vcc, 0, v132
	v_add_u32_e32 v130, 4, v130
	s_or_b64 s[4:5], vcc, s[4:5]
	s_waitcnt vmcnt(0) lgkmcnt(0)
	v_fmac_f32_e32 v131, v133, v134
	s_andn2_b64 exec, exec, s[4:5]
	s_cbranch_execnz .LBB124_503
; %bb.504:
	s_or_b64 exec, exec, s[4:5]
.LBB124_505:
	s_or_b64 exec, exec, s[12:13]
	v_mov_b32_e32 v130, 0
	ds_read_b32 v130, v130 offset:36
	s_waitcnt lgkmcnt(0)
	v_mul_f32_e32 v130, v131, v130
	buffer_store_dword v130, off, s[0:3], 0 offset:36
.LBB124_506:
	s_or_b64 exec, exec, s[8:9]
	buffer_load_dword v130, off, s[0:3], 0 offset:32
	v_cmp_lt_u32_e64 s[4:5], 8, v0
	s_waitcnt vmcnt(0)
	ds_write_b32 v124, v130
	s_waitcnt lgkmcnt(0)
	; wave barrier
	s_waitcnt lgkmcnt(0)
	s_and_saveexec_b64 s[8:9], s[4:5]
	s_cbranch_execz .LBB124_516
; %bb.507:
	s_andn2_b64 vcc, exec, s[10:11]
	s_cbranch_vccnz .LBB124_509
; %bb.508:
	buffer_load_dword v130, v125, s[0:3], 0 offen
	ds_read_b32 v131, v124
	s_waitcnt vmcnt(0) lgkmcnt(0)
	v_mul_f32_e32 v130, v130, v131
	s_cbranch_execz .LBB124_510
	s_branch .LBB124_511
.LBB124_509:
                                        ; implicit-def: $vgpr130
.LBB124_510:
	ds_read_b32 v130, v124
.LBB124_511:
	s_and_saveexec_b64 s[12:13], s[6:7]
	s_cbranch_execz .LBB124_515
; %bb.512:
	v_mov_b32_e32 v131, 0
	v_add_u32_e32 v131, 36, v131
	v_add_u32_e32 v132, -9, v0
	s_movk_i32 s14, 0x124
	s_mov_b64 s[6:7], 0
.LBB124_513:                            ; =>This Inner Loop Header: Depth=1
	buffer_load_dword v133, v131, s[0:3], 0 offen
	v_mov_b32_e32 v134, s14
	ds_read_b32 v134, v134
	v_add_u32_e32 v132, -1, v132
	s_add_i32 s14, s14, 4
	v_cmp_eq_u32_e32 vcc, 0, v132
	v_add_u32_e32 v131, 4, v131
	s_or_b64 s[6:7], vcc, s[6:7]
	s_waitcnt vmcnt(0) lgkmcnt(0)
	v_fmac_f32_e32 v130, v133, v134
	s_andn2_b64 exec, exec, s[6:7]
	s_cbranch_execnz .LBB124_513
; %bb.514:
	s_or_b64 exec, exec, s[6:7]
.LBB124_515:
	s_or_b64 exec, exec, s[12:13]
	v_mov_b32_e32 v131, 0
	ds_read_b32 v131, v131 offset:32
	s_waitcnt lgkmcnt(0)
	v_mul_f32_e32 v130, v130, v131
	buffer_store_dword v130, off, s[0:3], 0 offset:32
.LBB124_516:
	s_or_b64 exec, exec, s[8:9]
	buffer_load_dword v130, off, s[0:3], 0 offset:28
	v_cmp_lt_u32_e64 s[6:7], 7, v0
	s_waitcnt vmcnt(0)
	ds_write_b32 v124, v130
	s_waitcnt lgkmcnt(0)
	; wave barrier
	s_waitcnt lgkmcnt(0)
	s_and_saveexec_b64 s[8:9], s[6:7]
	s_cbranch_execz .LBB124_526
; %bb.517:
	s_andn2_b64 vcc, exec, s[10:11]
	s_cbranch_vccnz .LBB124_519
; %bb.518:
	buffer_load_dword v130, v125, s[0:3], 0 offen
	ds_read_b32 v131, v124
	s_waitcnt vmcnt(0) lgkmcnt(0)
	v_mul_f32_e32 v130, v130, v131
	s_cbranch_execz .LBB124_520
	s_branch .LBB124_521
.LBB124_519:
                                        ; implicit-def: $vgpr130
.LBB124_520:
	ds_read_b32 v130, v124
.LBB124_521:
	s_and_saveexec_b64 s[12:13], s[4:5]
	s_cbranch_execz .LBB124_525
; %bb.522:
	v_add_u32_e32 v131, -8, v0
	s_movk_i32 s14, 0x120
	s_mov_b64 s[4:5], 0
.LBB124_523:                            ; =>This Inner Loop Header: Depth=1
	buffer_load_dword v132, v129, s[0:3], 0 offen
	v_mov_b32_e32 v133, s14
	ds_read_b32 v133, v133
	v_add_u32_e32 v131, -1, v131
	s_add_i32 s14, s14, 4
	v_cmp_eq_u32_e32 vcc, 0, v131
	v_add_u32_e32 v129, 4, v129
	s_or_b64 s[4:5], vcc, s[4:5]
	s_waitcnt vmcnt(0) lgkmcnt(0)
	v_fmac_f32_e32 v130, v132, v133
	s_andn2_b64 exec, exec, s[4:5]
	s_cbranch_execnz .LBB124_523
; %bb.524:
	s_or_b64 exec, exec, s[4:5]
.LBB124_525:
	s_or_b64 exec, exec, s[12:13]
	v_mov_b32_e32 v129, 0
	ds_read_b32 v129, v129 offset:28
	s_waitcnt lgkmcnt(0)
	v_mul_f32_e32 v129, v130, v129
	buffer_store_dword v129, off, s[0:3], 0 offset:28
.LBB124_526:
	s_or_b64 exec, exec, s[8:9]
	buffer_load_dword v129, off, s[0:3], 0 offset:24
	v_cmp_lt_u32_e64 s[4:5], 6, v0
	s_waitcnt vmcnt(0)
	ds_write_b32 v124, v129
	s_waitcnt lgkmcnt(0)
	; wave barrier
	s_waitcnt lgkmcnt(0)
	s_and_saveexec_b64 s[8:9], s[4:5]
	s_cbranch_execz .LBB124_536
; %bb.527:
	s_andn2_b64 vcc, exec, s[10:11]
	s_cbranch_vccnz .LBB124_529
; %bb.528:
	buffer_load_dword v129, v125, s[0:3], 0 offen
	ds_read_b32 v130, v124
	s_waitcnt vmcnt(0) lgkmcnt(0)
	v_mul_f32_e32 v129, v129, v130
	s_cbranch_execz .LBB124_530
	s_branch .LBB124_531
.LBB124_529:
                                        ; implicit-def: $vgpr129
.LBB124_530:
	ds_read_b32 v129, v124
.LBB124_531:
	s_and_saveexec_b64 s[12:13], s[6:7]
	s_cbranch_execz .LBB124_535
; %bb.532:
	v_mov_b32_e32 v130, 0
	v_add_u32_e32 v130, 28, v130
	v_add_u32_e32 v131, -7, v0
	s_movk_i32 s14, 0x11c
	s_mov_b64 s[6:7], 0
.LBB124_533:                            ; =>This Inner Loop Header: Depth=1
	buffer_load_dword v132, v130, s[0:3], 0 offen
	v_mov_b32_e32 v133, s14
	ds_read_b32 v133, v133
	v_add_u32_e32 v131, -1, v131
	s_add_i32 s14, s14, 4
	v_cmp_eq_u32_e32 vcc, 0, v131
	v_add_u32_e32 v130, 4, v130
	s_or_b64 s[6:7], vcc, s[6:7]
	s_waitcnt vmcnt(0) lgkmcnt(0)
	v_fmac_f32_e32 v129, v132, v133
	s_andn2_b64 exec, exec, s[6:7]
	s_cbranch_execnz .LBB124_533
; %bb.534:
	s_or_b64 exec, exec, s[6:7]
.LBB124_535:
	s_or_b64 exec, exec, s[12:13]
	v_mov_b32_e32 v130, 0
	ds_read_b32 v130, v130 offset:24
	s_waitcnt lgkmcnt(0)
	v_mul_f32_e32 v129, v129, v130
	buffer_store_dword v129, off, s[0:3], 0 offset:24
.LBB124_536:
	s_or_b64 exec, exec, s[8:9]
	buffer_load_dword v129, off, s[0:3], 0 offset:20
	v_cmp_lt_u32_e64 s[6:7], 5, v0
	s_waitcnt vmcnt(0)
	ds_write_b32 v124, v129
	s_waitcnt lgkmcnt(0)
	; wave barrier
	s_waitcnt lgkmcnt(0)
	s_and_saveexec_b64 s[8:9], s[6:7]
	s_cbranch_execz .LBB124_546
; %bb.537:
	s_andn2_b64 vcc, exec, s[10:11]
	s_cbranch_vccnz .LBB124_539
; %bb.538:
	buffer_load_dword v129, v125, s[0:3], 0 offen
	ds_read_b32 v130, v124
	s_waitcnt vmcnt(0) lgkmcnt(0)
	v_mul_f32_e32 v129, v129, v130
	s_cbranch_execz .LBB124_540
	s_branch .LBB124_541
.LBB124_539:
                                        ; implicit-def: $vgpr129
.LBB124_540:
	ds_read_b32 v129, v124
.LBB124_541:
	s_and_saveexec_b64 s[12:13], s[4:5]
	s_cbranch_execz .LBB124_545
; %bb.542:
	v_add_u32_e32 v130, -6, v0
	s_movk_i32 s14, 0x118
	s_mov_b64 s[4:5], 0
.LBB124_543:                            ; =>This Inner Loop Header: Depth=1
	buffer_load_dword v131, v128, s[0:3], 0 offen
	v_mov_b32_e32 v132, s14
	ds_read_b32 v132, v132
	v_add_u32_e32 v130, -1, v130
	s_add_i32 s14, s14, 4
	v_cmp_eq_u32_e32 vcc, 0, v130
	v_add_u32_e32 v128, 4, v128
	s_or_b64 s[4:5], vcc, s[4:5]
	s_waitcnt vmcnt(0) lgkmcnt(0)
	v_fmac_f32_e32 v129, v131, v132
	s_andn2_b64 exec, exec, s[4:5]
	s_cbranch_execnz .LBB124_543
; %bb.544:
	s_or_b64 exec, exec, s[4:5]
.LBB124_545:
	s_or_b64 exec, exec, s[12:13]
	v_mov_b32_e32 v128, 0
	ds_read_b32 v128, v128 offset:20
	s_waitcnt lgkmcnt(0)
	v_mul_f32_e32 v128, v129, v128
	buffer_store_dword v128, off, s[0:3], 0 offset:20
.LBB124_546:
	s_or_b64 exec, exec, s[8:9]
	buffer_load_dword v128, off, s[0:3], 0 offset:16
	v_cmp_lt_u32_e64 s[4:5], 4, v0
	s_waitcnt vmcnt(0)
	ds_write_b32 v124, v128
	s_waitcnt lgkmcnt(0)
	; wave barrier
	s_waitcnt lgkmcnt(0)
	s_and_saveexec_b64 s[8:9], s[4:5]
	s_cbranch_execz .LBB124_556
; %bb.547:
	s_andn2_b64 vcc, exec, s[10:11]
	s_cbranch_vccnz .LBB124_549
; %bb.548:
	buffer_load_dword v128, v125, s[0:3], 0 offen
	ds_read_b32 v129, v124
	s_waitcnt vmcnt(0) lgkmcnt(0)
	v_mul_f32_e32 v128, v128, v129
	s_cbranch_execz .LBB124_550
	s_branch .LBB124_551
.LBB124_549:
                                        ; implicit-def: $vgpr128
.LBB124_550:
	ds_read_b32 v128, v124
.LBB124_551:
	s_and_saveexec_b64 s[12:13], s[6:7]
	s_cbranch_execz .LBB124_555
; %bb.552:
	v_mov_b32_e32 v129, 0
	v_add_u32_e32 v129, 20, v129
	v_add_u32_e32 v130, -5, v0
	s_movk_i32 s14, 0x114
	s_mov_b64 s[6:7], 0
.LBB124_553:                            ; =>This Inner Loop Header: Depth=1
	buffer_load_dword v131, v129, s[0:3], 0 offen
	v_mov_b32_e32 v132, s14
	ds_read_b32 v132, v132
	v_add_u32_e32 v130, -1, v130
	s_add_i32 s14, s14, 4
	v_cmp_eq_u32_e32 vcc, 0, v130
	v_add_u32_e32 v129, 4, v129
	s_or_b64 s[6:7], vcc, s[6:7]
	s_waitcnt vmcnt(0) lgkmcnt(0)
	v_fmac_f32_e32 v128, v131, v132
	s_andn2_b64 exec, exec, s[6:7]
	s_cbranch_execnz .LBB124_553
; %bb.554:
	s_or_b64 exec, exec, s[6:7]
.LBB124_555:
	s_or_b64 exec, exec, s[12:13]
	v_mov_b32_e32 v129, 0
	ds_read_b32 v129, v129 offset:16
	s_waitcnt lgkmcnt(0)
	v_mul_f32_e32 v128, v128, v129
	buffer_store_dword v128, off, s[0:3], 0 offset:16
.LBB124_556:
	s_or_b64 exec, exec, s[8:9]
	buffer_load_dword v128, off, s[0:3], 0 offset:12
	v_cmp_lt_u32_e64 s[6:7], 3, v0
	s_waitcnt vmcnt(0)
	ds_write_b32 v124, v128
	s_waitcnt lgkmcnt(0)
	; wave barrier
	s_waitcnt lgkmcnt(0)
	s_and_saveexec_b64 s[8:9], s[6:7]
	s_cbranch_execz .LBB124_566
; %bb.557:
	s_andn2_b64 vcc, exec, s[10:11]
	s_cbranch_vccnz .LBB124_559
; %bb.558:
	buffer_load_dword v128, v125, s[0:3], 0 offen
	ds_read_b32 v129, v124
	s_waitcnt vmcnt(0) lgkmcnt(0)
	v_mul_f32_e32 v128, v128, v129
	s_cbranch_execz .LBB124_560
	s_branch .LBB124_561
.LBB124_559:
                                        ; implicit-def: $vgpr128
.LBB124_560:
	ds_read_b32 v128, v124
.LBB124_561:
	s_and_saveexec_b64 s[12:13], s[4:5]
	s_cbranch_execz .LBB124_565
; %bb.562:
	v_add_u32_e32 v129, -4, v0
	s_movk_i32 s14, 0x110
	s_mov_b64 s[4:5], 0
.LBB124_563:                            ; =>This Inner Loop Header: Depth=1
	buffer_load_dword v130, v127, s[0:3], 0 offen
	v_mov_b32_e32 v131, s14
	ds_read_b32 v131, v131
	v_add_u32_e32 v129, -1, v129
	s_add_i32 s14, s14, 4
	v_cmp_eq_u32_e32 vcc, 0, v129
	v_add_u32_e32 v127, 4, v127
	s_or_b64 s[4:5], vcc, s[4:5]
	s_waitcnt vmcnt(0) lgkmcnt(0)
	v_fmac_f32_e32 v128, v130, v131
	s_andn2_b64 exec, exec, s[4:5]
	s_cbranch_execnz .LBB124_563
; %bb.564:
	s_or_b64 exec, exec, s[4:5]
.LBB124_565:
	s_or_b64 exec, exec, s[12:13]
	v_mov_b32_e32 v127, 0
	ds_read_b32 v127, v127 offset:12
	s_waitcnt lgkmcnt(0)
	v_mul_f32_e32 v127, v128, v127
	buffer_store_dword v127, off, s[0:3], 0 offset:12
.LBB124_566:
	s_or_b64 exec, exec, s[8:9]
	buffer_load_dword v127, off, s[0:3], 0 offset:8
	v_cmp_lt_u32_e64 s[4:5], 2, v0
	s_waitcnt vmcnt(0)
	ds_write_b32 v124, v127
	s_waitcnt lgkmcnt(0)
	; wave barrier
	s_waitcnt lgkmcnt(0)
	s_and_saveexec_b64 s[8:9], s[4:5]
	s_cbranch_execz .LBB124_576
; %bb.567:
	s_andn2_b64 vcc, exec, s[10:11]
	s_cbranch_vccnz .LBB124_569
; %bb.568:
	buffer_load_dword v127, v125, s[0:3], 0 offen
	ds_read_b32 v128, v124
	s_waitcnt vmcnt(0) lgkmcnt(0)
	v_mul_f32_e32 v127, v127, v128
	s_cbranch_execz .LBB124_570
	s_branch .LBB124_571
.LBB124_569:
                                        ; implicit-def: $vgpr127
.LBB124_570:
	ds_read_b32 v127, v124
.LBB124_571:
	s_and_saveexec_b64 s[12:13], s[6:7]
	s_cbranch_execz .LBB124_575
; %bb.572:
	v_mov_b32_e32 v128, 0
	v_or_b32_e32 v128, 12, v128
	v_add_u32_e32 v129, -3, v0
	s_movk_i32 s14, 0x10c
	s_mov_b64 s[6:7], 0
.LBB124_573:                            ; =>This Inner Loop Header: Depth=1
	buffer_load_dword v130, v128, s[0:3], 0 offen
	v_mov_b32_e32 v131, s14
	ds_read_b32 v131, v131
	v_add_u32_e32 v129, -1, v129
	s_add_i32 s14, s14, 4
	v_cmp_eq_u32_e32 vcc, 0, v129
	v_add_u32_e32 v128, 4, v128
	s_or_b64 s[6:7], vcc, s[6:7]
	s_waitcnt vmcnt(0) lgkmcnt(0)
	v_fmac_f32_e32 v127, v130, v131
	s_andn2_b64 exec, exec, s[6:7]
	s_cbranch_execnz .LBB124_573
; %bb.574:
	s_or_b64 exec, exec, s[6:7]
.LBB124_575:
	s_or_b64 exec, exec, s[12:13]
	v_mov_b32_e32 v128, 0
	ds_read_b32 v128, v128 offset:8
	s_waitcnt lgkmcnt(0)
	v_mul_f32_e32 v127, v127, v128
	buffer_store_dword v127, off, s[0:3], 0 offset:8
.LBB124_576:
	s_or_b64 exec, exec, s[8:9]
	buffer_load_dword v127, off, s[0:3], 0 offset:4
	v_cmp_lt_u32_e64 s[6:7], 1, v0
	s_waitcnt vmcnt(0)
	ds_write_b32 v124, v127
	s_waitcnt lgkmcnt(0)
	; wave barrier
	s_waitcnt lgkmcnt(0)
	s_and_saveexec_b64 s[8:9], s[6:7]
	s_cbranch_execz .LBB124_586
; %bb.577:
	s_andn2_b64 vcc, exec, s[10:11]
	s_cbranch_vccnz .LBB124_579
; %bb.578:
	buffer_load_dword v127, v125, s[0:3], 0 offen
	ds_read_b32 v128, v124
	s_waitcnt vmcnt(0) lgkmcnt(0)
	v_mul_f32_e32 v127, v127, v128
	s_cbranch_execz .LBB124_580
	s_branch .LBB124_581
.LBB124_579:
                                        ; implicit-def: $vgpr127
.LBB124_580:
	ds_read_b32 v127, v124
.LBB124_581:
	s_and_saveexec_b64 s[12:13], s[4:5]
	s_cbranch_execz .LBB124_585
; %bb.582:
	v_add_u32_e32 v128, -2, v0
	s_movk_i32 s14, 0x108
	s_mov_b64 s[4:5], 0
.LBB124_583:                            ; =>This Inner Loop Header: Depth=1
	buffer_load_dword v129, v126, s[0:3], 0 offen
	v_mov_b32_e32 v130, s14
	ds_read_b32 v130, v130
	v_add_u32_e32 v128, -1, v128
	s_add_i32 s14, s14, 4
	v_cmp_eq_u32_e32 vcc, 0, v128
	v_add_u32_e32 v126, 4, v126
	s_or_b64 s[4:5], vcc, s[4:5]
	s_waitcnt vmcnt(0) lgkmcnt(0)
	v_fmac_f32_e32 v127, v129, v130
	s_andn2_b64 exec, exec, s[4:5]
	s_cbranch_execnz .LBB124_583
; %bb.584:
	s_or_b64 exec, exec, s[4:5]
.LBB124_585:
	s_or_b64 exec, exec, s[12:13]
	v_mov_b32_e32 v126, 0
	ds_read_b32 v126, v126 offset:4
	s_waitcnt lgkmcnt(0)
	v_mul_f32_e32 v126, v127, v126
	buffer_store_dword v126, off, s[0:3], 0 offset:4
.LBB124_586:
	s_or_b64 exec, exec, s[8:9]
	buffer_load_dword v126, off, s[0:3], 0
	v_cmp_ne_u32_e32 vcc, 0, v0
	s_waitcnt vmcnt(0)
	ds_write_b32 v124, v126
	s_waitcnt lgkmcnt(0)
	; wave barrier
	s_waitcnt lgkmcnt(0)
	s_and_saveexec_b64 s[4:5], vcc
	s_cbranch_execz .LBB124_596
; %bb.587:
	s_andn2_b64 vcc, exec, s[10:11]
	s_cbranch_vccnz .LBB124_589
; %bb.588:
	buffer_load_dword v126, v125, s[0:3], 0 offen
	ds_read_b32 v127, v124
	s_waitcnt vmcnt(0) lgkmcnt(0)
	v_mul_f32_e32 v126, v126, v127
	s_cbranch_execz .LBB124_590
	s_branch .LBB124_591
.LBB124_589:
                                        ; implicit-def: $vgpr126
.LBB124_590:
	ds_read_b32 v126, v124
.LBB124_591:
	s_and_saveexec_b64 s[8:9], s[6:7]
	s_cbranch_execz .LBB124_595
; %bb.592:
	v_mov_b32_e32 v127, 0
	v_or_b32_e32 v127, 4, v127
	v_add_u32_e32 v128, -1, v0
	s_movk_i32 s12, 0x104
	s_mov_b64 s[6:7], 0
.LBB124_593:                            ; =>This Inner Loop Header: Depth=1
	buffer_load_dword v129, v127, s[0:3], 0 offen
	v_mov_b32_e32 v130, s12
	ds_read_b32 v130, v130
	v_add_u32_e32 v128, -1, v128
	s_add_i32 s12, s12, 4
	v_cmp_eq_u32_e32 vcc, 0, v128
	v_add_u32_e32 v127, 4, v127
	s_or_b64 s[6:7], vcc, s[6:7]
	s_waitcnt vmcnt(0) lgkmcnt(0)
	v_fmac_f32_e32 v126, v129, v130
	s_andn2_b64 exec, exec, s[6:7]
	s_cbranch_execnz .LBB124_593
; %bb.594:
	s_or_b64 exec, exec, s[6:7]
.LBB124_595:
	s_or_b64 exec, exec, s[8:9]
	v_mov_b32_e32 v127, 0
	ds_read_b32 v127, v127
	s_waitcnt lgkmcnt(0)
	v_mul_f32_e32 v126, v126, v127
	buffer_store_dword v126, off, s[0:3], 0
.LBB124_596:
	s_or_b64 exec, exec, s[4:5]
	s_mov_b64 s[4:5], 0
.LBB124_597:
	s_and_b64 vcc, exec, s[4:5]
	s_cbranch_vccz .LBB124_1191
; %bb.598:
	buffer_load_dword v126, off, s[0:3], 0 offset:4
	v_cmp_eq_u32_e64 s[6:7], 0, v0
	s_waitcnt vmcnt(0)
	ds_write_b32 v124, v126
	s_waitcnt lgkmcnt(0)
	; wave barrier
	s_waitcnt lgkmcnt(0)
	s_and_saveexec_b64 s[4:5], s[6:7]
	s_cbranch_execz .LBB124_604
; %bb.599:
	s_and_b64 vcc, exec, s[10:11]
	s_cbranch_vccz .LBB124_601
; %bb.600:
	buffer_load_dword v126, v125, s[0:3], 0 offen
	ds_read_b32 v127, v124
	s_waitcnt vmcnt(0) lgkmcnt(0)
	v_mul_f32_e32 v126, v126, v127
	s_cbranch_execz .LBB124_602
	s_branch .LBB124_603
.LBB124_601:
                                        ; implicit-def: $vgpr126
.LBB124_602:
	ds_read_b32 v126, v124
.LBB124_603:
	v_mov_b32_e32 v127, 0
	ds_read_b32 v127, v127 offset:4
	s_waitcnt lgkmcnt(0)
	v_mul_f32_e32 v126, v126, v127
	buffer_store_dword v126, off, s[0:3], 0 offset:4
.LBB124_604:
	s_or_b64 exec, exec, s[4:5]
	buffer_load_dword v126, off, s[0:3], 0 offset:8
	v_cndmask_b32_e64 v127, 0, 1, s[10:11]
	v_cmp_gt_u32_e32 vcc, 2, v0
	v_cmp_ne_u32_e64 s[4:5], 1, v127
	s_waitcnt vmcnt(0)
	ds_write_b32 v124, v126
	s_waitcnt lgkmcnt(0)
	; wave barrier
	s_waitcnt lgkmcnt(0)
	s_and_saveexec_b64 s[8:9], vcc
	s_cbranch_execz .LBB124_612
; %bb.605:
	s_and_b64 vcc, exec, s[4:5]
	s_cbranch_vccnz .LBB124_607
; %bb.606:
	buffer_load_dword v126, v125, s[0:3], 0 offen
	ds_read_b32 v127, v124
	s_waitcnt vmcnt(0) lgkmcnt(0)
	v_mul_f32_e32 v126, v126, v127
	s_cbranch_execz .LBB124_608
	s_branch .LBB124_609
.LBB124_607:
                                        ; implicit-def: $vgpr126
.LBB124_608:
	ds_read_b32 v126, v124
.LBB124_609:
	s_and_saveexec_b64 s[10:11], s[6:7]
	s_cbranch_execz .LBB124_611
; %bb.610:
	buffer_load_dword v127, v125, s[0:3], 0 offen offset:4
	ds_read_b32 v128, v124 offset:4
	s_waitcnt vmcnt(0) lgkmcnt(0)
	v_fmac_f32_e32 v126, v127, v128
.LBB124_611:
	s_or_b64 exec, exec, s[10:11]
	v_mov_b32_e32 v127, 0
	ds_read_b32 v127, v127 offset:8
	s_waitcnt lgkmcnt(0)
	v_mul_f32_e32 v126, v126, v127
	buffer_store_dword v126, off, s[0:3], 0 offset:8
.LBB124_612:
	s_or_b64 exec, exec, s[8:9]
	buffer_load_dword v126, off, s[0:3], 0 offset:12
	v_cmp_gt_u32_e32 vcc, 3, v0
	s_waitcnt vmcnt(0)
	ds_write_b32 v124, v126
	s_waitcnt lgkmcnt(0)
	; wave barrier
	s_waitcnt lgkmcnt(0)
	s_and_saveexec_b64 s[8:9], vcc
	s_cbranch_execz .LBB124_620
; %bb.613:
	s_and_b64 vcc, exec, s[4:5]
	s_cbranch_vccnz .LBB124_615
; %bb.614:
	buffer_load_dword v126, v125, s[0:3], 0 offen
	ds_read_b32 v127, v124
	s_waitcnt vmcnt(0) lgkmcnt(0)
	v_mul_f32_e32 v126, v126, v127
	s_cbranch_execz .LBB124_616
	s_branch .LBB124_617
.LBB124_615:
                                        ; implicit-def: $vgpr126
.LBB124_616:
	ds_read_b32 v126, v124
.LBB124_617:
	v_cmp_ne_u32_e32 vcc, 2, v0
	s_and_saveexec_b64 s[10:11], vcc
	s_cbranch_execz .LBB124_619
; %bb.618:
	buffer_load_dword v127, v125, s[0:3], 0 offen offset:4
	buffer_load_dword v128, off, s[0:3], 0 offset:8
	v_mov_b32_e32 v129, 0
	ds_read_b32 v130, v124 offset:4
	ds_read_b32 v129, v129 offset:264
	s_waitcnt vmcnt(1) lgkmcnt(1)
	v_fmac_f32_e32 v126, v127, v130
	s_waitcnt vmcnt(0) lgkmcnt(0)
	v_fma_f32 v127, v128, v129, v126
	v_cndmask_b32_e64 v126, v126, v127, s[6:7]
.LBB124_619:
	s_or_b64 exec, exec, s[10:11]
	v_mov_b32_e32 v127, 0
	ds_read_b32 v127, v127 offset:12
	s_waitcnt lgkmcnt(0)
	v_mul_f32_e32 v126, v126, v127
	buffer_store_dword v126, off, s[0:3], 0 offset:12
.LBB124_620:
	s_or_b64 exec, exec, s[8:9]
	buffer_load_dword v126, off, s[0:3], 0 offset:16
	v_cmp_gt_u32_e32 vcc, 4, v0
	s_waitcnt vmcnt(0)
	ds_write_b32 v124, v126
	s_waitcnt lgkmcnt(0)
	; wave barrier
	s_waitcnt lgkmcnt(0)
	s_and_saveexec_b64 s[6:7], vcc
	s_cbranch_execz .LBB124_630
; %bb.621:
	s_and_b64 vcc, exec, s[4:5]
	s_cbranch_vccnz .LBB124_623
; %bb.622:
	buffer_load_dword v126, v125, s[0:3], 0 offen
	ds_read_b32 v127, v124
	s_waitcnt vmcnt(0) lgkmcnt(0)
	v_mul_f32_e32 v126, v126, v127
	s_cbranch_execz .LBB124_624
	s_branch .LBB124_625
.LBB124_623:
                                        ; implicit-def: $vgpr126
.LBB124_624:
	ds_read_b32 v126, v124
.LBB124_625:
	v_cmp_ne_u32_e32 vcc, 3, v0
	s_and_saveexec_b64 s[8:9], vcc
	s_cbranch_execz .LBB124_629
; %bb.626:
	v_mov_b32_e32 v128, 0
	v_add_u32_e32 v127, 0x104, v1
	v_add3_u32 v128, v1, v128, 4
	s_mov_b64 s[10:11], 0
	v_mov_b32_e32 v129, v0
.LBB124_627:                            ; =>This Inner Loop Header: Depth=1
	buffer_load_dword v130, v128, s[0:3], 0 offen
	ds_read_b32 v131, v127
	v_add_u32_e32 v129, 1, v129
	v_cmp_lt_u32_e32 vcc, 2, v129
	v_add_u32_e32 v127, 4, v127
	v_add_u32_e32 v128, 4, v128
	s_or_b64 s[10:11], vcc, s[10:11]
	s_waitcnt vmcnt(0) lgkmcnt(0)
	v_fmac_f32_e32 v126, v130, v131
	s_andn2_b64 exec, exec, s[10:11]
	s_cbranch_execnz .LBB124_627
; %bb.628:
	s_or_b64 exec, exec, s[10:11]
.LBB124_629:
	s_or_b64 exec, exec, s[8:9]
	v_mov_b32_e32 v127, 0
	ds_read_b32 v127, v127 offset:16
	s_waitcnt lgkmcnt(0)
	v_mul_f32_e32 v126, v126, v127
	buffer_store_dword v126, off, s[0:3], 0 offset:16
.LBB124_630:
	s_or_b64 exec, exec, s[6:7]
	buffer_load_dword v126, off, s[0:3], 0 offset:20
	v_cmp_gt_u32_e32 vcc, 5, v0
	s_waitcnt vmcnt(0)
	ds_write_b32 v124, v126
	s_waitcnt lgkmcnt(0)
	; wave barrier
	s_waitcnt lgkmcnt(0)
	s_and_saveexec_b64 s[6:7], vcc
	s_cbranch_execz .LBB124_640
; %bb.631:
	s_and_b64 vcc, exec, s[4:5]
	s_cbranch_vccnz .LBB124_633
; %bb.632:
	buffer_load_dword v126, v125, s[0:3], 0 offen
	ds_read_b32 v127, v124
	s_waitcnt vmcnt(0) lgkmcnt(0)
	v_mul_f32_e32 v126, v126, v127
	s_cbranch_execz .LBB124_634
	s_branch .LBB124_635
.LBB124_633:
                                        ; implicit-def: $vgpr126
.LBB124_634:
	ds_read_b32 v126, v124
.LBB124_635:
	v_cmp_ne_u32_e32 vcc, 4, v0
	s_and_saveexec_b64 s[8:9], vcc
	s_cbranch_execz .LBB124_639
; %bb.636:
	v_mov_b32_e32 v128, 0
	v_add_u32_e32 v127, 0x104, v1
	v_add3_u32 v128, v1, v128, 4
	s_mov_b64 s[10:11], 0
	v_mov_b32_e32 v129, v0
.LBB124_637:                            ; =>This Inner Loop Header: Depth=1
	buffer_load_dword v130, v128, s[0:3], 0 offen
	ds_read_b32 v131, v127
	v_add_u32_e32 v129, 1, v129
	v_cmp_lt_u32_e32 vcc, 3, v129
	v_add_u32_e32 v127, 4, v127
	v_add_u32_e32 v128, 4, v128
	s_or_b64 s[10:11], vcc, s[10:11]
	s_waitcnt vmcnt(0) lgkmcnt(0)
	v_fmac_f32_e32 v126, v130, v131
	s_andn2_b64 exec, exec, s[10:11]
	s_cbranch_execnz .LBB124_637
; %bb.638:
	s_or_b64 exec, exec, s[10:11]
.LBB124_639:
	s_or_b64 exec, exec, s[8:9]
	v_mov_b32_e32 v127, 0
	ds_read_b32 v127, v127 offset:20
	s_waitcnt lgkmcnt(0)
	v_mul_f32_e32 v126, v126, v127
	buffer_store_dword v126, off, s[0:3], 0 offset:20
.LBB124_640:
	;; [unrolled: 56-line block ×38, first 2 shown]
	s_or_b64 exec, exec, s[6:7]
	buffer_load_dword v126, off, s[0:3], 0 offset:168
	v_cmp_gt_u32_e32 vcc, 42, v0
	s_waitcnt vmcnt(0)
	ds_write_b32 v124, v126
	s_waitcnt lgkmcnt(0)
	; wave barrier
	s_waitcnt lgkmcnt(0)
	s_and_saveexec_b64 s[6:7], vcc
	s_cbranch_execz .LBB124_1010
; %bb.1001:
	s_and_b64 vcc, exec, s[4:5]
	s_cbranch_vccnz .LBB124_1003
; %bb.1002:
	buffer_load_dword v126, v125, s[0:3], 0 offen
	ds_read_b32 v127, v124
	s_waitcnt vmcnt(0) lgkmcnt(0)
	v_mul_f32_e32 v126, v126, v127
	s_cbranch_execz .LBB124_1004
	s_branch .LBB124_1005
.LBB124_1003:
                                        ; implicit-def: $vgpr126
.LBB124_1004:
	ds_read_b32 v126, v124
.LBB124_1005:
	v_cmp_ne_u32_e32 vcc, 41, v0
	s_and_saveexec_b64 s[8:9], vcc
	s_cbranch_execz .LBB124_1009
; %bb.1006:
	v_mov_b32_e32 v128, 0
	v_add_u32_e32 v127, 0x104, v1
	v_add3_u32 v128, v1, v128, 4
	s_mov_b64 s[10:11], 0
	v_mov_b32_e32 v129, v0
.LBB124_1007:                           ; =>This Inner Loop Header: Depth=1
	buffer_load_dword v130, v128, s[0:3], 0 offen
	ds_read_b32 v131, v127
	v_add_u32_e32 v129, 1, v129
	v_cmp_lt_u32_e32 vcc, 40, v129
	v_add_u32_e32 v127, 4, v127
	v_add_u32_e32 v128, 4, v128
	s_or_b64 s[10:11], vcc, s[10:11]
	s_waitcnt vmcnt(0) lgkmcnt(0)
	v_fmac_f32_e32 v126, v130, v131
	s_andn2_b64 exec, exec, s[10:11]
	s_cbranch_execnz .LBB124_1007
; %bb.1008:
	s_or_b64 exec, exec, s[10:11]
.LBB124_1009:
	s_or_b64 exec, exec, s[8:9]
	v_mov_b32_e32 v127, 0
	ds_read_b32 v127, v127 offset:168
	s_waitcnt lgkmcnt(0)
	v_mul_f32_e32 v126, v126, v127
	buffer_store_dword v126, off, s[0:3], 0 offset:168
.LBB124_1010:
	s_or_b64 exec, exec, s[6:7]
	buffer_load_dword v126, off, s[0:3], 0 offset:172
	v_cmp_gt_u32_e32 vcc, 43, v0
	s_waitcnt vmcnt(0)
	ds_write_b32 v124, v126
	s_waitcnt lgkmcnt(0)
	; wave barrier
	s_waitcnt lgkmcnt(0)
	s_and_saveexec_b64 s[6:7], vcc
	s_cbranch_execz .LBB124_1020
; %bb.1011:
	s_and_b64 vcc, exec, s[4:5]
	s_cbranch_vccnz .LBB124_1013
; %bb.1012:
	buffer_load_dword v126, v125, s[0:3], 0 offen
	ds_read_b32 v127, v124
	s_waitcnt vmcnt(0) lgkmcnt(0)
	v_mul_f32_e32 v126, v126, v127
	s_cbranch_execz .LBB124_1014
	s_branch .LBB124_1015
.LBB124_1013:
                                        ; implicit-def: $vgpr126
.LBB124_1014:
	ds_read_b32 v126, v124
.LBB124_1015:
	v_cmp_ne_u32_e32 vcc, 42, v0
	s_and_saveexec_b64 s[8:9], vcc
	s_cbranch_execz .LBB124_1019
; %bb.1016:
	v_mov_b32_e32 v128, 0
	v_add_u32_e32 v127, 0x104, v1
	v_add3_u32 v128, v1, v128, 4
	s_mov_b64 s[10:11], 0
	v_mov_b32_e32 v129, v0
.LBB124_1017:                           ; =>This Inner Loop Header: Depth=1
	buffer_load_dword v130, v128, s[0:3], 0 offen
	ds_read_b32 v131, v127
	v_add_u32_e32 v129, 1, v129
	v_cmp_lt_u32_e32 vcc, 41, v129
	v_add_u32_e32 v127, 4, v127
	v_add_u32_e32 v128, 4, v128
	s_or_b64 s[10:11], vcc, s[10:11]
	s_waitcnt vmcnt(0) lgkmcnt(0)
	v_fmac_f32_e32 v126, v130, v131
	s_andn2_b64 exec, exec, s[10:11]
	s_cbranch_execnz .LBB124_1017
; %bb.1018:
	s_or_b64 exec, exec, s[10:11]
.LBB124_1019:
	s_or_b64 exec, exec, s[8:9]
	v_mov_b32_e32 v127, 0
	ds_read_b32 v127, v127 offset:172
	s_waitcnt lgkmcnt(0)
	v_mul_f32_e32 v126, v126, v127
	buffer_store_dword v126, off, s[0:3], 0 offset:172
.LBB124_1020:
	;; [unrolled: 56-line block ×17, first 2 shown]
	s_or_b64 exec, exec, s[6:7]
	buffer_load_dword v126, off, s[0:3], 0 offset:236
	v_cmp_gt_u32_e64 s[6:7], 59, v0
	s_waitcnt vmcnt(0)
	ds_write_b32 v124, v126
	s_waitcnt lgkmcnt(0)
	; wave barrier
	s_waitcnt lgkmcnt(0)
	s_and_saveexec_b64 s[8:9], s[6:7]
	s_cbranch_execz .LBB124_1180
; %bb.1171:
	s_and_b64 vcc, exec, s[4:5]
	s_cbranch_vccnz .LBB124_1173
; %bb.1172:
	buffer_load_dword v126, v125, s[0:3], 0 offen
	ds_read_b32 v127, v124
	s_waitcnt vmcnt(0) lgkmcnt(0)
	v_mul_f32_e32 v126, v126, v127
	s_cbranch_execz .LBB124_1174
	s_branch .LBB124_1175
.LBB124_1173:
                                        ; implicit-def: $vgpr126
.LBB124_1174:
	ds_read_b32 v126, v124
.LBB124_1175:
	v_cmp_ne_u32_e32 vcc, 58, v0
	s_and_saveexec_b64 s[10:11], vcc
	s_cbranch_execz .LBB124_1179
; %bb.1176:
	v_mov_b32_e32 v128, 0
	v_add_u32_e32 v127, 0x104, v1
	v_add3_u32 v128, v1, v128, 4
	s_mov_b64 s[12:13], 0
	v_mov_b32_e32 v129, v0
.LBB124_1177:                           ; =>This Inner Loop Header: Depth=1
	buffer_load_dword v130, v128, s[0:3], 0 offen
	ds_read_b32 v131, v127
	v_add_u32_e32 v129, 1, v129
	v_cmp_lt_u32_e32 vcc, 57, v129
	v_add_u32_e32 v127, 4, v127
	v_add_u32_e32 v128, 4, v128
	s_or_b64 s[12:13], vcc, s[12:13]
	s_waitcnt vmcnt(0) lgkmcnt(0)
	v_fmac_f32_e32 v126, v130, v131
	s_andn2_b64 exec, exec, s[12:13]
	s_cbranch_execnz .LBB124_1177
; %bb.1178:
	s_or_b64 exec, exec, s[12:13]
.LBB124_1179:
	s_or_b64 exec, exec, s[10:11]
	v_mov_b32_e32 v127, 0
	ds_read_b32 v127, v127 offset:236
	s_waitcnt lgkmcnt(0)
	v_mul_f32_e32 v126, v126, v127
	buffer_store_dword v126, off, s[0:3], 0 offset:236
.LBB124_1180:
	s_or_b64 exec, exec, s[8:9]
	buffer_load_dword v126, off, s[0:3], 0 offset:240
	v_cmp_ne_u32_e32 vcc, 60, v0
	s_waitcnt vmcnt(0)
	ds_write_b32 v124, v126
	s_waitcnt lgkmcnt(0)
	; wave barrier
	s_waitcnt lgkmcnt(0)
	s_and_saveexec_b64 s[8:9], vcc
	s_cbranch_execz .LBB124_1190
; %bb.1181:
	s_and_b64 vcc, exec, s[4:5]
	s_cbranch_vccnz .LBB124_1183
; %bb.1182:
	buffer_load_dword v125, v125, s[0:3], 0 offen
	ds_read_b32 v126, v124
	s_waitcnt vmcnt(0) lgkmcnt(0)
	v_mul_f32_e32 v125, v125, v126
	s_cbranch_execz .LBB124_1184
	s_branch .LBB124_1185
.LBB124_1183:
                                        ; implicit-def: $vgpr125
.LBB124_1184:
	ds_read_b32 v125, v124
.LBB124_1185:
	s_and_saveexec_b64 s[4:5], s[6:7]
	s_cbranch_execz .LBB124_1189
; %bb.1186:
	v_mov_b32_e32 v126, 0
	v_add_u32_e32 v124, 0x104, v1
	v_add3_u32 v1, v1, v126, 4
	s_mov_b64 s[6:7], 0
.LBB124_1187:                           ; =>This Inner Loop Header: Depth=1
	buffer_load_dword v126, v1, s[0:3], 0 offen
	ds_read_b32 v127, v124
	v_add_u32_e32 v0, 1, v0
	v_cmp_lt_u32_e32 vcc, 58, v0
	v_add_u32_e32 v124, 4, v124
	v_add_u32_e32 v1, 4, v1
	s_or_b64 s[6:7], vcc, s[6:7]
	s_waitcnt vmcnt(0) lgkmcnt(0)
	v_fmac_f32_e32 v125, v126, v127
	s_andn2_b64 exec, exec, s[6:7]
	s_cbranch_execnz .LBB124_1187
; %bb.1188:
	s_or_b64 exec, exec, s[6:7]
.LBB124_1189:
	s_or_b64 exec, exec, s[4:5]
	v_mov_b32_e32 v0, 0
	ds_read_b32 v0, v0 offset:240
	s_waitcnt lgkmcnt(0)
	v_mul_f32_e32 v0, v125, v0
	buffer_store_dword v0, off, s[0:3], 0 offset:240
.LBB124_1190:
	s_or_b64 exec, exec, s[8:9]
.LBB124_1191:
	buffer_load_dword v0, off, s[0:3], 0
	buffer_load_dword v1, off, s[0:3], 0 offset:4
	buffer_load_dword v124, off, s[0:3], 0 offset:8
	;; [unrolled: 1-line block ×39, first 2 shown]
	s_waitcnt vmcnt(39)
	global_store_dword v[2:3], v0, off
	s_waitcnt vmcnt(39)
	global_store_dword v[4:5], v1, off
	buffer_load_dword v0, off, s[0:3], 0 offset:160
	s_nop 0
	buffer_load_dword v1, off, s[0:3], 0 offset:164
	buffer_load_dword v2, off, s[0:3], 0 offset:168
	;; [unrolled: 1-line block ×7, first 2 shown]
	s_waitcnt vmcnt(47)
	global_store_dword v[6:7], v124, off
	s_waitcnt vmcnt(47)
	global_store_dword v[8:9], v125, off
	;; [unrolled: 2-line block ×3, first 2 shown]
	buffer_load_dword v6, off, s[0:3], 0 offset:192
	buffer_load_dword v7, off, s[0:3], 0 offset:196
	;; [unrolled: 1-line block ×4, first 2 shown]
	s_nop 0
	buffer_load_dword v12, off, s[0:3], 0 offset:208
	buffer_load_dword v13, off, s[0:3], 0 offset:212
	;; [unrolled: 1-line block ×4, first 2 shown]
	s_waitcnt vmcnt(55)
	global_store_dword v[10:11], v127, off
	s_waitcnt vmcnt(55)
	global_store_dword v[14:15], v128, off
	buffer_load_dword v10, off, s[0:3], 0 offset:224
	buffer_load_dword v11, off, s[0:3], 0 offset:228
	s_nop 0
	buffer_load_dword v14, off, s[0:3], 0 offset:232
	buffer_load_dword v15, off, s[0:3], 0 offset:236
	;; [unrolled: 1-line block ×3, first 2 shown]
	s_waitcnt vmcnt(60)
	global_store_dword v[16:17], v129, off
	s_waitcnt vmcnt(60)
	global_store_dword v[18:19], v130, off
	;; [unrolled: 2-line block ×54, first 2 shown]
.LBB124_1192:
	s_endpgm
	.section	.rodata,"a",@progbits
	.p2align	6, 0x0
	.amdhsa_kernel _ZN9rocsolver6v33100L18trti2_kernel_smallILi61EfPKPfEEv13rocblas_fill_17rocblas_diagonal_T1_iil
		.amdhsa_group_segment_fixed_size 500
		.amdhsa_private_segment_fixed_size 256
		.amdhsa_kernarg_size 32
		.amdhsa_user_sgpr_count 8
		.amdhsa_user_sgpr_private_segment_buffer 1
		.amdhsa_user_sgpr_dispatch_ptr 0
		.amdhsa_user_sgpr_queue_ptr 0
		.amdhsa_user_sgpr_kernarg_segment_ptr 1
		.amdhsa_user_sgpr_dispatch_id 0
		.amdhsa_user_sgpr_flat_scratch_init 1
		.amdhsa_user_sgpr_kernarg_preload_length 0
		.amdhsa_user_sgpr_kernarg_preload_offset 0
		.amdhsa_user_sgpr_private_segment_size 0
		.amdhsa_uses_dynamic_stack 0
		.amdhsa_system_sgpr_private_segment_wavefront_offset 1
		.amdhsa_system_sgpr_workgroup_id_x 1
		.amdhsa_system_sgpr_workgroup_id_y 0
		.amdhsa_system_sgpr_workgroup_id_z 0
		.amdhsa_system_sgpr_workgroup_info 0
		.amdhsa_system_vgpr_workitem_id 0
		.amdhsa_next_free_vgpr 165
		.amdhsa_next_free_sgpr 16
		.amdhsa_accum_offset 168
		.amdhsa_reserve_vcc 1
		.amdhsa_reserve_flat_scratch 0
		.amdhsa_float_round_mode_32 0
		.amdhsa_float_round_mode_16_64 0
		.amdhsa_float_denorm_mode_32 3
		.amdhsa_float_denorm_mode_16_64 3
		.amdhsa_dx10_clamp 1
		.amdhsa_ieee_mode 1
		.amdhsa_fp16_overflow 0
		.amdhsa_tg_split 0
		.amdhsa_exception_fp_ieee_invalid_op 0
		.amdhsa_exception_fp_denorm_src 0
		.amdhsa_exception_fp_ieee_div_zero 0
		.amdhsa_exception_fp_ieee_overflow 0
		.amdhsa_exception_fp_ieee_underflow 0
		.amdhsa_exception_fp_ieee_inexact 0
		.amdhsa_exception_int_div_zero 0
	.end_amdhsa_kernel
	.section	.text._ZN9rocsolver6v33100L18trti2_kernel_smallILi61EfPKPfEEv13rocblas_fill_17rocblas_diagonal_T1_iil,"axG",@progbits,_ZN9rocsolver6v33100L18trti2_kernel_smallILi61EfPKPfEEv13rocblas_fill_17rocblas_diagonal_T1_iil,comdat
.Lfunc_end124:
	.size	_ZN9rocsolver6v33100L18trti2_kernel_smallILi61EfPKPfEEv13rocblas_fill_17rocblas_diagonal_T1_iil, .Lfunc_end124-_ZN9rocsolver6v33100L18trti2_kernel_smallILi61EfPKPfEEv13rocblas_fill_17rocblas_diagonal_T1_iil
                                        ; -- End function
	.section	.AMDGPU.csdata,"",@progbits
; Kernel info:
; codeLenInByte = 30212
; NumSgprs: 20
; NumVgprs: 165
; NumAgprs: 0
; TotalNumVgprs: 165
; ScratchSize: 256
; MemoryBound: 0
; FloatMode: 240
; IeeeMode: 1
; LDSByteSize: 500 bytes/workgroup (compile time only)
; SGPRBlocks: 2
; VGPRBlocks: 20
; NumSGPRsForWavesPerEU: 20
; NumVGPRsForWavesPerEU: 165
; AccumOffset: 168
; Occupancy: 3
; WaveLimiterHint : 1
; COMPUTE_PGM_RSRC2:SCRATCH_EN: 1
; COMPUTE_PGM_RSRC2:USER_SGPR: 8
; COMPUTE_PGM_RSRC2:TRAP_HANDLER: 0
; COMPUTE_PGM_RSRC2:TGID_X_EN: 1
; COMPUTE_PGM_RSRC2:TGID_Y_EN: 0
; COMPUTE_PGM_RSRC2:TGID_Z_EN: 0
; COMPUTE_PGM_RSRC2:TIDIG_COMP_CNT: 0
; COMPUTE_PGM_RSRC3_GFX90A:ACCUM_OFFSET: 41
; COMPUTE_PGM_RSRC3_GFX90A:TG_SPLIT: 0
	.section	.text._ZN9rocsolver6v33100L18trti2_kernel_smallILi62EfPKPfEEv13rocblas_fill_17rocblas_diagonal_T1_iil,"axG",@progbits,_ZN9rocsolver6v33100L18trti2_kernel_smallILi62EfPKPfEEv13rocblas_fill_17rocblas_diagonal_T1_iil,comdat
	.globl	_ZN9rocsolver6v33100L18trti2_kernel_smallILi62EfPKPfEEv13rocblas_fill_17rocblas_diagonal_T1_iil ; -- Begin function _ZN9rocsolver6v33100L18trti2_kernel_smallILi62EfPKPfEEv13rocblas_fill_17rocblas_diagonal_T1_iil
	.p2align	8
	.type	_ZN9rocsolver6v33100L18trti2_kernel_smallILi62EfPKPfEEv13rocblas_fill_17rocblas_diagonal_T1_iil,@function
_ZN9rocsolver6v33100L18trti2_kernel_smallILi62EfPKPfEEv13rocblas_fill_17rocblas_diagonal_T1_iil: ; @_ZN9rocsolver6v33100L18trti2_kernel_smallILi62EfPKPfEEv13rocblas_fill_17rocblas_diagonal_T1_iil
; %bb.0:
	s_add_u32 s0, s0, s9
	s_addc_u32 s1, s1, 0
	v_cmp_gt_u32_e32 vcc, 62, v0
	s_and_saveexec_b64 s[6:7], vcc
	s_cbranch_execz .LBB125_1212
; %bb.1:
	s_load_dwordx2 s[6:7], s[4:5], 0x10
	s_load_dwordx4 s[12:15], s[4:5], 0x0
	s_ashr_i32 s9, s8, 31
	s_lshl_b64 s[4:5], s[8:9], 3
	s_waitcnt lgkmcnt(0)
	s_ashr_i32 s9, s6, 31
	s_add_u32 s4, s14, s4
	s_addc_u32 s5, s15, s5
	s_load_dwordx2 s[4:5], s[4:5], 0x0
	s_mov_b32 s8, s6
	s_lshl_b64 s[8:9], s[8:9], 2
	s_waitcnt lgkmcnt(0)
	s_add_u32 s4, s4, s8
	s_addc_u32 s5, s5, s9
	s_add_i32 s6, s7, s7
	v_add_u32_e32 v2, s6, v0
	v_ashrrev_i32_e32 v3, 31, v2
	v_lshlrev_b64 v[4:5], 2, v[2:3]
	v_add_u32_e32 v6, s7, v2
	v_mov_b32_e32 v1, s5
	v_add_co_u32_e32 v4, vcc, s4, v4
	v_ashrrev_i32_e32 v7, 31, v6
	v_addc_co_u32_e32 v5, vcc, v1, v5, vcc
	v_lshlrev_b64 v[2:3], 2, v[6:7]
	v_add_u32_e32 v8, s7, v6
	v_add_co_u32_e32 v2, vcc, s4, v2
	v_ashrrev_i32_e32 v9, 31, v8
	v_addc_co_u32_e32 v3, vcc, v1, v3, vcc
	v_lshlrev_b64 v[6:7], 2, v[8:9]
	v_add_u32_e32 v8, s7, v8
	;; [unrolled: 5-line block ×50, first 2 shown]
	v_add_co_u32_e32 v102, vcc, s4, v102
	v_ashrrev_i32_e32 v107, 31, v106
	v_addc_co_u32_e32 v103, vcc, v1, v103, vcc
	v_lshlrev_b64 v[104:105], 2, v[106:107]
	v_add_co_u32_e32 v104, vcc, s4, v104
	v_add_u32_e32 v108, s7, v106
	v_addc_co_u32_e32 v105, vcc, v1, v105, vcc
	v_ashrrev_i32_e32 v109, 31, v108
	v_lshlrev_b32_e32 v1, 2, v0
	v_lshlrev_b64 v[106:107], 2, v[108:109]
	v_mov_b32_e32 v109, s5
	v_add_co_u32_e32 v114, vcc, s4, v1
	s_ashr_i32 s9, s7, 31
	s_mov_b32 s8, s7
	v_addc_co_u32_e32 v115, vcc, 0, v109, vcc
	s_lshl_b64 s[8:9], s[8:9], 2
	v_mov_b32_e32 v109, s9
	v_add_co_u32_e32 v116, vcc, s8, v114
	v_addc_co_u32_e32 v117, vcc, v115, v109, vcc
	global_load_dword v126, v1, s[4:5]
	global_load_dword v127, v[116:117], off
	global_load_dword v128, v[4:5], off
	;; [unrolled: 1-line block ×24, first 2 shown]
	v_mov_b32_e32 v110, s5
	v_add_co_u32_e32 v106, vcc, s4, v106
	v_addc_co_u32_e32 v107, vcc, v110, v107, vcc
	v_add_u32_e32 v110, s7, v108
	v_ashrrev_i32_e32 v111, 31, v110
	v_lshlrev_b64 v[108:109], 2, v[110:111]
	v_mov_b32_e32 v112, s5
	v_add_co_u32_e32 v108, vcc, s4, v108
	v_addc_co_u32_e32 v109, vcc, v112, v109, vcc
	v_add_u32_e32 v112, s7, v110
	v_ashrrev_i32_e32 v113, 31, v112
	v_lshlrev_b64 v[110:111], 2, v[112:113]
	;; [unrolled: 6-line block ×6, first 2 shown]
	v_add_u32_e32 v124, s7, v124
	v_mov_b32_e32 v151, s5
	v_add_co_u32_e32 v122, vcc, s4, v122
	v_ashrrev_i32_e32 v125, 31, v124
	v_addc_co_u32_e32 v123, vcc, v151, v123, vcc
	v_lshlrev_b64 v[124:125], 2, v[124:125]
	v_add_co_u32_e32 v124, vcc, s4, v124
	v_addc_co_u32_e32 v125, vcc, v151, v125, vcc
	global_load_dword v151, v[124:125], off
	s_waitcnt vmcnt(25)
	buffer_store_dword v126, off, s[0:3], 0
	s_waitcnt vmcnt(25)
	buffer_store_dword v127, off, s[0:3], 0 offset:4
	s_waitcnt vmcnt(25)
	buffer_store_dword v128, off, s[0:3], 0 offset:8
	;; [unrolled: 2-line block ×11, first 2 shown]
	buffer_store_dword v136, off, s[0:3], 0 offset:48
	buffer_store_dword v137, off, s[0:3], 0 offset:52
	;; [unrolled: 1-line block ×5, first 2 shown]
	s_waitcnt vmcnt(25)
	buffer_store_dword v143, off, s[0:3], 0 offset:68
	s_waitcnt vmcnt(25)
	buffer_store_dword v144, off, s[0:3], 0 offset:72
	;; [unrolled: 2-line block ×3, first 2 shown]
	global_load_dword v126, v[48:49], off
	global_load_dword v127, v[62:63], off
	global_load_dword v128, v[60:61], off
	global_load_dword v129, v[58:59], off
	global_load_dword v130, v[56:57], off
	global_load_dword v131, v[54:55], off
	global_load_dword v132, v[52:53], off
	global_load_dword v133, v[50:51], off
	global_load_dword v134, v[64:65], off
	global_load_dword v135, v[78:79], off
	global_load_dword v136, v[76:77], off
	global_load_dword v137, v[74:75], off
	global_load_dword v138, v[72:73], off
	global_load_dword v139, v[70:71], off
	global_load_dword v140, v[68:69], off
	global_load_dword v141, v[66:67], off
	global_load_dword v142, v[80:81], off
	global_load_dword v143, v[94:95], off
	global_load_dword v144, v[92:93], off
	global_load_dword v145, v[90:91], off
	global_load_dword v152, v[88:89], off
	global_load_dword v153, v[86:87], off
	global_load_dword v154, v[84:85], off
	global_load_dword v155, v[82:83], off
	global_load_dword v156, v[96:97], off
	global_load_dword v157, v[110:111], off
	global_load_dword v158, v[108:109], off
	global_load_dword v159, v[106:107], off
	global_load_dword v160, v[104:105], off
	global_load_dword v161, v[102:103], off
	global_load_dword v162, v[100:101], off
	global_load_dword v163, v[98:99], off
	s_waitcnt vmcnt(54)
	buffer_store_dword v149, off, s[0:3], 0 offset:84
	s_waitcnt vmcnt(54)
	buffer_store_dword v150, off, s[0:3], 0 offset:80
	buffer_store_dword v147, off, s[0:3], 0 offset:92
	;; [unrolled: 1-line block ×3, first 2 shown]
	global_load_dword v147, v[112:113], off
	s_nop 0
	global_load_dword v148, v[122:123], off
	global_load_dword v149, v[120:121], off
	;; [unrolled: 1-line block ×3, first 2 shown]
	s_cmpk_lg_i32 s13, 0x84
	s_waitcnt vmcnt(39)
	buffer_store_dword v126, off, s[0:3], 0 offset:100
	buffer_store_dword v146, off, s[0:3], 0 offset:96
	s_waitcnt vmcnt(35)
	buffer_store_dword v132, off, s[0:3], 0 offset:108
	s_waitcnt vmcnt(35)
	buffer_store_dword v133, off, s[0:3], 0 offset:104
	buffer_store_dword v130, off, s[0:3], 0 offset:116
	buffer_store_dword v131, off, s[0:3], 0 offset:112
	buffer_store_dword v128, off, s[0:3], 0 offset:124
	buffer_store_dword v129, off, s[0:3], 0 offset:120
	s_waitcnt vmcnt(39)
	buffer_store_dword v134, off, s[0:3], 0 offset:132
	buffer_store_dword v127, off, s[0:3], 0 offset:128
	s_waitcnt vmcnt(35)
	buffer_store_dword v140, off, s[0:3], 0 offset:140
	s_waitcnt vmcnt(35)
	buffer_store_dword v141, off, s[0:3], 0 offset:136
	buffer_store_dword v138, off, s[0:3], 0 offset:148
	buffer_store_dword v139, off, s[0:3], 0 offset:144
	buffer_store_dword v136, off, s[0:3], 0 offset:156
	buffer_store_dword v137, off, s[0:3], 0 offset:152
	;; [unrolled: 11-line block ×4, first 2 shown]
	s_waitcnt vmcnt(35)
	buffer_store_dword v147, off, s[0:3], 0 offset:228
	buffer_store_dword v157, off, s[0:3], 0 offset:224
	s_waitcnt vmcnt(35)
	buffer_store_dword v149, off, s[0:3], 0 offset:236
	s_waitcnt vmcnt(35)
	buffer_store_dword v150, off, s[0:3], 0 offset:232
	buffer_store_dword v151, off, s[0:3], 0 offset:244
	;; [unrolled: 1-line block ×3, first 2 shown]
	s_cselect_b64 s[8:9], -1, 0
	s_cmpk_eq_i32 s13, 0x84
	v_mov_b32_e32 v156, 0
	v_mov_b32_e32 v126, -1.0
	s_cbranch_scc1 .LBB125_3
; %bb.2:
	v_lshl_add_u32 v126, v0, 2, v156
	buffer_load_dword v127, v126, s[0:3], 0 offen
	s_waitcnt vmcnt(0)
	v_div_scale_f32 v128, s[4:5], v127, v127, 1.0
	v_rcp_f32_e32 v129, v128
	v_div_scale_f32 v130, vcc, 1.0, v127, 1.0
	v_fma_f32 v131, -v128, v129, 1.0
	v_fmac_f32_e32 v129, v131, v129
	v_mul_f32_e32 v131, v130, v129
	v_fma_f32 v132, -v128, v131, v130
	v_fmac_f32_e32 v131, v132, v129
	v_fma_f32 v128, -v128, v131, v130
	v_div_fmas_f32 v128, v128, v129, v131
	v_div_fixup_f32 v127, v128, v127, 1.0
	buffer_store_dword v127, v126, s[0:3], 0 offen
	v_xor_b32_e32 v126, 0x80000000, v127
.LBB125_3:
	ds_write_b32 v1, v126
	s_cmpk_eq_i32 s12, 0x79
	v_or_b32_e32 v126, 0x100, v1
	v_add_u32_e32 v127, 0, v1
	s_mov_b64 s[4:5], -1
	s_cbranch_scc1 .LBB125_607
; %bb.4:
	buffer_load_dword v128, off, s[0:3], 0 offset:240
	v_cmp_eq_u32_e64 s[4:5], 61, v0
	s_waitcnt vmcnt(0)
	ds_write_b32 v126, v128
	s_waitcnt lgkmcnt(0)
	; wave barrier
	s_waitcnt lgkmcnt(0)
	s_and_saveexec_b64 s[6:7], s[4:5]
	s_cbranch_execz .LBB125_10
; %bb.5:
	s_and_b64 vcc, exec, s[8:9]
	s_cbranch_vccz .LBB125_7
; %bb.6:
	buffer_load_dword v128, v127, s[0:3], 0 offen
	ds_read_b32 v129, v126
	s_waitcnt vmcnt(0) lgkmcnt(0)
	v_mul_f32_e32 v128, v128, v129
	s_cbranch_execz .LBB125_8
	s_branch .LBB125_9
.LBB125_7:
                                        ; implicit-def: $vgpr128
.LBB125_8:
	ds_read_b32 v128, v126
.LBB125_9:
	v_mov_b32_e32 v129, 0
	ds_read_b32 v129, v129 offset:240
	s_waitcnt lgkmcnt(0)
	v_mul_f32_e32 v128, v128, v129
	buffer_store_dword v128, off, s[0:3], 0 offset:240
.LBB125_10:
	s_or_b64 exec, exec, s[6:7]
	buffer_load_dword v157, off, s[0:3], 0 offset:236
	v_or_b32_e32 v128, 8, v156
	v_add_u32_e32 v129, 16, v156
	v_add_u32_e32 v130, 24, v156
	;; [unrolled: 1-line block ×28, first 2 shown]
	v_cmp_lt_u32_e64 s[6:7], 59, v0
	s_waitcnt vmcnt(0)
	ds_write_b32 v126, v157
	s_waitcnt lgkmcnt(0)
	; wave barrier
	s_waitcnt lgkmcnt(0)
	s_and_saveexec_b64 s[10:11], s[6:7]
	s_cbranch_execz .LBB125_16
; %bb.11:
	s_andn2_b64 vcc, exec, s[8:9]
	s_cbranch_vccnz .LBB125_13
; %bb.12:
	buffer_load_dword v157, v127, s[0:3], 0 offen
	ds_read_b32 v158, v126
	s_waitcnt vmcnt(0) lgkmcnt(0)
	v_mul_f32_e32 v157, v157, v158
	s_cbranch_execz .LBB125_14
	s_branch .LBB125_15
.LBB125_13:
                                        ; implicit-def: $vgpr157
.LBB125_14:
	ds_read_b32 v157, v126
.LBB125_15:
	buffer_load_dword v160, off, s[0:3], 0 offset:240
	v_mov_b32_e32 v158, 0
	ds_read2_b32 v[158:159], v158 offset0:59 offset1:124
	s_waitcnt vmcnt(0) lgkmcnt(0)
	v_fma_f32 v159, v160, v159, v157
	v_cndmask_b32_e64 v157, v157, v159, s[4:5]
	v_mul_f32_e32 v157, v157, v158
	buffer_store_dword v157, off, s[0:3], 0 offset:236
.LBB125_16:
	s_or_b64 exec, exec, s[10:11]
	buffer_load_dword v157, off, s[0:3], 0 offset:232
	v_cmp_lt_u32_e64 s[4:5], 58, v0
	s_waitcnt vmcnt(0)
	ds_write_b32 v126, v157
	s_waitcnt lgkmcnt(0)
	; wave barrier
	s_waitcnt lgkmcnt(0)
	s_and_saveexec_b64 s[10:11], s[4:5]
	s_cbranch_execz .LBB125_26
; %bb.17:
	s_andn2_b64 vcc, exec, s[8:9]
	s_cbranch_vccnz .LBB125_19
; %bb.18:
	buffer_load_dword v157, v127, s[0:3], 0 offen
	ds_read_b32 v158, v126
	s_waitcnt vmcnt(0) lgkmcnt(0)
	v_mul_f32_e32 v157, v157, v158
	s_cbranch_execz .LBB125_20
	s_branch .LBB125_21
.LBB125_19:
                                        ; implicit-def: $vgpr157
.LBB125_20:
	ds_read_b32 v157, v126
.LBB125_21:
	s_and_saveexec_b64 s[12:13], s[6:7]
	s_cbranch_execz .LBB125_25
; %bb.22:
	v_mov_b32_e32 v158, 0
	v_add_u32_e32 v158, 0xec, v158
	v_subrev_u32_e32 v159, 59, v0
	s_movk_i32 s14, 0x1ec
	s_mov_b64 s[6:7], 0
.LBB125_23:                             ; =>This Inner Loop Header: Depth=1
	buffer_load_dword v160, v158, s[0:3], 0 offen
	v_mov_b32_e32 v161, s14
	ds_read_b32 v161, v161
	v_add_u32_e32 v159, -1, v159
	s_add_i32 s14, s14, 4
	v_cmp_eq_u32_e32 vcc, 0, v159
	v_add_u32_e32 v158, 4, v158
	s_or_b64 s[6:7], vcc, s[6:7]
	s_waitcnt vmcnt(0) lgkmcnt(0)
	v_fmac_f32_e32 v157, v160, v161
	s_andn2_b64 exec, exec, s[6:7]
	s_cbranch_execnz .LBB125_23
; %bb.24:
	s_or_b64 exec, exec, s[6:7]
.LBB125_25:
	s_or_b64 exec, exec, s[12:13]
	v_mov_b32_e32 v158, 0
	ds_read_b32 v158, v158 offset:232
	s_waitcnt lgkmcnt(0)
	v_mul_f32_e32 v157, v157, v158
	buffer_store_dword v157, off, s[0:3], 0 offset:232
.LBB125_26:
	s_or_b64 exec, exec, s[10:11]
	buffer_load_dword v157, off, s[0:3], 0 offset:228
	v_cmp_lt_u32_e64 s[6:7], 57, v0
	s_waitcnt vmcnt(0)
	ds_write_b32 v126, v157
	s_waitcnt lgkmcnt(0)
	; wave barrier
	s_waitcnt lgkmcnt(0)
	s_and_saveexec_b64 s[10:11], s[6:7]
	s_cbranch_execz .LBB125_36
; %bb.27:
	s_andn2_b64 vcc, exec, s[8:9]
	s_cbranch_vccnz .LBB125_29
; %bb.28:
	buffer_load_dword v157, v127, s[0:3], 0 offen
	ds_read_b32 v158, v126
	s_waitcnt vmcnt(0) lgkmcnt(0)
	v_mul_f32_e32 v157, v157, v158
	s_cbranch_execz .LBB125_30
	s_branch .LBB125_31
.LBB125_29:
                                        ; implicit-def: $vgpr157
.LBB125_30:
	ds_read_b32 v157, v126
.LBB125_31:
	s_and_saveexec_b64 s[12:13], s[4:5]
	s_cbranch_execz .LBB125_35
; %bb.32:
	v_subrev_u32_e32 v158, 58, v0
	s_movk_i32 s14, 0x1e8
	s_mov_b64 s[4:5], 0
.LBB125_33:                             ; =>This Inner Loop Header: Depth=1
	buffer_load_dword v159, v156, s[0:3], 0 offen
	v_mov_b32_e32 v160, s14
	ds_read_b32 v160, v160
	v_add_u32_e32 v158, -1, v158
	s_add_i32 s14, s14, 4
	v_cmp_eq_u32_e32 vcc, 0, v158
	v_add_u32_e32 v156, 4, v156
	s_or_b64 s[4:5], vcc, s[4:5]
	s_waitcnt vmcnt(0) lgkmcnt(0)
	v_fmac_f32_e32 v157, v159, v160
	s_andn2_b64 exec, exec, s[4:5]
	s_cbranch_execnz .LBB125_33
; %bb.34:
	s_or_b64 exec, exec, s[4:5]
.LBB125_35:
	s_or_b64 exec, exec, s[12:13]
	v_mov_b32_e32 v156, 0
	ds_read_b32 v156, v156 offset:228
	s_waitcnt lgkmcnt(0)
	v_mul_f32_e32 v156, v157, v156
	buffer_store_dword v156, off, s[0:3], 0 offset:228
.LBB125_36:
	s_or_b64 exec, exec, s[10:11]
	buffer_load_dword v156, off, s[0:3], 0 offset:224
	v_cmp_lt_u32_e64 s[4:5], 56, v0
	s_waitcnt vmcnt(0)
	ds_write_b32 v126, v156
	s_waitcnt lgkmcnt(0)
	; wave barrier
	s_waitcnt lgkmcnt(0)
	s_and_saveexec_b64 s[10:11], s[4:5]
	s_cbranch_execz .LBB125_46
; %bb.37:
	s_andn2_b64 vcc, exec, s[8:9]
	s_cbranch_vccnz .LBB125_39
; %bb.38:
	buffer_load_dword v156, v127, s[0:3], 0 offen
	ds_read_b32 v157, v126
	s_waitcnt vmcnt(0) lgkmcnt(0)
	v_mul_f32_e32 v156, v156, v157
	s_cbranch_execz .LBB125_40
	s_branch .LBB125_41
.LBB125_39:
                                        ; implicit-def: $vgpr156
.LBB125_40:
	ds_read_b32 v156, v126
.LBB125_41:
	s_and_saveexec_b64 s[12:13], s[6:7]
	s_cbranch_execz .LBB125_45
; %bb.42:
	v_mov_b32_e32 v157, 0
	v_add_u32_e32 v157, 0xe4, v157
	v_subrev_u32_e32 v158, 57, v0
	s_movk_i32 s14, 0x1e4
	s_mov_b64 s[6:7], 0
.LBB125_43:                             ; =>This Inner Loop Header: Depth=1
	buffer_load_dword v159, v157, s[0:3], 0 offen
	v_mov_b32_e32 v160, s14
	ds_read_b32 v160, v160
	v_add_u32_e32 v158, -1, v158
	s_add_i32 s14, s14, 4
	v_cmp_eq_u32_e32 vcc, 0, v158
	v_add_u32_e32 v157, 4, v157
	s_or_b64 s[6:7], vcc, s[6:7]
	s_waitcnt vmcnt(0) lgkmcnt(0)
	v_fmac_f32_e32 v156, v159, v160
	s_andn2_b64 exec, exec, s[6:7]
	s_cbranch_execnz .LBB125_43
; %bb.44:
	s_or_b64 exec, exec, s[6:7]
.LBB125_45:
	s_or_b64 exec, exec, s[12:13]
	v_mov_b32_e32 v157, 0
	ds_read_b32 v157, v157 offset:224
	s_waitcnt lgkmcnt(0)
	v_mul_f32_e32 v156, v156, v157
	buffer_store_dword v156, off, s[0:3], 0 offset:224
.LBB125_46:
	s_or_b64 exec, exec, s[10:11]
	buffer_load_dword v156, off, s[0:3], 0 offset:220
	v_cmp_lt_u32_e64 s[6:7], 55, v0
	s_waitcnt vmcnt(0)
	ds_write_b32 v126, v156
	s_waitcnt lgkmcnt(0)
	; wave barrier
	s_waitcnt lgkmcnt(0)
	s_and_saveexec_b64 s[10:11], s[6:7]
	s_cbranch_execz .LBB125_56
; %bb.47:
	s_andn2_b64 vcc, exec, s[8:9]
	s_cbranch_vccnz .LBB125_49
; %bb.48:
	buffer_load_dword v156, v127, s[0:3], 0 offen
	ds_read_b32 v157, v126
	s_waitcnt vmcnt(0) lgkmcnt(0)
	v_mul_f32_e32 v156, v156, v157
	s_cbranch_execz .LBB125_50
	s_branch .LBB125_51
.LBB125_49:
                                        ; implicit-def: $vgpr156
.LBB125_50:
	ds_read_b32 v156, v126
.LBB125_51:
	s_and_saveexec_b64 s[12:13], s[4:5]
	s_cbranch_execz .LBB125_55
; %bb.52:
	v_subrev_u32_e32 v157, 56, v0
	s_movk_i32 s14, 0x1e0
	s_mov_b64 s[4:5], 0
.LBB125_53:                             ; =>This Inner Loop Header: Depth=1
	buffer_load_dword v158, v155, s[0:3], 0 offen
	v_mov_b32_e32 v159, s14
	ds_read_b32 v159, v159
	v_add_u32_e32 v157, -1, v157
	s_add_i32 s14, s14, 4
	v_cmp_eq_u32_e32 vcc, 0, v157
	v_add_u32_e32 v155, 4, v155
	s_or_b64 s[4:5], vcc, s[4:5]
	s_waitcnt vmcnt(0) lgkmcnt(0)
	v_fmac_f32_e32 v156, v158, v159
	s_andn2_b64 exec, exec, s[4:5]
	s_cbranch_execnz .LBB125_53
; %bb.54:
	s_or_b64 exec, exec, s[4:5]
.LBB125_55:
	s_or_b64 exec, exec, s[12:13]
	v_mov_b32_e32 v155, 0
	ds_read_b32 v155, v155 offset:220
	s_waitcnt lgkmcnt(0)
	v_mul_f32_e32 v155, v156, v155
	buffer_store_dword v155, off, s[0:3], 0 offset:220
.LBB125_56:
	s_or_b64 exec, exec, s[10:11]
	buffer_load_dword v155, off, s[0:3], 0 offset:216
	v_cmp_lt_u32_e64 s[4:5], 54, v0
	s_waitcnt vmcnt(0)
	ds_write_b32 v126, v155
	s_waitcnt lgkmcnt(0)
	; wave barrier
	s_waitcnt lgkmcnt(0)
	s_and_saveexec_b64 s[10:11], s[4:5]
	s_cbranch_execz .LBB125_66
; %bb.57:
	s_andn2_b64 vcc, exec, s[8:9]
	s_cbranch_vccnz .LBB125_59
; %bb.58:
	buffer_load_dword v155, v127, s[0:3], 0 offen
	ds_read_b32 v156, v126
	s_waitcnt vmcnt(0) lgkmcnt(0)
	v_mul_f32_e32 v155, v155, v156
	s_cbranch_execz .LBB125_60
	s_branch .LBB125_61
.LBB125_59:
                                        ; implicit-def: $vgpr155
.LBB125_60:
	ds_read_b32 v155, v126
.LBB125_61:
	s_and_saveexec_b64 s[12:13], s[6:7]
	s_cbranch_execz .LBB125_65
; %bb.62:
	v_mov_b32_e32 v156, 0
	v_add_u32_e32 v156, 0xdc, v156
	v_subrev_u32_e32 v157, 55, v0
	s_movk_i32 s14, 0x1dc
	s_mov_b64 s[6:7], 0
.LBB125_63:                             ; =>This Inner Loop Header: Depth=1
	buffer_load_dword v158, v156, s[0:3], 0 offen
	v_mov_b32_e32 v159, s14
	ds_read_b32 v159, v159
	v_add_u32_e32 v157, -1, v157
	s_add_i32 s14, s14, 4
	v_cmp_eq_u32_e32 vcc, 0, v157
	v_add_u32_e32 v156, 4, v156
	s_or_b64 s[6:7], vcc, s[6:7]
	s_waitcnt vmcnt(0) lgkmcnt(0)
	v_fmac_f32_e32 v155, v158, v159
	s_andn2_b64 exec, exec, s[6:7]
	s_cbranch_execnz .LBB125_63
; %bb.64:
	s_or_b64 exec, exec, s[6:7]
.LBB125_65:
	s_or_b64 exec, exec, s[12:13]
	v_mov_b32_e32 v156, 0
	ds_read_b32 v156, v156 offset:216
	s_waitcnt lgkmcnt(0)
	v_mul_f32_e32 v155, v155, v156
	buffer_store_dword v155, off, s[0:3], 0 offset:216
.LBB125_66:
	s_or_b64 exec, exec, s[10:11]
	buffer_load_dword v155, off, s[0:3], 0 offset:212
	v_cmp_lt_u32_e64 s[6:7], 53, v0
	s_waitcnt vmcnt(0)
	ds_write_b32 v126, v155
	s_waitcnt lgkmcnt(0)
	; wave barrier
	s_waitcnt lgkmcnt(0)
	s_and_saveexec_b64 s[10:11], s[6:7]
	s_cbranch_execz .LBB125_76
; %bb.67:
	s_andn2_b64 vcc, exec, s[8:9]
	s_cbranch_vccnz .LBB125_69
; %bb.68:
	buffer_load_dword v155, v127, s[0:3], 0 offen
	ds_read_b32 v156, v126
	s_waitcnt vmcnt(0) lgkmcnt(0)
	v_mul_f32_e32 v155, v155, v156
	s_cbranch_execz .LBB125_70
	s_branch .LBB125_71
.LBB125_69:
                                        ; implicit-def: $vgpr155
.LBB125_70:
	ds_read_b32 v155, v126
.LBB125_71:
	s_and_saveexec_b64 s[12:13], s[4:5]
	s_cbranch_execz .LBB125_75
; %bb.72:
	v_subrev_u32_e32 v156, 54, v0
	s_movk_i32 s14, 0x1d8
	s_mov_b64 s[4:5], 0
.LBB125_73:                             ; =>This Inner Loop Header: Depth=1
	buffer_load_dword v157, v154, s[0:3], 0 offen
	v_mov_b32_e32 v158, s14
	ds_read_b32 v158, v158
	v_add_u32_e32 v156, -1, v156
	s_add_i32 s14, s14, 4
	v_cmp_eq_u32_e32 vcc, 0, v156
	v_add_u32_e32 v154, 4, v154
	s_or_b64 s[4:5], vcc, s[4:5]
	s_waitcnt vmcnt(0) lgkmcnt(0)
	v_fmac_f32_e32 v155, v157, v158
	s_andn2_b64 exec, exec, s[4:5]
	s_cbranch_execnz .LBB125_73
; %bb.74:
	s_or_b64 exec, exec, s[4:5]
.LBB125_75:
	s_or_b64 exec, exec, s[12:13]
	v_mov_b32_e32 v154, 0
	ds_read_b32 v154, v154 offset:212
	s_waitcnt lgkmcnt(0)
	v_mul_f32_e32 v154, v155, v154
	buffer_store_dword v154, off, s[0:3], 0 offset:212
.LBB125_76:
	s_or_b64 exec, exec, s[10:11]
	buffer_load_dword v154, off, s[0:3], 0 offset:208
	v_cmp_lt_u32_e64 s[4:5], 52, v0
	s_waitcnt vmcnt(0)
	ds_write_b32 v126, v154
	s_waitcnt lgkmcnt(0)
	; wave barrier
	s_waitcnt lgkmcnt(0)
	s_and_saveexec_b64 s[10:11], s[4:5]
	s_cbranch_execz .LBB125_86
; %bb.77:
	s_andn2_b64 vcc, exec, s[8:9]
	s_cbranch_vccnz .LBB125_79
; %bb.78:
	buffer_load_dword v154, v127, s[0:3], 0 offen
	ds_read_b32 v155, v126
	s_waitcnt vmcnt(0) lgkmcnt(0)
	v_mul_f32_e32 v154, v154, v155
	s_cbranch_execz .LBB125_80
	s_branch .LBB125_81
.LBB125_79:
                                        ; implicit-def: $vgpr154
.LBB125_80:
	ds_read_b32 v154, v126
.LBB125_81:
	s_and_saveexec_b64 s[12:13], s[6:7]
	s_cbranch_execz .LBB125_85
; %bb.82:
	v_mov_b32_e32 v155, 0
	v_add_u32_e32 v155, 0xd4, v155
	v_subrev_u32_e32 v156, 53, v0
	s_movk_i32 s14, 0x1d4
	s_mov_b64 s[6:7], 0
.LBB125_83:                             ; =>This Inner Loop Header: Depth=1
	buffer_load_dword v157, v155, s[0:3], 0 offen
	v_mov_b32_e32 v158, s14
	ds_read_b32 v158, v158
	v_add_u32_e32 v156, -1, v156
	s_add_i32 s14, s14, 4
	v_cmp_eq_u32_e32 vcc, 0, v156
	v_add_u32_e32 v155, 4, v155
	s_or_b64 s[6:7], vcc, s[6:7]
	s_waitcnt vmcnt(0) lgkmcnt(0)
	v_fmac_f32_e32 v154, v157, v158
	s_andn2_b64 exec, exec, s[6:7]
	s_cbranch_execnz .LBB125_83
; %bb.84:
	s_or_b64 exec, exec, s[6:7]
.LBB125_85:
	s_or_b64 exec, exec, s[12:13]
	v_mov_b32_e32 v155, 0
	ds_read_b32 v155, v155 offset:208
	s_waitcnt lgkmcnt(0)
	v_mul_f32_e32 v154, v154, v155
	buffer_store_dword v154, off, s[0:3], 0 offset:208
.LBB125_86:
	s_or_b64 exec, exec, s[10:11]
	buffer_load_dword v154, off, s[0:3], 0 offset:204
	v_cmp_lt_u32_e64 s[6:7], 51, v0
	s_waitcnt vmcnt(0)
	ds_write_b32 v126, v154
	s_waitcnt lgkmcnt(0)
	; wave barrier
	s_waitcnt lgkmcnt(0)
	s_and_saveexec_b64 s[10:11], s[6:7]
	s_cbranch_execz .LBB125_96
; %bb.87:
	s_andn2_b64 vcc, exec, s[8:9]
	s_cbranch_vccnz .LBB125_89
; %bb.88:
	buffer_load_dword v154, v127, s[0:3], 0 offen
	ds_read_b32 v155, v126
	s_waitcnt vmcnt(0) lgkmcnt(0)
	v_mul_f32_e32 v154, v154, v155
	s_cbranch_execz .LBB125_90
	s_branch .LBB125_91
.LBB125_89:
                                        ; implicit-def: $vgpr154
.LBB125_90:
	ds_read_b32 v154, v126
.LBB125_91:
	s_and_saveexec_b64 s[12:13], s[4:5]
	s_cbranch_execz .LBB125_95
; %bb.92:
	v_subrev_u32_e32 v155, 52, v0
	s_movk_i32 s14, 0x1d0
	s_mov_b64 s[4:5], 0
.LBB125_93:                             ; =>This Inner Loop Header: Depth=1
	buffer_load_dword v156, v153, s[0:3], 0 offen
	v_mov_b32_e32 v157, s14
	ds_read_b32 v157, v157
	v_add_u32_e32 v155, -1, v155
	s_add_i32 s14, s14, 4
	v_cmp_eq_u32_e32 vcc, 0, v155
	v_add_u32_e32 v153, 4, v153
	s_or_b64 s[4:5], vcc, s[4:5]
	s_waitcnt vmcnt(0) lgkmcnt(0)
	v_fmac_f32_e32 v154, v156, v157
	s_andn2_b64 exec, exec, s[4:5]
	s_cbranch_execnz .LBB125_93
; %bb.94:
	s_or_b64 exec, exec, s[4:5]
.LBB125_95:
	s_or_b64 exec, exec, s[12:13]
	v_mov_b32_e32 v153, 0
	ds_read_b32 v153, v153 offset:204
	s_waitcnt lgkmcnt(0)
	v_mul_f32_e32 v153, v154, v153
	buffer_store_dword v153, off, s[0:3], 0 offset:204
.LBB125_96:
	s_or_b64 exec, exec, s[10:11]
	buffer_load_dword v153, off, s[0:3], 0 offset:200
	v_cmp_lt_u32_e64 s[4:5], 50, v0
	s_waitcnt vmcnt(0)
	ds_write_b32 v126, v153
	s_waitcnt lgkmcnt(0)
	; wave barrier
	s_waitcnt lgkmcnt(0)
	s_and_saveexec_b64 s[10:11], s[4:5]
	s_cbranch_execz .LBB125_106
; %bb.97:
	s_andn2_b64 vcc, exec, s[8:9]
	s_cbranch_vccnz .LBB125_99
; %bb.98:
	buffer_load_dword v153, v127, s[0:3], 0 offen
	ds_read_b32 v154, v126
	s_waitcnt vmcnt(0) lgkmcnt(0)
	v_mul_f32_e32 v153, v153, v154
	s_cbranch_execz .LBB125_100
	s_branch .LBB125_101
.LBB125_99:
                                        ; implicit-def: $vgpr153
.LBB125_100:
	ds_read_b32 v153, v126
.LBB125_101:
	s_and_saveexec_b64 s[12:13], s[6:7]
	s_cbranch_execz .LBB125_105
; %bb.102:
	v_mov_b32_e32 v154, 0
	v_add_u32_e32 v154, 0xcc, v154
	v_subrev_u32_e32 v155, 51, v0
	s_movk_i32 s14, 0x1cc
	s_mov_b64 s[6:7], 0
.LBB125_103:                            ; =>This Inner Loop Header: Depth=1
	buffer_load_dword v156, v154, s[0:3], 0 offen
	v_mov_b32_e32 v157, s14
	ds_read_b32 v157, v157
	v_add_u32_e32 v155, -1, v155
	s_add_i32 s14, s14, 4
	v_cmp_eq_u32_e32 vcc, 0, v155
	v_add_u32_e32 v154, 4, v154
	s_or_b64 s[6:7], vcc, s[6:7]
	s_waitcnt vmcnt(0) lgkmcnt(0)
	v_fmac_f32_e32 v153, v156, v157
	s_andn2_b64 exec, exec, s[6:7]
	s_cbranch_execnz .LBB125_103
; %bb.104:
	s_or_b64 exec, exec, s[6:7]
.LBB125_105:
	s_or_b64 exec, exec, s[12:13]
	v_mov_b32_e32 v154, 0
	ds_read_b32 v154, v154 offset:200
	s_waitcnt lgkmcnt(0)
	v_mul_f32_e32 v153, v153, v154
	buffer_store_dword v153, off, s[0:3], 0 offset:200
.LBB125_106:
	s_or_b64 exec, exec, s[10:11]
	buffer_load_dword v153, off, s[0:3], 0 offset:196
	v_cmp_lt_u32_e64 s[6:7], 49, v0
	s_waitcnt vmcnt(0)
	ds_write_b32 v126, v153
	s_waitcnt lgkmcnt(0)
	; wave barrier
	s_waitcnt lgkmcnt(0)
	s_and_saveexec_b64 s[10:11], s[6:7]
	s_cbranch_execz .LBB125_116
; %bb.107:
	s_andn2_b64 vcc, exec, s[8:9]
	s_cbranch_vccnz .LBB125_109
; %bb.108:
	buffer_load_dword v153, v127, s[0:3], 0 offen
	ds_read_b32 v154, v126
	s_waitcnt vmcnt(0) lgkmcnt(0)
	v_mul_f32_e32 v153, v153, v154
	s_cbranch_execz .LBB125_110
	s_branch .LBB125_111
.LBB125_109:
                                        ; implicit-def: $vgpr153
.LBB125_110:
	ds_read_b32 v153, v126
.LBB125_111:
	s_and_saveexec_b64 s[12:13], s[4:5]
	s_cbranch_execz .LBB125_115
; %bb.112:
	v_subrev_u32_e32 v154, 50, v0
	s_movk_i32 s14, 0x1c8
	s_mov_b64 s[4:5], 0
.LBB125_113:                            ; =>This Inner Loop Header: Depth=1
	buffer_load_dword v155, v152, s[0:3], 0 offen
	v_mov_b32_e32 v156, s14
	ds_read_b32 v156, v156
	v_add_u32_e32 v154, -1, v154
	s_add_i32 s14, s14, 4
	v_cmp_eq_u32_e32 vcc, 0, v154
	v_add_u32_e32 v152, 4, v152
	s_or_b64 s[4:5], vcc, s[4:5]
	s_waitcnt vmcnt(0) lgkmcnt(0)
	v_fmac_f32_e32 v153, v155, v156
	s_andn2_b64 exec, exec, s[4:5]
	s_cbranch_execnz .LBB125_113
; %bb.114:
	s_or_b64 exec, exec, s[4:5]
.LBB125_115:
	s_or_b64 exec, exec, s[12:13]
	v_mov_b32_e32 v152, 0
	ds_read_b32 v152, v152 offset:196
	s_waitcnt lgkmcnt(0)
	v_mul_f32_e32 v152, v153, v152
	buffer_store_dword v152, off, s[0:3], 0 offset:196
.LBB125_116:
	s_or_b64 exec, exec, s[10:11]
	buffer_load_dword v152, off, s[0:3], 0 offset:192
	v_cmp_lt_u32_e64 s[4:5], 48, v0
	s_waitcnt vmcnt(0)
	ds_write_b32 v126, v152
	s_waitcnt lgkmcnt(0)
	; wave barrier
	s_waitcnt lgkmcnt(0)
	s_and_saveexec_b64 s[10:11], s[4:5]
	s_cbranch_execz .LBB125_126
; %bb.117:
	s_andn2_b64 vcc, exec, s[8:9]
	s_cbranch_vccnz .LBB125_119
; %bb.118:
	buffer_load_dword v152, v127, s[0:3], 0 offen
	ds_read_b32 v153, v126
	s_waitcnt vmcnt(0) lgkmcnt(0)
	v_mul_f32_e32 v152, v152, v153
	s_cbranch_execz .LBB125_120
	s_branch .LBB125_121
.LBB125_119:
                                        ; implicit-def: $vgpr152
.LBB125_120:
	ds_read_b32 v152, v126
.LBB125_121:
	s_and_saveexec_b64 s[12:13], s[6:7]
	s_cbranch_execz .LBB125_125
; %bb.122:
	v_mov_b32_e32 v153, 0
	v_add_u32_e32 v153, 0xc4, v153
	v_subrev_u32_e32 v154, 49, v0
	s_movk_i32 s14, 0x1c4
	s_mov_b64 s[6:7], 0
.LBB125_123:                            ; =>This Inner Loop Header: Depth=1
	buffer_load_dword v155, v153, s[0:3], 0 offen
	v_mov_b32_e32 v156, s14
	ds_read_b32 v156, v156
	v_add_u32_e32 v154, -1, v154
	s_add_i32 s14, s14, 4
	v_cmp_eq_u32_e32 vcc, 0, v154
	v_add_u32_e32 v153, 4, v153
	s_or_b64 s[6:7], vcc, s[6:7]
	s_waitcnt vmcnt(0) lgkmcnt(0)
	v_fmac_f32_e32 v152, v155, v156
	s_andn2_b64 exec, exec, s[6:7]
	s_cbranch_execnz .LBB125_123
; %bb.124:
	s_or_b64 exec, exec, s[6:7]
.LBB125_125:
	s_or_b64 exec, exec, s[12:13]
	v_mov_b32_e32 v153, 0
	ds_read_b32 v153, v153 offset:192
	s_waitcnt lgkmcnt(0)
	v_mul_f32_e32 v152, v152, v153
	buffer_store_dword v152, off, s[0:3], 0 offset:192
.LBB125_126:
	s_or_b64 exec, exec, s[10:11]
	buffer_load_dword v152, off, s[0:3], 0 offset:188
	v_cmp_lt_u32_e64 s[6:7], 47, v0
	s_waitcnt vmcnt(0)
	ds_write_b32 v126, v152
	s_waitcnt lgkmcnt(0)
	; wave barrier
	s_waitcnt lgkmcnt(0)
	s_and_saveexec_b64 s[10:11], s[6:7]
	s_cbranch_execz .LBB125_136
; %bb.127:
	s_andn2_b64 vcc, exec, s[8:9]
	s_cbranch_vccnz .LBB125_129
; %bb.128:
	buffer_load_dword v152, v127, s[0:3], 0 offen
	ds_read_b32 v153, v126
	s_waitcnt vmcnt(0) lgkmcnt(0)
	v_mul_f32_e32 v152, v152, v153
	s_cbranch_execz .LBB125_130
	s_branch .LBB125_131
.LBB125_129:
                                        ; implicit-def: $vgpr152
.LBB125_130:
	ds_read_b32 v152, v126
.LBB125_131:
	s_and_saveexec_b64 s[12:13], s[4:5]
	s_cbranch_execz .LBB125_135
; %bb.132:
	v_subrev_u32_e32 v153, 48, v0
	s_movk_i32 s14, 0x1c0
	s_mov_b64 s[4:5], 0
.LBB125_133:                            ; =>This Inner Loop Header: Depth=1
	buffer_load_dword v154, v151, s[0:3], 0 offen
	v_mov_b32_e32 v155, s14
	ds_read_b32 v155, v155
	v_add_u32_e32 v153, -1, v153
	s_add_i32 s14, s14, 4
	v_cmp_eq_u32_e32 vcc, 0, v153
	v_add_u32_e32 v151, 4, v151
	s_or_b64 s[4:5], vcc, s[4:5]
	s_waitcnt vmcnt(0) lgkmcnt(0)
	v_fmac_f32_e32 v152, v154, v155
	s_andn2_b64 exec, exec, s[4:5]
	s_cbranch_execnz .LBB125_133
; %bb.134:
	s_or_b64 exec, exec, s[4:5]
.LBB125_135:
	s_or_b64 exec, exec, s[12:13]
	v_mov_b32_e32 v151, 0
	ds_read_b32 v151, v151 offset:188
	s_waitcnt lgkmcnt(0)
	v_mul_f32_e32 v151, v152, v151
	buffer_store_dword v151, off, s[0:3], 0 offset:188
.LBB125_136:
	s_or_b64 exec, exec, s[10:11]
	buffer_load_dword v151, off, s[0:3], 0 offset:184
	v_cmp_lt_u32_e64 s[4:5], 46, v0
	s_waitcnt vmcnt(0)
	ds_write_b32 v126, v151
	s_waitcnt lgkmcnt(0)
	; wave barrier
	s_waitcnt lgkmcnt(0)
	s_and_saveexec_b64 s[10:11], s[4:5]
	s_cbranch_execz .LBB125_146
; %bb.137:
	s_andn2_b64 vcc, exec, s[8:9]
	s_cbranch_vccnz .LBB125_139
; %bb.138:
	buffer_load_dword v151, v127, s[0:3], 0 offen
	ds_read_b32 v152, v126
	s_waitcnt vmcnt(0) lgkmcnt(0)
	v_mul_f32_e32 v151, v151, v152
	s_cbranch_execz .LBB125_140
	s_branch .LBB125_141
.LBB125_139:
                                        ; implicit-def: $vgpr151
.LBB125_140:
	ds_read_b32 v151, v126
.LBB125_141:
	s_and_saveexec_b64 s[12:13], s[6:7]
	s_cbranch_execz .LBB125_145
; %bb.142:
	v_mov_b32_e32 v152, 0
	v_add_u32_e32 v152, 0xbc, v152
	v_subrev_u32_e32 v153, 47, v0
	s_movk_i32 s14, 0x1bc
	s_mov_b64 s[6:7], 0
.LBB125_143:                            ; =>This Inner Loop Header: Depth=1
	buffer_load_dword v154, v152, s[0:3], 0 offen
	v_mov_b32_e32 v155, s14
	ds_read_b32 v155, v155
	v_add_u32_e32 v153, -1, v153
	s_add_i32 s14, s14, 4
	v_cmp_eq_u32_e32 vcc, 0, v153
	v_add_u32_e32 v152, 4, v152
	s_or_b64 s[6:7], vcc, s[6:7]
	s_waitcnt vmcnt(0) lgkmcnt(0)
	v_fmac_f32_e32 v151, v154, v155
	s_andn2_b64 exec, exec, s[6:7]
	s_cbranch_execnz .LBB125_143
; %bb.144:
	s_or_b64 exec, exec, s[6:7]
.LBB125_145:
	s_or_b64 exec, exec, s[12:13]
	v_mov_b32_e32 v152, 0
	ds_read_b32 v152, v152 offset:184
	s_waitcnt lgkmcnt(0)
	v_mul_f32_e32 v151, v151, v152
	buffer_store_dword v151, off, s[0:3], 0 offset:184
.LBB125_146:
	s_or_b64 exec, exec, s[10:11]
	buffer_load_dword v151, off, s[0:3], 0 offset:180
	v_cmp_lt_u32_e64 s[6:7], 45, v0
	s_waitcnt vmcnt(0)
	ds_write_b32 v126, v151
	s_waitcnt lgkmcnt(0)
	; wave barrier
	s_waitcnt lgkmcnt(0)
	s_and_saveexec_b64 s[10:11], s[6:7]
	s_cbranch_execz .LBB125_156
; %bb.147:
	s_andn2_b64 vcc, exec, s[8:9]
	s_cbranch_vccnz .LBB125_149
; %bb.148:
	buffer_load_dword v151, v127, s[0:3], 0 offen
	ds_read_b32 v152, v126
	s_waitcnt vmcnt(0) lgkmcnt(0)
	v_mul_f32_e32 v151, v151, v152
	s_cbranch_execz .LBB125_150
	s_branch .LBB125_151
.LBB125_149:
                                        ; implicit-def: $vgpr151
.LBB125_150:
	ds_read_b32 v151, v126
.LBB125_151:
	s_and_saveexec_b64 s[12:13], s[4:5]
	s_cbranch_execz .LBB125_155
; %bb.152:
	v_subrev_u32_e32 v152, 46, v0
	s_movk_i32 s14, 0x1b8
	s_mov_b64 s[4:5], 0
.LBB125_153:                            ; =>This Inner Loop Header: Depth=1
	buffer_load_dword v153, v150, s[0:3], 0 offen
	v_mov_b32_e32 v154, s14
	ds_read_b32 v154, v154
	v_add_u32_e32 v152, -1, v152
	s_add_i32 s14, s14, 4
	v_cmp_eq_u32_e32 vcc, 0, v152
	v_add_u32_e32 v150, 4, v150
	s_or_b64 s[4:5], vcc, s[4:5]
	s_waitcnt vmcnt(0) lgkmcnt(0)
	v_fmac_f32_e32 v151, v153, v154
	s_andn2_b64 exec, exec, s[4:5]
	s_cbranch_execnz .LBB125_153
; %bb.154:
	s_or_b64 exec, exec, s[4:5]
.LBB125_155:
	s_or_b64 exec, exec, s[12:13]
	v_mov_b32_e32 v150, 0
	ds_read_b32 v150, v150 offset:180
	s_waitcnt lgkmcnt(0)
	v_mul_f32_e32 v150, v151, v150
	buffer_store_dword v150, off, s[0:3], 0 offset:180
.LBB125_156:
	s_or_b64 exec, exec, s[10:11]
	buffer_load_dword v150, off, s[0:3], 0 offset:176
	v_cmp_lt_u32_e64 s[4:5], 44, v0
	s_waitcnt vmcnt(0)
	ds_write_b32 v126, v150
	s_waitcnt lgkmcnt(0)
	; wave barrier
	s_waitcnt lgkmcnt(0)
	s_and_saveexec_b64 s[10:11], s[4:5]
	s_cbranch_execz .LBB125_166
; %bb.157:
	s_andn2_b64 vcc, exec, s[8:9]
	s_cbranch_vccnz .LBB125_159
; %bb.158:
	buffer_load_dword v150, v127, s[0:3], 0 offen
	ds_read_b32 v151, v126
	s_waitcnt vmcnt(0) lgkmcnt(0)
	v_mul_f32_e32 v150, v150, v151
	s_cbranch_execz .LBB125_160
	s_branch .LBB125_161
.LBB125_159:
                                        ; implicit-def: $vgpr150
.LBB125_160:
	ds_read_b32 v150, v126
.LBB125_161:
	s_and_saveexec_b64 s[12:13], s[6:7]
	s_cbranch_execz .LBB125_165
; %bb.162:
	v_mov_b32_e32 v151, 0
	v_add_u32_e32 v151, 0xb4, v151
	v_subrev_u32_e32 v152, 45, v0
	s_movk_i32 s14, 0x1b4
	s_mov_b64 s[6:7], 0
.LBB125_163:                            ; =>This Inner Loop Header: Depth=1
	buffer_load_dword v153, v151, s[0:3], 0 offen
	v_mov_b32_e32 v154, s14
	ds_read_b32 v154, v154
	v_add_u32_e32 v152, -1, v152
	s_add_i32 s14, s14, 4
	v_cmp_eq_u32_e32 vcc, 0, v152
	v_add_u32_e32 v151, 4, v151
	s_or_b64 s[6:7], vcc, s[6:7]
	s_waitcnt vmcnt(0) lgkmcnt(0)
	v_fmac_f32_e32 v150, v153, v154
	s_andn2_b64 exec, exec, s[6:7]
	s_cbranch_execnz .LBB125_163
; %bb.164:
	s_or_b64 exec, exec, s[6:7]
.LBB125_165:
	s_or_b64 exec, exec, s[12:13]
	v_mov_b32_e32 v151, 0
	ds_read_b32 v151, v151 offset:176
	s_waitcnt lgkmcnt(0)
	v_mul_f32_e32 v150, v150, v151
	buffer_store_dword v150, off, s[0:3], 0 offset:176
.LBB125_166:
	s_or_b64 exec, exec, s[10:11]
	buffer_load_dword v150, off, s[0:3], 0 offset:172
	v_cmp_lt_u32_e64 s[6:7], 43, v0
	s_waitcnt vmcnt(0)
	ds_write_b32 v126, v150
	s_waitcnt lgkmcnt(0)
	; wave barrier
	s_waitcnt lgkmcnt(0)
	s_and_saveexec_b64 s[10:11], s[6:7]
	s_cbranch_execz .LBB125_176
; %bb.167:
	s_andn2_b64 vcc, exec, s[8:9]
	s_cbranch_vccnz .LBB125_169
; %bb.168:
	buffer_load_dword v150, v127, s[0:3], 0 offen
	ds_read_b32 v151, v126
	s_waitcnt vmcnt(0) lgkmcnt(0)
	v_mul_f32_e32 v150, v150, v151
	s_cbranch_execz .LBB125_170
	s_branch .LBB125_171
.LBB125_169:
                                        ; implicit-def: $vgpr150
.LBB125_170:
	ds_read_b32 v150, v126
.LBB125_171:
	s_and_saveexec_b64 s[12:13], s[4:5]
	s_cbranch_execz .LBB125_175
; %bb.172:
	v_subrev_u32_e32 v151, 44, v0
	s_movk_i32 s14, 0x1b0
	s_mov_b64 s[4:5], 0
.LBB125_173:                            ; =>This Inner Loop Header: Depth=1
	buffer_load_dword v152, v149, s[0:3], 0 offen
	v_mov_b32_e32 v153, s14
	ds_read_b32 v153, v153
	v_add_u32_e32 v151, -1, v151
	s_add_i32 s14, s14, 4
	v_cmp_eq_u32_e32 vcc, 0, v151
	v_add_u32_e32 v149, 4, v149
	s_or_b64 s[4:5], vcc, s[4:5]
	s_waitcnt vmcnt(0) lgkmcnt(0)
	v_fmac_f32_e32 v150, v152, v153
	s_andn2_b64 exec, exec, s[4:5]
	s_cbranch_execnz .LBB125_173
; %bb.174:
	s_or_b64 exec, exec, s[4:5]
.LBB125_175:
	s_or_b64 exec, exec, s[12:13]
	v_mov_b32_e32 v149, 0
	ds_read_b32 v149, v149 offset:172
	s_waitcnt lgkmcnt(0)
	v_mul_f32_e32 v149, v150, v149
	buffer_store_dword v149, off, s[0:3], 0 offset:172
.LBB125_176:
	s_or_b64 exec, exec, s[10:11]
	buffer_load_dword v149, off, s[0:3], 0 offset:168
	v_cmp_lt_u32_e64 s[4:5], 42, v0
	s_waitcnt vmcnt(0)
	ds_write_b32 v126, v149
	s_waitcnt lgkmcnt(0)
	; wave barrier
	s_waitcnt lgkmcnt(0)
	s_and_saveexec_b64 s[10:11], s[4:5]
	s_cbranch_execz .LBB125_186
; %bb.177:
	s_andn2_b64 vcc, exec, s[8:9]
	s_cbranch_vccnz .LBB125_179
; %bb.178:
	buffer_load_dword v149, v127, s[0:3], 0 offen
	ds_read_b32 v150, v126
	s_waitcnt vmcnt(0) lgkmcnt(0)
	v_mul_f32_e32 v149, v149, v150
	s_cbranch_execz .LBB125_180
	s_branch .LBB125_181
.LBB125_179:
                                        ; implicit-def: $vgpr149
.LBB125_180:
	ds_read_b32 v149, v126
.LBB125_181:
	s_and_saveexec_b64 s[12:13], s[6:7]
	s_cbranch_execz .LBB125_185
; %bb.182:
	v_mov_b32_e32 v150, 0
	v_add_u32_e32 v150, 0xac, v150
	v_subrev_u32_e32 v151, 43, v0
	s_movk_i32 s14, 0x1ac
	s_mov_b64 s[6:7], 0
.LBB125_183:                            ; =>This Inner Loop Header: Depth=1
	buffer_load_dword v152, v150, s[0:3], 0 offen
	v_mov_b32_e32 v153, s14
	ds_read_b32 v153, v153
	v_add_u32_e32 v151, -1, v151
	s_add_i32 s14, s14, 4
	v_cmp_eq_u32_e32 vcc, 0, v151
	v_add_u32_e32 v150, 4, v150
	s_or_b64 s[6:7], vcc, s[6:7]
	s_waitcnt vmcnt(0) lgkmcnt(0)
	v_fmac_f32_e32 v149, v152, v153
	s_andn2_b64 exec, exec, s[6:7]
	s_cbranch_execnz .LBB125_183
; %bb.184:
	s_or_b64 exec, exec, s[6:7]
.LBB125_185:
	s_or_b64 exec, exec, s[12:13]
	v_mov_b32_e32 v150, 0
	ds_read_b32 v150, v150 offset:168
	s_waitcnt lgkmcnt(0)
	v_mul_f32_e32 v149, v149, v150
	buffer_store_dword v149, off, s[0:3], 0 offset:168
.LBB125_186:
	s_or_b64 exec, exec, s[10:11]
	buffer_load_dword v149, off, s[0:3], 0 offset:164
	v_cmp_lt_u32_e64 s[6:7], 41, v0
	s_waitcnt vmcnt(0)
	ds_write_b32 v126, v149
	s_waitcnt lgkmcnt(0)
	; wave barrier
	s_waitcnt lgkmcnt(0)
	s_and_saveexec_b64 s[10:11], s[6:7]
	s_cbranch_execz .LBB125_196
; %bb.187:
	s_andn2_b64 vcc, exec, s[8:9]
	s_cbranch_vccnz .LBB125_189
; %bb.188:
	buffer_load_dword v149, v127, s[0:3], 0 offen
	ds_read_b32 v150, v126
	s_waitcnt vmcnt(0) lgkmcnt(0)
	v_mul_f32_e32 v149, v149, v150
	s_cbranch_execz .LBB125_190
	s_branch .LBB125_191
.LBB125_189:
                                        ; implicit-def: $vgpr149
.LBB125_190:
	ds_read_b32 v149, v126
.LBB125_191:
	s_and_saveexec_b64 s[12:13], s[4:5]
	s_cbranch_execz .LBB125_195
; %bb.192:
	v_subrev_u32_e32 v150, 42, v0
	s_movk_i32 s14, 0x1a8
	s_mov_b64 s[4:5], 0
.LBB125_193:                            ; =>This Inner Loop Header: Depth=1
	buffer_load_dword v151, v148, s[0:3], 0 offen
	v_mov_b32_e32 v152, s14
	ds_read_b32 v152, v152
	v_add_u32_e32 v150, -1, v150
	s_add_i32 s14, s14, 4
	v_cmp_eq_u32_e32 vcc, 0, v150
	v_add_u32_e32 v148, 4, v148
	s_or_b64 s[4:5], vcc, s[4:5]
	s_waitcnt vmcnt(0) lgkmcnt(0)
	v_fmac_f32_e32 v149, v151, v152
	s_andn2_b64 exec, exec, s[4:5]
	s_cbranch_execnz .LBB125_193
; %bb.194:
	s_or_b64 exec, exec, s[4:5]
.LBB125_195:
	s_or_b64 exec, exec, s[12:13]
	v_mov_b32_e32 v148, 0
	ds_read_b32 v148, v148 offset:164
	s_waitcnt lgkmcnt(0)
	v_mul_f32_e32 v148, v149, v148
	buffer_store_dword v148, off, s[0:3], 0 offset:164
.LBB125_196:
	s_or_b64 exec, exec, s[10:11]
	buffer_load_dword v148, off, s[0:3], 0 offset:160
	v_cmp_lt_u32_e64 s[4:5], 40, v0
	s_waitcnt vmcnt(0)
	ds_write_b32 v126, v148
	s_waitcnt lgkmcnt(0)
	; wave barrier
	s_waitcnt lgkmcnt(0)
	s_and_saveexec_b64 s[10:11], s[4:5]
	s_cbranch_execz .LBB125_206
; %bb.197:
	s_andn2_b64 vcc, exec, s[8:9]
	s_cbranch_vccnz .LBB125_199
; %bb.198:
	buffer_load_dword v148, v127, s[0:3], 0 offen
	ds_read_b32 v149, v126
	s_waitcnt vmcnt(0) lgkmcnt(0)
	v_mul_f32_e32 v148, v148, v149
	s_cbranch_execz .LBB125_200
	s_branch .LBB125_201
.LBB125_199:
                                        ; implicit-def: $vgpr148
.LBB125_200:
	ds_read_b32 v148, v126
.LBB125_201:
	s_and_saveexec_b64 s[12:13], s[6:7]
	s_cbranch_execz .LBB125_205
; %bb.202:
	v_mov_b32_e32 v149, 0
	v_add_u32_e32 v149, 0xa4, v149
	v_subrev_u32_e32 v150, 41, v0
	s_movk_i32 s14, 0x1a4
	s_mov_b64 s[6:7], 0
.LBB125_203:                            ; =>This Inner Loop Header: Depth=1
	buffer_load_dword v151, v149, s[0:3], 0 offen
	v_mov_b32_e32 v152, s14
	ds_read_b32 v152, v152
	v_add_u32_e32 v150, -1, v150
	s_add_i32 s14, s14, 4
	v_cmp_eq_u32_e32 vcc, 0, v150
	v_add_u32_e32 v149, 4, v149
	s_or_b64 s[6:7], vcc, s[6:7]
	s_waitcnt vmcnt(0) lgkmcnt(0)
	v_fmac_f32_e32 v148, v151, v152
	s_andn2_b64 exec, exec, s[6:7]
	s_cbranch_execnz .LBB125_203
; %bb.204:
	s_or_b64 exec, exec, s[6:7]
.LBB125_205:
	s_or_b64 exec, exec, s[12:13]
	v_mov_b32_e32 v149, 0
	ds_read_b32 v149, v149 offset:160
	s_waitcnt lgkmcnt(0)
	v_mul_f32_e32 v148, v148, v149
	buffer_store_dword v148, off, s[0:3], 0 offset:160
.LBB125_206:
	s_or_b64 exec, exec, s[10:11]
	buffer_load_dword v148, off, s[0:3], 0 offset:156
	v_cmp_lt_u32_e64 s[6:7], 39, v0
	s_waitcnt vmcnt(0)
	ds_write_b32 v126, v148
	s_waitcnt lgkmcnt(0)
	; wave barrier
	s_waitcnt lgkmcnt(0)
	s_and_saveexec_b64 s[10:11], s[6:7]
	s_cbranch_execz .LBB125_216
; %bb.207:
	s_andn2_b64 vcc, exec, s[8:9]
	s_cbranch_vccnz .LBB125_209
; %bb.208:
	buffer_load_dword v148, v127, s[0:3], 0 offen
	ds_read_b32 v149, v126
	s_waitcnt vmcnt(0) lgkmcnt(0)
	v_mul_f32_e32 v148, v148, v149
	s_cbranch_execz .LBB125_210
	s_branch .LBB125_211
.LBB125_209:
                                        ; implicit-def: $vgpr148
.LBB125_210:
	ds_read_b32 v148, v126
.LBB125_211:
	s_and_saveexec_b64 s[12:13], s[4:5]
	s_cbranch_execz .LBB125_215
; %bb.212:
	v_subrev_u32_e32 v149, 40, v0
	s_movk_i32 s14, 0x1a0
	s_mov_b64 s[4:5], 0
.LBB125_213:                            ; =>This Inner Loop Header: Depth=1
	buffer_load_dword v150, v147, s[0:3], 0 offen
	v_mov_b32_e32 v151, s14
	ds_read_b32 v151, v151
	v_add_u32_e32 v149, -1, v149
	s_add_i32 s14, s14, 4
	v_cmp_eq_u32_e32 vcc, 0, v149
	v_add_u32_e32 v147, 4, v147
	s_or_b64 s[4:5], vcc, s[4:5]
	s_waitcnt vmcnt(0) lgkmcnt(0)
	v_fmac_f32_e32 v148, v150, v151
	s_andn2_b64 exec, exec, s[4:5]
	s_cbranch_execnz .LBB125_213
; %bb.214:
	s_or_b64 exec, exec, s[4:5]
.LBB125_215:
	s_or_b64 exec, exec, s[12:13]
	v_mov_b32_e32 v147, 0
	ds_read_b32 v147, v147 offset:156
	s_waitcnt lgkmcnt(0)
	v_mul_f32_e32 v147, v148, v147
	buffer_store_dword v147, off, s[0:3], 0 offset:156
.LBB125_216:
	s_or_b64 exec, exec, s[10:11]
	buffer_load_dword v147, off, s[0:3], 0 offset:152
	v_cmp_lt_u32_e64 s[4:5], 38, v0
	s_waitcnt vmcnt(0)
	ds_write_b32 v126, v147
	s_waitcnt lgkmcnt(0)
	; wave barrier
	s_waitcnt lgkmcnt(0)
	s_and_saveexec_b64 s[10:11], s[4:5]
	s_cbranch_execz .LBB125_226
; %bb.217:
	s_andn2_b64 vcc, exec, s[8:9]
	s_cbranch_vccnz .LBB125_219
; %bb.218:
	buffer_load_dword v147, v127, s[0:3], 0 offen
	ds_read_b32 v148, v126
	s_waitcnt vmcnt(0) lgkmcnt(0)
	v_mul_f32_e32 v147, v147, v148
	s_cbranch_execz .LBB125_220
	s_branch .LBB125_221
.LBB125_219:
                                        ; implicit-def: $vgpr147
.LBB125_220:
	ds_read_b32 v147, v126
.LBB125_221:
	s_and_saveexec_b64 s[12:13], s[6:7]
	s_cbranch_execz .LBB125_225
; %bb.222:
	v_mov_b32_e32 v148, 0
	v_add_u32_e32 v148, 0x9c, v148
	v_subrev_u32_e32 v149, 39, v0
	s_movk_i32 s14, 0x19c
	s_mov_b64 s[6:7], 0
.LBB125_223:                            ; =>This Inner Loop Header: Depth=1
	buffer_load_dword v150, v148, s[0:3], 0 offen
	v_mov_b32_e32 v151, s14
	ds_read_b32 v151, v151
	v_add_u32_e32 v149, -1, v149
	s_add_i32 s14, s14, 4
	v_cmp_eq_u32_e32 vcc, 0, v149
	v_add_u32_e32 v148, 4, v148
	s_or_b64 s[6:7], vcc, s[6:7]
	s_waitcnt vmcnt(0) lgkmcnt(0)
	v_fmac_f32_e32 v147, v150, v151
	s_andn2_b64 exec, exec, s[6:7]
	s_cbranch_execnz .LBB125_223
; %bb.224:
	s_or_b64 exec, exec, s[6:7]
.LBB125_225:
	s_or_b64 exec, exec, s[12:13]
	v_mov_b32_e32 v148, 0
	ds_read_b32 v148, v148 offset:152
	s_waitcnt lgkmcnt(0)
	v_mul_f32_e32 v147, v147, v148
	buffer_store_dword v147, off, s[0:3], 0 offset:152
.LBB125_226:
	s_or_b64 exec, exec, s[10:11]
	buffer_load_dword v147, off, s[0:3], 0 offset:148
	v_cmp_lt_u32_e64 s[6:7], 37, v0
	s_waitcnt vmcnt(0)
	ds_write_b32 v126, v147
	s_waitcnt lgkmcnt(0)
	; wave barrier
	s_waitcnt lgkmcnt(0)
	s_and_saveexec_b64 s[10:11], s[6:7]
	s_cbranch_execz .LBB125_236
; %bb.227:
	s_andn2_b64 vcc, exec, s[8:9]
	s_cbranch_vccnz .LBB125_229
; %bb.228:
	buffer_load_dword v147, v127, s[0:3], 0 offen
	ds_read_b32 v148, v126
	s_waitcnt vmcnt(0) lgkmcnt(0)
	v_mul_f32_e32 v147, v147, v148
	s_cbranch_execz .LBB125_230
	s_branch .LBB125_231
.LBB125_229:
                                        ; implicit-def: $vgpr147
.LBB125_230:
	ds_read_b32 v147, v126
.LBB125_231:
	s_and_saveexec_b64 s[12:13], s[4:5]
	s_cbranch_execz .LBB125_235
; %bb.232:
	v_subrev_u32_e32 v148, 38, v0
	s_movk_i32 s14, 0x198
	s_mov_b64 s[4:5], 0
.LBB125_233:                            ; =>This Inner Loop Header: Depth=1
	buffer_load_dword v149, v146, s[0:3], 0 offen
	v_mov_b32_e32 v150, s14
	ds_read_b32 v150, v150
	v_add_u32_e32 v148, -1, v148
	s_add_i32 s14, s14, 4
	v_cmp_eq_u32_e32 vcc, 0, v148
	v_add_u32_e32 v146, 4, v146
	s_or_b64 s[4:5], vcc, s[4:5]
	s_waitcnt vmcnt(0) lgkmcnt(0)
	v_fmac_f32_e32 v147, v149, v150
	s_andn2_b64 exec, exec, s[4:5]
	s_cbranch_execnz .LBB125_233
; %bb.234:
	s_or_b64 exec, exec, s[4:5]
.LBB125_235:
	s_or_b64 exec, exec, s[12:13]
	v_mov_b32_e32 v146, 0
	ds_read_b32 v146, v146 offset:148
	s_waitcnt lgkmcnt(0)
	v_mul_f32_e32 v146, v147, v146
	buffer_store_dword v146, off, s[0:3], 0 offset:148
.LBB125_236:
	s_or_b64 exec, exec, s[10:11]
	buffer_load_dword v146, off, s[0:3], 0 offset:144
	v_cmp_lt_u32_e64 s[4:5], 36, v0
	s_waitcnt vmcnt(0)
	ds_write_b32 v126, v146
	s_waitcnt lgkmcnt(0)
	; wave barrier
	s_waitcnt lgkmcnt(0)
	s_and_saveexec_b64 s[10:11], s[4:5]
	s_cbranch_execz .LBB125_246
; %bb.237:
	s_andn2_b64 vcc, exec, s[8:9]
	s_cbranch_vccnz .LBB125_239
; %bb.238:
	buffer_load_dword v146, v127, s[0:3], 0 offen
	ds_read_b32 v147, v126
	s_waitcnt vmcnt(0) lgkmcnt(0)
	v_mul_f32_e32 v146, v146, v147
	s_cbranch_execz .LBB125_240
	s_branch .LBB125_241
.LBB125_239:
                                        ; implicit-def: $vgpr146
.LBB125_240:
	ds_read_b32 v146, v126
.LBB125_241:
	s_and_saveexec_b64 s[12:13], s[6:7]
	s_cbranch_execz .LBB125_245
; %bb.242:
	v_mov_b32_e32 v147, 0
	v_add_u32_e32 v147, 0x94, v147
	v_subrev_u32_e32 v148, 37, v0
	s_movk_i32 s14, 0x194
	s_mov_b64 s[6:7], 0
.LBB125_243:                            ; =>This Inner Loop Header: Depth=1
	buffer_load_dword v149, v147, s[0:3], 0 offen
	v_mov_b32_e32 v150, s14
	ds_read_b32 v150, v150
	v_add_u32_e32 v148, -1, v148
	s_add_i32 s14, s14, 4
	v_cmp_eq_u32_e32 vcc, 0, v148
	v_add_u32_e32 v147, 4, v147
	s_or_b64 s[6:7], vcc, s[6:7]
	s_waitcnt vmcnt(0) lgkmcnt(0)
	v_fmac_f32_e32 v146, v149, v150
	s_andn2_b64 exec, exec, s[6:7]
	s_cbranch_execnz .LBB125_243
; %bb.244:
	s_or_b64 exec, exec, s[6:7]
.LBB125_245:
	s_or_b64 exec, exec, s[12:13]
	v_mov_b32_e32 v147, 0
	ds_read_b32 v147, v147 offset:144
	s_waitcnt lgkmcnt(0)
	v_mul_f32_e32 v146, v146, v147
	buffer_store_dword v146, off, s[0:3], 0 offset:144
.LBB125_246:
	s_or_b64 exec, exec, s[10:11]
	buffer_load_dword v146, off, s[0:3], 0 offset:140
	v_cmp_lt_u32_e64 s[6:7], 35, v0
	s_waitcnt vmcnt(0)
	ds_write_b32 v126, v146
	s_waitcnt lgkmcnt(0)
	; wave barrier
	s_waitcnt lgkmcnt(0)
	s_and_saveexec_b64 s[10:11], s[6:7]
	s_cbranch_execz .LBB125_256
; %bb.247:
	s_andn2_b64 vcc, exec, s[8:9]
	s_cbranch_vccnz .LBB125_249
; %bb.248:
	buffer_load_dword v146, v127, s[0:3], 0 offen
	ds_read_b32 v147, v126
	s_waitcnt vmcnt(0) lgkmcnt(0)
	v_mul_f32_e32 v146, v146, v147
	s_cbranch_execz .LBB125_250
	s_branch .LBB125_251
.LBB125_249:
                                        ; implicit-def: $vgpr146
.LBB125_250:
	ds_read_b32 v146, v126
.LBB125_251:
	s_and_saveexec_b64 s[12:13], s[4:5]
	s_cbranch_execz .LBB125_255
; %bb.252:
	v_subrev_u32_e32 v147, 36, v0
	s_movk_i32 s14, 0x190
	s_mov_b64 s[4:5], 0
.LBB125_253:                            ; =>This Inner Loop Header: Depth=1
	buffer_load_dword v148, v145, s[0:3], 0 offen
	v_mov_b32_e32 v149, s14
	ds_read_b32 v149, v149
	v_add_u32_e32 v147, -1, v147
	s_add_i32 s14, s14, 4
	v_cmp_eq_u32_e32 vcc, 0, v147
	v_add_u32_e32 v145, 4, v145
	s_or_b64 s[4:5], vcc, s[4:5]
	s_waitcnt vmcnt(0) lgkmcnt(0)
	v_fmac_f32_e32 v146, v148, v149
	s_andn2_b64 exec, exec, s[4:5]
	s_cbranch_execnz .LBB125_253
; %bb.254:
	s_or_b64 exec, exec, s[4:5]
.LBB125_255:
	s_or_b64 exec, exec, s[12:13]
	v_mov_b32_e32 v145, 0
	ds_read_b32 v145, v145 offset:140
	s_waitcnt lgkmcnt(0)
	v_mul_f32_e32 v145, v146, v145
	buffer_store_dword v145, off, s[0:3], 0 offset:140
.LBB125_256:
	s_or_b64 exec, exec, s[10:11]
	buffer_load_dword v145, off, s[0:3], 0 offset:136
	v_cmp_lt_u32_e64 s[4:5], 34, v0
	s_waitcnt vmcnt(0)
	ds_write_b32 v126, v145
	s_waitcnt lgkmcnt(0)
	; wave barrier
	s_waitcnt lgkmcnt(0)
	s_and_saveexec_b64 s[10:11], s[4:5]
	s_cbranch_execz .LBB125_266
; %bb.257:
	s_andn2_b64 vcc, exec, s[8:9]
	s_cbranch_vccnz .LBB125_259
; %bb.258:
	buffer_load_dword v145, v127, s[0:3], 0 offen
	ds_read_b32 v146, v126
	s_waitcnt vmcnt(0) lgkmcnt(0)
	v_mul_f32_e32 v145, v145, v146
	s_cbranch_execz .LBB125_260
	s_branch .LBB125_261
.LBB125_259:
                                        ; implicit-def: $vgpr145
.LBB125_260:
	ds_read_b32 v145, v126
.LBB125_261:
	s_and_saveexec_b64 s[12:13], s[6:7]
	s_cbranch_execz .LBB125_265
; %bb.262:
	v_mov_b32_e32 v146, 0
	v_add_u32_e32 v146, 0x8c, v146
	v_subrev_u32_e32 v147, 35, v0
	s_movk_i32 s14, 0x18c
	s_mov_b64 s[6:7], 0
.LBB125_263:                            ; =>This Inner Loop Header: Depth=1
	buffer_load_dword v148, v146, s[0:3], 0 offen
	v_mov_b32_e32 v149, s14
	ds_read_b32 v149, v149
	v_add_u32_e32 v147, -1, v147
	s_add_i32 s14, s14, 4
	v_cmp_eq_u32_e32 vcc, 0, v147
	v_add_u32_e32 v146, 4, v146
	s_or_b64 s[6:7], vcc, s[6:7]
	s_waitcnt vmcnt(0) lgkmcnt(0)
	v_fmac_f32_e32 v145, v148, v149
	s_andn2_b64 exec, exec, s[6:7]
	s_cbranch_execnz .LBB125_263
; %bb.264:
	s_or_b64 exec, exec, s[6:7]
.LBB125_265:
	s_or_b64 exec, exec, s[12:13]
	v_mov_b32_e32 v146, 0
	ds_read_b32 v146, v146 offset:136
	s_waitcnt lgkmcnt(0)
	v_mul_f32_e32 v145, v145, v146
	buffer_store_dword v145, off, s[0:3], 0 offset:136
.LBB125_266:
	s_or_b64 exec, exec, s[10:11]
	buffer_load_dword v145, off, s[0:3], 0 offset:132
	v_cmp_lt_u32_e64 s[6:7], 33, v0
	s_waitcnt vmcnt(0)
	ds_write_b32 v126, v145
	s_waitcnt lgkmcnt(0)
	; wave barrier
	s_waitcnt lgkmcnt(0)
	s_and_saveexec_b64 s[10:11], s[6:7]
	s_cbranch_execz .LBB125_276
; %bb.267:
	s_andn2_b64 vcc, exec, s[8:9]
	s_cbranch_vccnz .LBB125_269
; %bb.268:
	buffer_load_dword v145, v127, s[0:3], 0 offen
	ds_read_b32 v146, v126
	s_waitcnt vmcnt(0) lgkmcnt(0)
	v_mul_f32_e32 v145, v145, v146
	s_cbranch_execz .LBB125_270
	s_branch .LBB125_271
.LBB125_269:
                                        ; implicit-def: $vgpr145
.LBB125_270:
	ds_read_b32 v145, v126
.LBB125_271:
	s_and_saveexec_b64 s[12:13], s[4:5]
	s_cbranch_execz .LBB125_275
; %bb.272:
	v_subrev_u32_e32 v146, 34, v0
	s_movk_i32 s14, 0x188
	s_mov_b64 s[4:5], 0
.LBB125_273:                            ; =>This Inner Loop Header: Depth=1
	buffer_load_dword v147, v144, s[0:3], 0 offen
	v_mov_b32_e32 v148, s14
	ds_read_b32 v148, v148
	v_add_u32_e32 v146, -1, v146
	s_add_i32 s14, s14, 4
	v_cmp_eq_u32_e32 vcc, 0, v146
	v_add_u32_e32 v144, 4, v144
	s_or_b64 s[4:5], vcc, s[4:5]
	s_waitcnt vmcnt(0) lgkmcnt(0)
	v_fmac_f32_e32 v145, v147, v148
	s_andn2_b64 exec, exec, s[4:5]
	s_cbranch_execnz .LBB125_273
; %bb.274:
	s_or_b64 exec, exec, s[4:5]
.LBB125_275:
	s_or_b64 exec, exec, s[12:13]
	v_mov_b32_e32 v144, 0
	ds_read_b32 v144, v144 offset:132
	s_waitcnt lgkmcnt(0)
	v_mul_f32_e32 v144, v145, v144
	buffer_store_dword v144, off, s[0:3], 0 offset:132
.LBB125_276:
	s_or_b64 exec, exec, s[10:11]
	buffer_load_dword v144, off, s[0:3], 0 offset:128
	v_cmp_lt_u32_e64 s[4:5], 32, v0
	s_waitcnt vmcnt(0)
	ds_write_b32 v126, v144
	s_waitcnt lgkmcnt(0)
	; wave barrier
	s_waitcnt lgkmcnt(0)
	s_and_saveexec_b64 s[10:11], s[4:5]
	s_cbranch_execz .LBB125_286
; %bb.277:
	s_andn2_b64 vcc, exec, s[8:9]
	s_cbranch_vccnz .LBB125_279
; %bb.278:
	buffer_load_dword v144, v127, s[0:3], 0 offen
	ds_read_b32 v145, v126
	s_waitcnt vmcnt(0) lgkmcnt(0)
	v_mul_f32_e32 v144, v144, v145
	s_cbranch_execz .LBB125_280
	s_branch .LBB125_281
.LBB125_279:
                                        ; implicit-def: $vgpr144
.LBB125_280:
	ds_read_b32 v144, v126
.LBB125_281:
	s_and_saveexec_b64 s[12:13], s[6:7]
	s_cbranch_execz .LBB125_285
; %bb.282:
	v_mov_b32_e32 v145, 0
	v_add_u32_e32 v145, 0x84, v145
	v_subrev_u32_e32 v146, 33, v0
	s_movk_i32 s14, 0x184
	s_mov_b64 s[6:7], 0
.LBB125_283:                            ; =>This Inner Loop Header: Depth=1
	buffer_load_dword v147, v145, s[0:3], 0 offen
	v_mov_b32_e32 v148, s14
	ds_read_b32 v148, v148
	v_add_u32_e32 v146, -1, v146
	s_add_i32 s14, s14, 4
	v_cmp_eq_u32_e32 vcc, 0, v146
	v_add_u32_e32 v145, 4, v145
	s_or_b64 s[6:7], vcc, s[6:7]
	s_waitcnt vmcnt(0) lgkmcnt(0)
	v_fmac_f32_e32 v144, v147, v148
	s_andn2_b64 exec, exec, s[6:7]
	s_cbranch_execnz .LBB125_283
; %bb.284:
	s_or_b64 exec, exec, s[6:7]
.LBB125_285:
	s_or_b64 exec, exec, s[12:13]
	v_mov_b32_e32 v145, 0
	ds_read_b32 v145, v145 offset:128
	s_waitcnt lgkmcnt(0)
	v_mul_f32_e32 v144, v144, v145
	buffer_store_dword v144, off, s[0:3], 0 offset:128
.LBB125_286:
	s_or_b64 exec, exec, s[10:11]
	buffer_load_dword v144, off, s[0:3], 0 offset:124
	v_cmp_lt_u32_e64 s[6:7], 31, v0
	s_waitcnt vmcnt(0)
	ds_write_b32 v126, v144
	s_waitcnt lgkmcnt(0)
	; wave barrier
	s_waitcnt lgkmcnt(0)
	s_and_saveexec_b64 s[10:11], s[6:7]
	s_cbranch_execz .LBB125_296
; %bb.287:
	s_andn2_b64 vcc, exec, s[8:9]
	s_cbranch_vccnz .LBB125_289
; %bb.288:
	buffer_load_dword v144, v127, s[0:3], 0 offen
	ds_read_b32 v145, v126
	s_waitcnt vmcnt(0) lgkmcnt(0)
	v_mul_f32_e32 v144, v144, v145
	s_cbranch_execz .LBB125_290
	s_branch .LBB125_291
.LBB125_289:
                                        ; implicit-def: $vgpr144
.LBB125_290:
	ds_read_b32 v144, v126
.LBB125_291:
	s_and_saveexec_b64 s[12:13], s[4:5]
	s_cbranch_execz .LBB125_295
; %bb.292:
	v_subrev_u32_e32 v145, 32, v0
	s_movk_i32 s14, 0x180
	s_mov_b64 s[4:5], 0
.LBB125_293:                            ; =>This Inner Loop Header: Depth=1
	buffer_load_dword v146, v143, s[0:3], 0 offen
	v_mov_b32_e32 v147, s14
	ds_read_b32 v147, v147
	v_add_u32_e32 v145, -1, v145
	s_add_i32 s14, s14, 4
	v_cmp_eq_u32_e32 vcc, 0, v145
	v_add_u32_e32 v143, 4, v143
	s_or_b64 s[4:5], vcc, s[4:5]
	s_waitcnt vmcnt(0) lgkmcnt(0)
	v_fmac_f32_e32 v144, v146, v147
	s_andn2_b64 exec, exec, s[4:5]
	s_cbranch_execnz .LBB125_293
; %bb.294:
	s_or_b64 exec, exec, s[4:5]
.LBB125_295:
	s_or_b64 exec, exec, s[12:13]
	v_mov_b32_e32 v143, 0
	ds_read_b32 v143, v143 offset:124
	s_waitcnt lgkmcnt(0)
	v_mul_f32_e32 v143, v144, v143
	buffer_store_dword v143, off, s[0:3], 0 offset:124
.LBB125_296:
	s_or_b64 exec, exec, s[10:11]
	buffer_load_dword v143, off, s[0:3], 0 offset:120
	v_cmp_lt_u32_e64 s[4:5], 30, v0
	s_waitcnt vmcnt(0)
	ds_write_b32 v126, v143
	s_waitcnt lgkmcnt(0)
	; wave barrier
	s_waitcnt lgkmcnt(0)
	s_and_saveexec_b64 s[10:11], s[4:5]
	s_cbranch_execz .LBB125_306
; %bb.297:
	s_andn2_b64 vcc, exec, s[8:9]
	s_cbranch_vccnz .LBB125_299
; %bb.298:
	buffer_load_dword v143, v127, s[0:3], 0 offen
	ds_read_b32 v144, v126
	s_waitcnt vmcnt(0) lgkmcnt(0)
	v_mul_f32_e32 v143, v143, v144
	s_cbranch_execz .LBB125_300
	s_branch .LBB125_301
.LBB125_299:
                                        ; implicit-def: $vgpr143
.LBB125_300:
	ds_read_b32 v143, v126
.LBB125_301:
	s_and_saveexec_b64 s[12:13], s[6:7]
	s_cbranch_execz .LBB125_305
; %bb.302:
	v_mov_b32_e32 v144, 0
	v_add_u32_e32 v144, 0x7c, v144
	v_subrev_u32_e32 v145, 31, v0
	s_movk_i32 s14, 0x17c
	s_mov_b64 s[6:7], 0
.LBB125_303:                            ; =>This Inner Loop Header: Depth=1
	buffer_load_dword v146, v144, s[0:3], 0 offen
	v_mov_b32_e32 v147, s14
	ds_read_b32 v147, v147
	v_add_u32_e32 v145, -1, v145
	s_add_i32 s14, s14, 4
	v_cmp_eq_u32_e32 vcc, 0, v145
	v_add_u32_e32 v144, 4, v144
	s_or_b64 s[6:7], vcc, s[6:7]
	s_waitcnt vmcnt(0) lgkmcnt(0)
	v_fmac_f32_e32 v143, v146, v147
	s_andn2_b64 exec, exec, s[6:7]
	s_cbranch_execnz .LBB125_303
; %bb.304:
	s_or_b64 exec, exec, s[6:7]
.LBB125_305:
	s_or_b64 exec, exec, s[12:13]
	v_mov_b32_e32 v144, 0
	ds_read_b32 v144, v144 offset:120
	s_waitcnt lgkmcnt(0)
	v_mul_f32_e32 v143, v143, v144
	buffer_store_dword v143, off, s[0:3], 0 offset:120
.LBB125_306:
	s_or_b64 exec, exec, s[10:11]
	buffer_load_dword v143, off, s[0:3], 0 offset:116
	v_cmp_lt_u32_e64 s[6:7], 29, v0
	s_waitcnt vmcnt(0)
	ds_write_b32 v126, v143
	s_waitcnt lgkmcnt(0)
	; wave barrier
	s_waitcnt lgkmcnt(0)
	s_and_saveexec_b64 s[10:11], s[6:7]
	s_cbranch_execz .LBB125_316
; %bb.307:
	s_andn2_b64 vcc, exec, s[8:9]
	s_cbranch_vccnz .LBB125_309
; %bb.308:
	buffer_load_dword v143, v127, s[0:3], 0 offen
	ds_read_b32 v144, v126
	s_waitcnt vmcnt(0) lgkmcnt(0)
	v_mul_f32_e32 v143, v143, v144
	s_cbranch_execz .LBB125_310
	s_branch .LBB125_311
.LBB125_309:
                                        ; implicit-def: $vgpr143
.LBB125_310:
	ds_read_b32 v143, v126
.LBB125_311:
	s_and_saveexec_b64 s[12:13], s[4:5]
	s_cbranch_execz .LBB125_315
; %bb.312:
	v_subrev_u32_e32 v144, 30, v0
	s_movk_i32 s14, 0x178
	s_mov_b64 s[4:5], 0
.LBB125_313:                            ; =>This Inner Loop Header: Depth=1
	buffer_load_dword v145, v142, s[0:3], 0 offen
	v_mov_b32_e32 v146, s14
	ds_read_b32 v146, v146
	v_add_u32_e32 v144, -1, v144
	s_add_i32 s14, s14, 4
	v_cmp_eq_u32_e32 vcc, 0, v144
	v_add_u32_e32 v142, 4, v142
	s_or_b64 s[4:5], vcc, s[4:5]
	s_waitcnt vmcnt(0) lgkmcnt(0)
	v_fmac_f32_e32 v143, v145, v146
	s_andn2_b64 exec, exec, s[4:5]
	s_cbranch_execnz .LBB125_313
; %bb.314:
	s_or_b64 exec, exec, s[4:5]
.LBB125_315:
	s_or_b64 exec, exec, s[12:13]
	v_mov_b32_e32 v142, 0
	ds_read_b32 v142, v142 offset:116
	s_waitcnt lgkmcnt(0)
	v_mul_f32_e32 v142, v143, v142
	buffer_store_dword v142, off, s[0:3], 0 offset:116
.LBB125_316:
	s_or_b64 exec, exec, s[10:11]
	buffer_load_dword v142, off, s[0:3], 0 offset:112
	v_cmp_lt_u32_e64 s[4:5], 28, v0
	s_waitcnt vmcnt(0)
	ds_write_b32 v126, v142
	s_waitcnt lgkmcnt(0)
	; wave barrier
	s_waitcnt lgkmcnt(0)
	s_and_saveexec_b64 s[10:11], s[4:5]
	s_cbranch_execz .LBB125_326
; %bb.317:
	s_andn2_b64 vcc, exec, s[8:9]
	s_cbranch_vccnz .LBB125_319
; %bb.318:
	buffer_load_dword v142, v127, s[0:3], 0 offen
	ds_read_b32 v143, v126
	s_waitcnt vmcnt(0) lgkmcnt(0)
	v_mul_f32_e32 v142, v142, v143
	s_cbranch_execz .LBB125_320
	s_branch .LBB125_321
.LBB125_319:
                                        ; implicit-def: $vgpr142
.LBB125_320:
	ds_read_b32 v142, v126
.LBB125_321:
	s_and_saveexec_b64 s[12:13], s[6:7]
	s_cbranch_execz .LBB125_325
; %bb.322:
	v_mov_b32_e32 v143, 0
	v_add_u32_e32 v143, 0x74, v143
	v_subrev_u32_e32 v144, 29, v0
	s_movk_i32 s14, 0x174
	s_mov_b64 s[6:7], 0
.LBB125_323:                            ; =>This Inner Loop Header: Depth=1
	buffer_load_dword v145, v143, s[0:3], 0 offen
	v_mov_b32_e32 v146, s14
	ds_read_b32 v146, v146
	v_add_u32_e32 v144, -1, v144
	s_add_i32 s14, s14, 4
	v_cmp_eq_u32_e32 vcc, 0, v144
	v_add_u32_e32 v143, 4, v143
	s_or_b64 s[6:7], vcc, s[6:7]
	s_waitcnt vmcnt(0) lgkmcnt(0)
	v_fmac_f32_e32 v142, v145, v146
	s_andn2_b64 exec, exec, s[6:7]
	s_cbranch_execnz .LBB125_323
; %bb.324:
	s_or_b64 exec, exec, s[6:7]
.LBB125_325:
	s_or_b64 exec, exec, s[12:13]
	v_mov_b32_e32 v143, 0
	ds_read_b32 v143, v143 offset:112
	s_waitcnt lgkmcnt(0)
	v_mul_f32_e32 v142, v142, v143
	buffer_store_dword v142, off, s[0:3], 0 offset:112
.LBB125_326:
	s_or_b64 exec, exec, s[10:11]
	buffer_load_dword v142, off, s[0:3], 0 offset:108
	v_cmp_lt_u32_e64 s[6:7], 27, v0
	s_waitcnt vmcnt(0)
	ds_write_b32 v126, v142
	s_waitcnt lgkmcnt(0)
	; wave barrier
	s_waitcnt lgkmcnt(0)
	s_and_saveexec_b64 s[10:11], s[6:7]
	s_cbranch_execz .LBB125_336
; %bb.327:
	s_andn2_b64 vcc, exec, s[8:9]
	s_cbranch_vccnz .LBB125_329
; %bb.328:
	buffer_load_dword v142, v127, s[0:3], 0 offen
	ds_read_b32 v143, v126
	s_waitcnt vmcnt(0) lgkmcnt(0)
	v_mul_f32_e32 v142, v142, v143
	s_cbranch_execz .LBB125_330
	s_branch .LBB125_331
.LBB125_329:
                                        ; implicit-def: $vgpr142
.LBB125_330:
	ds_read_b32 v142, v126
.LBB125_331:
	s_and_saveexec_b64 s[12:13], s[4:5]
	s_cbranch_execz .LBB125_335
; %bb.332:
	v_subrev_u32_e32 v143, 28, v0
	s_movk_i32 s14, 0x170
	s_mov_b64 s[4:5], 0
.LBB125_333:                            ; =>This Inner Loop Header: Depth=1
	buffer_load_dword v144, v141, s[0:3], 0 offen
	v_mov_b32_e32 v145, s14
	ds_read_b32 v145, v145
	v_add_u32_e32 v143, -1, v143
	s_add_i32 s14, s14, 4
	v_cmp_eq_u32_e32 vcc, 0, v143
	v_add_u32_e32 v141, 4, v141
	s_or_b64 s[4:5], vcc, s[4:5]
	s_waitcnt vmcnt(0) lgkmcnt(0)
	v_fmac_f32_e32 v142, v144, v145
	s_andn2_b64 exec, exec, s[4:5]
	s_cbranch_execnz .LBB125_333
; %bb.334:
	s_or_b64 exec, exec, s[4:5]
.LBB125_335:
	s_or_b64 exec, exec, s[12:13]
	v_mov_b32_e32 v141, 0
	ds_read_b32 v141, v141 offset:108
	s_waitcnt lgkmcnt(0)
	v_mul_f32_e32 v141, v142, v141
	buffer_store_dword v141, off, s[0:3], 0 offset:108
.LBB125_336:
	s_or_b64 exec, exec, s[10:11]
	buffer_load_dword v141, off, s[0:3], 0 offset:104
	v_cmp_lt_u32_e64 s[4:5], 26, v0
	s_waitcnt vmcnt(0)
	ds_write_b32 v126, v141
	s_waitcnt lgkmcnt(0)
	; wave barrier
	s_waitcnt lgkmcnt(0)
	s_and_saveexec_b64 s[10:11], s[4:5]
	s_cbranch_execz .LBB125_346
; %bb.337:
	s_andn2_b64 vcc, exec, s[8:9]
	s_cbranch_vccnz .LBB125_339
; %bb.338:
	buffer_load_dword v141, v127, s[0:3], 0 offen
	ds_read_b32 v142, v126
	s_waitcnt vmcnt(0) lgkmcnt(0)
	v_mul_f32_e32 v141, v141, v142
	s_cbranch_execz .LBB125_340
	s_branch .LBB125_341
.LBB125_339:
                                        ; implicit-def: $vgpr141
.LBB125_340:
	ds_read_b32 v141, v126
.LBB125_341:
	s_and_saveexec_b64 s[12:13], s[6:7]
	s_cbranch_execz .LBB125_345
; %bb.342:
	v_mov_b32_e32 v142, 0
	v_add_u32_e32 v142, 0x6c, v142
	v_subrev_u32_e32 v143, 27, v0
	s_movk_i32 s14, 0x16c
	s_mov_b64 s[6:7], 0
.LBB125_343:                            ; =>This Inner Loop Header: Depth=1
	buffer_load_dword v144, v142, s[0:3], 0 offen
	v_mov_b32_e32 v145, s14
	ds_read_b32 v145, v145
	v_add_u32_e32 v143, -1, v143
	s_add_i32 s14, s14, 4
	v_cmp_eq_u32_e32 vcc, 0, v143
	v_add_u32_e32 v142, 4, v142
	s_or_b64 s[6:7], vcc, s[6:7]
	s_waitcnt vmcnt(0) lgkmcnt(0)
	v_fmac_f32_e32 v141, v144, v145
	s_andn2_b64 exec, exec, s[6:7]
	s_cbranch_execnz .LBB125_343
; %bb.344:
	s_or_b64 exec, exec, s[6:7]
.LBB125_345:
	s_or_b64 exec, exec, s[12:13]
	v_mov_b32_e32 v142, 0
	ds_read_b32 v142, v142 offset:104
	s_waitcnt lgkmcnt(0)
	v_mul_f32_e32 v141, v141, v142
	buffer_store_dword v141, off, s[0:3], 0 offset:104
.LBB125_346:
	s_or_b64 exec, exec, s[10:11]
	buffer_load_dword v141, off, s[0:3], 0 offset:100
	v_cmp_lt_u32_e64 s[6:7], 25, v0
	s_waitcnt vmcnt(0)
	ds_write_b32 v126, v141
	s_waitcnt lgkmcnt(0)
	; wave barrier
	s_waitcnt lgkmcnt(0)
	s_and_saveexec_b64 s[10:11], s[6:7]
	s_cbranch_execz .LBB125_356
; %bb.347:
	s_andn2_b64 vcc, exec, s[8:9]
	s_cbranch_vccnz .LBB125_349
; %bb.348:
	buffer_load_dword v141, v127, s[0:3], 0 offen
	ds_read_b32 v142, v126
	s_waitcnt vmcnt(0) lgkmcnt(0)
	v_mul_f32_e32 v141, v141, v142
	s_cbranch_execz .LBB125_350
	s_branch .LBB125_351
.LBB125_349:
                                        ; implicit-def: $vgpr141
.LBB125_350:
	ds_read_b32 v141, v126
.LBB125_351:
	s_and_saveexec_b64 s[12:13], s[4:5]
	s_cbranch_execz .LBB125_355
; %bb.352:
	v_subrev_u32_e32 v142, 26, v0
	s_movk_i32 s14, 0x168
	s_mov_b64 s[4:5], 0
.LBB125_353:                            ; =>This Inner Loop Header: Depth=1
	buffer_load_dword v143, v140, s[0:3], 0 offen
	v_mov_b32_e32 v144, s14
	ds_read_b32 v144, v144
	v_add_u32_e32 v142, -1, v142
	s_add_i32 s14, s14, 4
	v_cmp_eq_u32_e32 vcc, 0, v142
	v_add_u32_e32 v140, 4, v140
	s_or_b64 s[4:5], vcc, s[4:5]
	s_waitcnt vmcnt(0) lgkmcnt(0)
	v_fmac_f32_e32 v141, v143, v144
	s_andn2_b64 exec, exec, s[4:5]
	s_cbranch_execnz .LBB125_353
; %bb.354:
	s_or_b64 exec, exec, s[4:5]
.LBB125_355:
	s_or_b64 exec, exec, s[12:13]
	v_mov_b32_e32 v140, 0
	ds_read_b32 v140, v140 offset:100
	s_waitcnt lgkmcnt(0)
	v_mul_f32_e32 v140, v141, v140
	buffer_store_dword v140, off, s[0:3], 0 offset:100
.LBB125_356:
	s_or_b64 exec, exec, s[10:11]
	buffer_load_dword v140, off, s[0:3], 0 offset:96
	v_cmp_lt_u32_e64 s[4:5], 24, v0
	s_waitcnt vmcnt(0)
	ds_write_b32 v126, v140
	s_waitcnt lgkmcnt(0)
	; wave barrier
	s_waitcnt lgkmcnt(0)
	s_and_saveexec_b64 s[10:11], s[4:5]
	s_cbranch_execz .LBB125_366
; %bb.357:
	s_andn2_b64 vcc, exec, s[8:9]
	s_cbranch_vccnz .LBB125_359
; %bb.358:
	buffer_load_dword v140, v127, s[0:3], 0 offen
	ds_read_b32 v141, v126
	s_waitcnt vmcnt(0) lgkmcnt(0)
	v_mul_f32_e32 v140, v140, v141
	s_cbranch_execz .LBB125_360
	s_branch .LBB125_361
.LBB125_359:
                                        ; implicit-def: $vgpr140
.LBB125_360:
	ds_read_b32 v140, v126
.LBB125_361:
	s_and_saveexec_b64 s[12:13], s[6:7]
	s_cbranch_execz .LBB125_365
; %bb.362:
	v_mov_b32_e32 v141, 0
	v_add_u32_e32 v141, 0x64, v141
	v_subrev_u32_e32 v142, 25, v0
	s_movk_i32 s14, 0x164
	s_mov_b64 s[6:7], 0
.LBB125_363:                            ; =>This Inner Loop Header: Depth=1
	buffer_load_dword v143, v141, s[0:3], 0 offen
	v_mov_b32_e32 v144, s14
	ds_read_b32 v144, v144
	v_add_u32_e32 v142, -1, v142
	s_add_i32 s14, s14, 4
	v_cmp_eq_u32_e32 vcc, 0, v142
	v_add_u32_e32 v141, 4, v141
	s_or_b64 s[6:7], vcc, s[6:7]
	s_waitcnt vmcnt(0) lgkmcnt(0)
	v_fmac_f32_e32 v140, v143, v144
	s_andn2_b64 exec, exec, s[6:7]
	s_cbranch_execnz .LBB125_363
; %bb.364:
	s_or_b64 exec, exec, s[6:7]
.LBB125_365:
	s_or_b64 exec, exec, s[12:13]
	v_mov_b32_e32 v141, 0
	ds_read_b32 v141, v141 offset:96
	s_waitcnt lgkmcnt(0)
	v_mul_f32_e32 v140, v140, v141
	buffer_store_dword v140, off, s[0:3], 0 offset:96
.LBB125_366:
	s_or_b64 exec, exec, s[10:11]
	buffer_load_dword v140, off, s[0:3], 0 offset:92
	v_cmp_lt_u32_e64 s[6:7], 23, v0
	s_waitcnt vmcnt(0)
	ds_write_b32 v126, v140
	s_waitcnt lgkmcnt(0)
	; wave barrier
	s_waitcnt lgkmcnt(0)
	s_and_saveexec_b64 s[10:11], s[6:7]
	s_cbranch_execz .LBB125_376
; %bb.367:
	s_andn2_b64 vcc, exec, s[8:9]
	s_cbranch_vccnz .LBB125_369
; %bb.368:
	buffer_load_dword v140, v127, s[0:3], 0 offen
	ds_read_b32 v141, v126
	s_waitcnt vmcnt(0) lgkmcnt(0)
	v_mul_f32_e32 v140, v140, v141
	s_cbranch_execz .LBB125_370
	s_branch .LBB125_371
.LBB125_369:
                                        ; implicit-def: $vgpr140
.LBB125_370:
	ds_read_b32 v140, v126
.LBB125_371:
	s_and_saveexec_b64 s[12:13], s[4:5]
	s_cbranch_execz .LBB125_375
; %bb.372:
	v_subrev_u32_e32 v141, 24, v0
	s_movk_i32 s14, 0x160
	s_mov_b64 s[4:5], 0
.LBB125_373:                            ; =>This Inner Loop Header: Depth=1
	buffer_load_dword v142, v139, s[0:3], 0 offen
	v_mov_b32_e32 v143, s14
	ds_read_b32 v143, v143
	v_add_u32_e32 v141, -1, v141
	s_add_i32 s14, s14, 4
	v_cmp_eq_u32_e32 vcc, 0, v141
	v_add_u32_e32 v139, 4, v139
	s_or_b64 s[4:5], vcc, s[4:5]
	s_waitcnt vmcnt(0) lgkmcnt(0)
	v_fmac_f32_e32 v140, v142, v143
	s_andn2_b64 exec, exec, s[4:5]
	s_cbranch_execnz .LBB125_373
; %bb.374:
	s_or_b64 exec, exec, s[4:5]
.LBB125_375:
	s_or_b64 exec, exec, s[12:13]
	v_mov_b32_e32 v139, 0
	ds_read_b32 v139, v139 offset:92
	s_waitcnt lgkmcnt(0)
	v_mul_f32_e32 v139, v140, v139
	buffer_store_dword v139, off, s[0:3], 0 offset:92
.LBB125_376:
	s_or_b64 exec, exec, s[10:11]
	buffer_load_dword v139, off, s[0:3], 0 offset:88
	v_cmp_lt_u32_e64 s[4:5], 22, v0
	s_waitcnt vmcnt(0)
	ds_write_b32 v126, v139
	s_waitcnt lgkmcnt(0)
	; wave barrier
	s_waitcnt lgkmcnt(0)
	s_and_saveexec_b64 s[10:11], s[4:5]
	s_cbranch_execz .LBB125_386
; %bb.377:
	s_andn2_b64 vcc, exec, s[8:9]
	s_cbranch_vccnz .LBB125_379
; %bb.378:
	buffer_load_dword v139, v127, s[0:3], 0 offen
	ds_read_b32 v140, v126
	s_waitcnt vmcnt(0) lgkmcnt(0)
	v_mul_f32_e32 v139, v139, v140
	s_cbranch_execz .LBB125_380
	s_branch .LBB125_381
.LBB125_379:
                                        ; implicit-def: $vgpr139
.LBB125_380:
	ds_read_b32 v139, v126
.LBB125_381:
	s_and_saveexec_b64 s[12:13], s[6:7]
	s_cbranch_execz .LBB125_385
; %bb.382:
	v_mov_b32_e32 v140, 0
	v_add_u32_e32 v140, 0x5c, v140
	v_subrev_u32_e32 v141, 23, v0
	s_movk_i32 s14, 0x15c
	s_mov_b64 s[6:7], 0
.LBB125_383:                            ; =>This Inner Loop Header: Depth=1
	buffer_load_dword v142, v140, s[0:3], 0 offen
	v_mov_b32_e32 v143, s14
	ds_read_b32 v143, v143
	v_add_u32_e32 v141, -1, v141
	s_add_i32 s14, s14, 4
	v_cmp_eq_u32_e32 vcc, 0, v141
	v_add_u32_e32 v140, 4, v140
	s_or_b64 s[6:7], vcc, s[6:7]
	s_waitcnt vmcnt(0) lgkmcnt(0)
	v_fmac_f32_e32 v139, v142, v143
	s_andn2_b64 exec, exec, s[6:7]
	s_cbranch_execnz .LBB125_383
; %bb.384:
	s_or_b64 exec, exec, s[6:7]
.LBB125_385:
	s_or_b64 exec, exec, s[12:13]
	v_mov_b32_e32 v140, 0
	ds_read_b32 v140, v140 offset:88
	s_waitcnt lgkmcnt(0)
	v_mul_f32_e32 v139, v139, v140
	buffer_store_dword v139, off, s[0:3], 0 offset:88
.LBB125_386:
	s_or_b64 exec, exec, s[10:11]
	buffer_load_dword v139, off, s[0:3], 0 offset:84
	v_cmp_lt_u32_e64 s[6:7], 21, v0
	s_waitcnt vmcnt(0)
	ds_write_b32 v126, v139
	s_waitcnt lgkmcnt(0)
	; wave barrier
	s_waitcnt lgkmcnt(0)
	s_and_saveexec_b64 s[10:11], s[6:7]
	s_cbranch_execz .LBB125_396
; %bb.387:
	s_andn2_b64 vcc, exec, s[8:9]
	s_cbranch_vccnz .LBB125_389
; %bb.388:
	buffer_load_dword v139, v127, s[0:3], 0 offen
	ds_read_b32 v140, v126
	s_waitcnt vmcnt(0) lgkmcnt(0)
	v_mul_f32_e32 v139, v139, v140
	s_cbranch_execz .LBB125_390
	s_branch .LBB125_391
.LBB125_389:
                                        ; implicit-def: $vgpr139
.LBB125_390:
	ds_read_b32 v139, v126
.LBB125_391:
	s_and_saveexec_b64 s[12:13], s[4:5]
	s_cbranch_execz .LBB125_395
; %bb.392:
	v_subrev_u32_e32 v140, 22, v0
	s_movk_i32 s14, 0x158
	s_mov_b64 s[4:5], 0
.LBB125_393:                            ; =>This Inner Loop Header: Depth=1
	buffer_load_dword v141, v138, s[0:3], 0 offen
	v_mov_b32_e32 v142, s14
	ds_read_b32 v142, v142
	v_add_u32_e32 v140, -1, v140
	s_add_i32 s14, s14, 4
	v_cmp_eq_u32_e32 vcc, 0, v140
	v_add_u32_e32 v138, 4, v138
	s_or_b64 s[4:5], vcc, s[4:5]
	s_waitcnt vmcnt(0) lgkmcnt(0)
	v_fmac_f32_e32 v139, v141, v142
	s_andn2_b64 exec, exec, s[4:5]
	s_cbranch_execnz .LBB125_393
; %bb.394:
	s_or_b64 exec, exec, s[4:5]
.LBB125_395:
	s_or_b64 exec, exec, s[12:13]
	v_mov_b32_e32 v138, 0
	ds_read_b32 v138, v138 offset:84
	s_waitcnt lgkmcnt(0)
	v_mul_f32_e32 v138, v139, v138
	buffer_store_dword v138, off, s[0:3], 0 offset:84
.LBB125_396:
	s_or_b64 exec, exec, s[10:11]
	buffer_load_dword v138, off, s[0:3], 0 offset:80
	v_cmp_lt_u32_e64 s[4:5], 20, v0
	s_waitcnt vmcnt(0)
	ds_write_b32 v126, v138
	s_waitcnt lgkmcnt(0)
	; wave barrier
	s_waitcnt lgkmcnt(0)
	s_and_saveexec_b64 s[10:11], s[4:5]
	s_cbranch_execz .LBB125_406
; %bb.397:
	s_andn2_b64 vcc, exec, s[8:9]
	s_cbranch_vccnz .LBB125_399
; %bb.398:
	buffer_load_dword v138, v127, s[0:3], 0 offen
	ds_read_b32 v139, v126
	s_waitcnt vmcnt(0) lgkmcnt(0)
	v_mul_f32_e32 v138, v138, v139
	s_cbranch_execz .LBB125_400
	s_branch .LBB125_401
.LBB125_399:
                                        ; implicit-def: $vgpr138
.LBB125_400:
	ds_read_b32 v138, v126
.LBB125_401:
	s_and_saveexec_b64 s[12:13], s[6:7]
	s_cbranch_execz .LBB125_405
; %bb.402:
	v_mov_b32_e32 v139, 0
	v_add_u32_e32 v139, 0x54, v139
	v_subrev_u32_e32 v140, 21, v0
	s_movk_i32 s14, 0x154
	s_mov_b64 s[6:7], 0
.LBB125_403:                            ; =>This Inner Loop Header: Depth=1
	buffer_load_dword v141, v139, s[0:3], 0 offen
	v_mov_b32_e32 v142, s14
	ds_read_b32 v142, v142
	v_add_u32_e32 v140, -1, v140
	s_add_i32 s14, s14, 4
	v_cmp_eq_u32_e32 vcc, 0, v140
	v_add_u32_e32 v139, 4, v139
	s_or_b64 s[6:7], vcc, s[6:7]
	s_waitcnt vmcnt(0) lgkmcnt(0)
	v_fmac_f32_e32 v138, v141, v142
	s_andn2_b64 exec, exec, s[6:7]
	s_cbranch_execnz .LBB125_403
; %bb.404:
	s_or_b64 exec, exec, s[6:7]
.LBB125_405:
	s_or_b64 exec, exec, s[12:13]
	v_mov_b32_e32 v139, 0
	ds_read_b32 v139, v139 offset:80
	s_waitcnt lgkmcnt(0)
	v_mul_f32_e32 v138, v138, v139
	buffer_store_dword v138, off, s[0:3], 0 offset:80
.LBB125_406:
	s_or_b64 exec, exec, s[10:11]
	buffer_load_dword v138, off, s[0:3], 0 offset:76
	v_cmp_lt_u32_e64 s[6:7], 19, v0
	s_waitcnt vmcnt(0)
	ds_write_b32 v126, v138
	s_waitcnt lgkmcnt(0)
	; wave barrier
	s_waitcnt lgkmcnt(0)
	s_and_saveexec_b64 s[10:11], s[6:7]
	s_cbranch_execz .LBB125_416
; %bb.407:
	s_andn2_b64 vcc, exec, s[8:9]
	s_cbranch_vccnz .LBB125_409
; %bb.408:
	buffer_load_dword v138, v127, s[0:3], 0 offen
	ds_read_b32 v139, v126
	s_waitcnt vmcnt(0) lgkmcnt(0)
	v_mul_f32_e32 v138, v138, v139
	s_cbranch_execz .LBB125_410
	s_branch .LBB125_411
.LBB125_409:
                                        ; implicit-def: $vgpr138
.LBB125_410:
	ds_read_b32 v138, v126
.LBB125_411:
	s_and_saveexec_b64 s[12:13], s[4:5]
	s_cbranch_execz .LBB125_415
; %bb.412:
	v_subrev_u32_e32 v139, 20, v0
	s_movk_i32 s14, 0x150
	s_mov_b64 s[4:5], 0
.LBB125_413:                            ; =>This Inner Loop Header: Depth=1
	buffer_load_dword v140, v137, s[0:3], 0 offen
	v_mov_b32_e32 v141, s14
	ds_read_b32 v141, v141
	v_add_u32_e32 v139, -1, v139
	s_add_i32 s14, s14, 4
	v_cmp_eq_u32_e32 vcc, 0, v139
	v_add_u32_e32 v137, 4, v137
	s_or_b64 s[4:5], vcc, s[4:5]
	s_waitcnt vmcnt(0) lgkmcnt(0)
	v_fmac_f32_e32 v138, v140, v141
	s_andn2_b64 exec, exec, s[4:5]
	s_cbranch_execnz .LBB125_413
; %bb.414:
	s_or_b64 exec, exec, s[4:5]
.LBB125_415:
	s_or_b64 exec, exec, s[12:13]
	v_mov_b32_e32 v137, 0
	ds_read_b32 v137, v137 offset:76
	s_waitcnt lgkmcnt(0)
	v_mul_f32_e32 v137, v138, v137
	buffer_store_dword v137, off, s[0:3], 0 offset:76
.LBB125_416:
	s_or_b64 exec, exec, s[10:11]
	buffer_load_dword v137, off, s[0:3], 0 offset:72
	v_cmp_lt_u32_e64 s[4:5], 18, v0
	s_waitcnt vmcnt(0)
	ds_write_b32 v126, v137
	s_waitcnt lgkmcnt(0)
	; wave barrier
	s_waitcnt lgkmcnt(0)
	s_and_saveexec_b64 s[10:11], s[4:5]
	s_cbranch_execz .LBB125_426
; %bb.417:
	s_andn2_b64 vcc, exec, s[8:9]
	s_cbranch_vccnz .LBB125_419
; %bb.418:
	buffer_load_dword v137, v127, s[0:3], 0 offen
	ds_read_b32 v138, v126
	s_waitcnt vmcnt(0) lgkmcnt(0)
	v_mul_f32_e32 v137, v137, v138
	s_cbranch_execz .LBB125_420
	s_branch .LBB125_421
.LBB125_419:
                                        ; implicit-def: $vgpr137
.LBB125_420:
	ds_read_b32 v137, v126
.LBB125_421:
	s_and_saveexec_b64 s[12:13], s[6:7]
	s_cbranch_execz .LBB125_425
; %bb.422:
	v_mov_b32_e32 v138, 0
	v_add_u32_e32 v138, 0x4c, v138
	v_subrev_u32_e32 v139, 19, v0
	s_movk_i32 s14, 0x14c
	s_mov_b64 s[6:7], 0
.LBB125_423:                            ; =>This Inner Loop Header: Depth=1
	buffer_load_dword v140, v138, s[0:3], 0 offen
	v_mov_b32_e32 v141, s14
	ds_read_b32 v141, v141
	v_add_u32_e32 v139, -1, v139
	s_add_i32 s14, s14, 4
	v_cmp_eq_u32_e32 vcc, 0, v139
	v_add_u32_e32 v138, 4, v138
	s_or_b64 s[6:7], vcc, s[6:7]
	s_waitcnt vmcnt(0) lgkmcnt(0)
	v_fmac_f32_e32 v137, v140, v141
	s_andn2_b64 exec, exec, s[6:7]
	s_cbranch_execnz .LBB125_423
; %bb.424:
	s_or_b64 exec, exec, s[6:7]
.LBB125_425:
	s_or_b64 exec, exec, s[12:13]
	v_mov_b32_e32 v138, 0
	ds_read_b32 v138, v138 offset:72
	s_waitcnt lgkmcnt(0)
	v_mul_f32_e32 v137, v137, v138
	buffer_store_dword v137, off, s[0:3], 0 offset:72
.LBB125_426:
	s_or_b64 exec, exec, s[10:11]
	buffer_load_dword v137, off, s[0:3], 0 offset:68
	v_cmp_lt_u32_e64 s[6:7], 17, v0
	s_waitcnt vmcnt(0)
	ds_write_b32 v126, v137
	s_waitcnt lgkmcnt(0)
	; wave barrier
	s_waitcnt lgkmcnt(0)
	s_and_saveexec_b64 s[10:11], s[6:7]
	s_cbranch_execz .LBB125_436
; %bb.427:
	s_andn2_b64 vcc, exec, s[8:9]
	s_cbranch_vccnz .LBB125_429
; %bb.428:
	buffer_load_dword v137, v127, s[0:3], 0 offen
	ds_read_b32 v138, v126
	s_waitcnt vmcnt(0) lgkmcnt(0)
	v_mul_f32_e32 v137, v137, v138
	s_cbranch_execz .LBB125_430
	s_branch .LBB125_431
.LBB125_429:
                                        ; implicit-def: $vgpr137
.LBB125_430:
	ds_read_b32 v137, v126
.LBB125_431:
	s_and_saveexec_b64 s[12:13], s[4:5]
	s_cbranch_execz .LBB125_435
; %bb.432:
	v_subrev_u32_e32 v138, 18, v0
	s_movk_i32 s14, 0x148
	s_mov_b64 s[4:5], 0
.LBB125_433:                            ; =>This Inner Loop Header: Depth=1
	buffer_load_dword v139, v136, s[0:3], 0 offen
	v_mov_b32_e32 v140, s14
	ds_read_b32 v140, v140
	v_add_u32_e32 v138, -1, v138
	s_add_i32 s14, s14, 4
	v_cmp_eq_u32_e32 vcc, 0, v138
	v_add_u32_e32 v136, 4, v136
	s_or_b64 s[4:5], vcc, s[4:5]
	s_waitcnt vmcnt(0) lgkmcnt(0)
	v_fmac_f32_e32 v137, v139, v140
	s_andn2_b64 exec, exec, s[4:5]
	s_cbranch_execnz .LBB125_433
; %bb.434:
	s_or_b64 exec, exec, s[4:5]
.LBB125_435:
	s_or_b64 exec, exec, s[12:13]
	v_mov_b32_e32 v136, 0
	ds_read_b32 v136, v136 offset:68
	s_waitcnt lgkmcnt(0)
	v_mul_f32_e32 v136, v137, v136
	buffer_store_dword v136, off, s[0:3], 0 offset:68
.LBB125_436:
	s_or_b64 exec, exec, s[10:11]
	buffer_load_dword v136, off, s[0:3], 0 offset:64
	v_cmp_lt_u32_e64 s[4:5], 16, v0
	s_waitcnt vmcnt(0)
	ds_write_b32 v126, v136
	s_waitcnt lgkmcnt(0)
	; wave barrier
	s_waitcnt lgkmcnt(0)
	s_and_saveexec_b64 s[10:11], s[4:5]
	s_cbranch_execz .LBB125_446
; %bb.437:
	s_andn2_b64 vcc, exec, s[8:9]
	s_cbranch_vccnz .LBB125_439
; %bb.438:
	buffer_load_dword v136, v127, s[0:3], 0 offen
	ds_read_b32 v137, v126
	s_waitcnt vmcnt(0) lgkmcnt(0)
	v_mul_f32_e32 v136, v136, v137
	s_cbranch_execz .LBB125_440
	s_branch .LBB125_441
.LBB125_439:
                                        ; implicit-def: $vgpr136
.LBB125_440:
	ds_read_b32 v136, v126
.LBB125_441:
	s_and_saveexec_b64 s[12:13], s[6:7]
	s_cbranch_execz .LBB125_445
; %bb.442:
	v_mov_b32_e32 v137, 0
	v_add_u32_e32 v137, 0x44, v137
	v_subrev_u32_e32 v138, 17, v0
	s_movk_i32 s14, 0x144
	s_mov_b64 s[6:7], 0
.LBB125_443:                            ; =>This Inner Loop Header: Depth=1
	buffer_load_dword v139, v137, s[0:3], 0 offen
	v_mov_b32_e32 v140, s14
	ds_read_b32 v140, v140
	v_add_u32_e32 v138, -1, v138
	s_add_i32 s14, s14, 4
	v_cmp_eq_u32_e32 vcc, 0, v138
	v_add_u32_e32 v137, 4, v137
	s_or_b64 s[6:7], vcc, s[6:7]
	s_waitcnt vmcnt(0) lgkmcnt(0)
	v_fmac_f32_e32 v136, v139, v140
	s_andn2_b64 exec, exec, s[6:7]
	s_cbranch_execnz .LBB125_443
; %bb.444:
	s_or_b64 exec, exec, s[6:7]
.LBB125_445:
	s_or_b64 exec, exec, s[12:13]
	v_mov_b32_e32 v137, 0
	ds_read_b32 v137, v137 offset:64
	s_waitcnt lgkmcnt(0)
	v_mul_f32_e32 v136, v136, v137
	buffer_store_dword v136, off, s[0:3], 0 offset:64
.LBB125_446:
	s_or_b64 exec, exec, s[10:11]
	buffer_load_dword v136, off, s[0:3], 0 offset:60
	v_cmp_lt_u32_e64 s[6:7], 15, v0
	s_waitcnt vmcnt(0)
	ds_write_b32 v126, v136
	s_waitcnt lgkmcnt(0)
	; wave barrier
	s_waitcnt lgkmcnt(0)
	s_and_saveexec_b64 s[10:11], s[6:7]
	s_cbranch_execz .LBB125_456
; %bb.447:
	s_andn2_b64 vcc, exec, s[8:9]
	s_cbranch_vccnz .LBB125_449
; %bb.448:
	buffer_load_dword v136, v127, s[0:3], 0 offen
	ds_read_b32 v137, v126
	s_waitcnt vmcnt(0) lgkmcnt(0)
	v_mul_f32_e32 v136, v136, v137
	s_cbranch_execz .LBB125_450
	s_branch .LBB125_451
.LBB125_449:
                                        ; implicit-def: $vgpr136
.LBB125_450:
	ds_read_b32 v136, v126
.LBB125_451:
	s_and_saveexec_b64 s[12:13], s[4:5]
	s_cbranch_execz .LBB125_455
; %bb.452:
	v_add_u32_e32 v137, -16, v0
	s_movk_i32 s14, 0x140
	s_mov_b64 s[4:5], 0
.LBB125_453:                            ; =>This Inner Loop Header: Depth=1
	buffer_load_dword v138, v135, s[0:3], 0 offen
	v_mov_b32_e32 v139, s14
	ds_read_b32 v139, v139
	v_add_u32_e32 v137, -1, v137
	s_add_i32 s14, s14, 4
	v_cmp_eq_u32_e32 vcc, 0, v137
	v_add_u32_e32 v135, 4, v135
	s_or_b64 s[4:5], vcc, s[4:5]
	s_waitcnt vmcnt(0) lgkmcnt(0)
	v_fmac_f32_e32 v136, v138, v139
	s_andn2_b64 exec, exec, s[4:5]
	s_cbranch_execnz .LBB125_453
; %bb.454:
	s_or_b64 exec, exec, s[4:5]
.LBB125_455:
	s_or_b64 exec, exec, s[12:13]
	v_mov_b32_e32 v135, 0
	ds_read_b32 v135, v135 offset:60
	s_waitcnt lgkmcnt(0)
	v_mul_f32_e32 v135, v136, v135
	buffer_store_dword v135, off, s[0:3], 0 offset:60
.LBB125_456:
	s_or_b64 exec, exec, s[10:11]
	buffer_load_dword v135, off, s[0:3], 0 offset:56
	v_cmp_lt_u32_e64 s[4:5], 14, v0
	s_waitcnt vmcnt(0)
	ds_write_b32 v126, v135
	s_waitcnt lgkmcnt(0)
	; wave barrier
	s_waitcnt lgkmcnt(0)
	s_and_saveexec_b64 s[10:11], s[4:5]
	s_cbranch_execz .LBB125_466
; %bb.457:
	s_andn2_b64 vcc, exec, s[8:9]
	s_cbranch_vccnz .LBB125_459
; %bb.458:
	buffer_load_dword v135, v127, s[0:3], 0 offen
	ds_read_b32 v136, v126
	s_waitcnt vmcnt(0) lgkmcnt(0)
	v_mul_f32_e32 v135, v135, v136
	s_cbranch_execz .LBB125_460
	s_branch .LBB125_461
.LBB125_459:
                                        ; implicit-def: $vgpr135
.LBB125_460:
	ds_read_b32 v135, v126
.LBB125_461:
	s_and_saveexec_b64 s[12:13], s[6:7]
	s_cbranch_execz .LBB125_465
; %bb.462:
	v_mov_b32_e32 v136, 0
	v_add_u32_e32 v136, 60, v136
	v_add_u32_e32 v137, -15, v0
	s_movk_i32 s14, 0x13c
	s_mov_b64 s[6:7], 0
.LBB125_463:                            ; =>This Inner Loop Header: Depth=1
	buffer_load_dword v138, v136, s[0:3], 0 offen
	v_mov_b32_e32 v139, s14
	ds_read_b32 v139, v139
	v_add_u32_e32 v137, -1, v137
	s_add_i32 s14, s14, 4
	v_cmp_eq_u32_e32 vcc, 0, v137
	v_add_u32_e32 v136, 4, v136
	s_or_b64 s[6:7], vcc, s[6:7]
	s_waitcnt vmcnt(0) lgkmcnt(0)
	v_fmac_f32_e32 v135, v138, v139
	s_andn2_b64 exec, exec, s[6:7]
	s_cbranch_execnz .LBB125_463
; %bb.464:
	s_or_b64 exec, exec, s[6:7]
.LBB125_465:
	s_or_b64 exec, exec, s[12:13]
	v_mov_b32_e32 v136, 0
	ds_read_b32 v136, v136 offset:56
	s_waitcnt lgkmcnt(0)
	v_mul_f32_e32 v135, v135, v136
	buffer_store_dword v135, off, s[0:3], 0 offset:56
.LBB125_466:
	s_or_b64 exec, exec, s[10:11]
	buffer_load_dword v135, off, s[0:3], 0 offset:52
	v_cmp_lt_u32_e64 s[6:7], 13, v0
	s_waitcnt vmcnt(0)
	ds_write_b32 v126, v135
	s_waitcnt lgkmcnt(0)
	; wave barrier
	s_waitcnt lgkmcnt(0)
	s_and_saveexec_b64 s[10:11], s[6:7]
	s_cbranch_execz .LBB125_476
; %bb.467:
	s_andn2_b64 vcc, exec, s[8:9]
	s_cbranch_vccnz .LBB125_469
; %bb.468:
	buffer_load_dword v135, v127, s[0:3], 0 offen
	ds_read_b32 v136, v126
	s_waitcnt vmcnt(0) lgkmcnt(0)
	v_mul_f32_e32 v135, v135, v136
	s_cbranch_execz .LBB125_470
	s_branch .LBB125_471
.LBB125_469:
                                        ; implicit-def: $vgpr135
.LBB125_470:
	ds_read_b32 v135, v126
.LBB125_471:
	s_and_saveexec_b64 s[12:13], s[4:5]
	s_cbranch_execz .LBB125_475
; %bb.472:
	v_add_u32_e32 v136, -14, v0
	s_movk_i32 s14, 0x138
	s_mov_b64 s[4:5], 0
.LBB125_473:                            ; =>This Inner Loop Header: Depth=1
	buffer_load_dword v137, v134, s[0:3], 0 offen
	v_mov_b32_e32 v138, s14
	ds_read_b32 v138, v138
	v_add_u32_e32 v136, -1, v136
	s_add_i32 s14, s14, 4
	v_cmp_eq_u32_e32 vcc, 0, v136
	v_add_u32_e32 v134, 4, v134
	s_or_b64 s[4:5], vcc, s[4:5]
	s_waitcnt vmcnt(0) lgkmcnt(0)
	v_fmac_f32_e32 v135, v137, v138
	s_andn2_b64 exec, exec, s[4:5]
	s_cbranch_execnz .LBB125_473
; %bb.474:
	s_or_b64 exec, exec, s[4:5]
.LBB125_475:
	s_or_b64 exec, exec, s[12:13]
	v_mov_b32_e32 v134, 0
	ds_read_b32 v134, v134 offset:52
	s_waitcnt lgkmcnt(0)
	v_mul_f32_e32 v134, v135, v134
	buffer_store_dword v134, off, s[0:3], 0 offset:52
.LBB125_476:
	s_or_b64 exec, exec, s[10:11]
	buffer_load_dword v134, off, s[0:3], 0 offset:48
	v_cmp_lt_u32_e64 s[4:5], 12, v0
	s_waitcnt vmcnt(0)
	ds_write_b32 v126, v134
	s_waitcnt lgkmcnt(0)
	; wave barrier
	s_waitcnt lgkmcnt(0)
	s_and_saveexec_b64 s[10:11], s[4:5]
	s_cbranch_execz .LBB125_486
; %bb.477:
	s_andn2_b64 vcc, exec, s[8:9]
	s_cbranch_vccnz .LBB125_479
; %bb.478:
	buffer_load_dword v134, v127, s[0:3], 0 offen
	ds_read_b32 v135, v126
	s_waitcnt vmcnt(0) lgkmcnt(0)
	v_mul_f32_e32 v134, v134, v135
	s_cbranch_execz .LBB125_480
	s_branch .LBB125_481
.LBB125_479:
                                        ; implicit-def: $vgpr134
.LBB125_480:
	ds_read_b32 v134, v126
.LBB125_481:
	s_and_saveexec_b64 s[12:13], s[6:7]
	s_cbranch_execz .LBB125_485
; %bb.482:
	v_mov_b32_e32 v135, 0
	v_add_u32_e32 v135, 52, v135
	v_add_u32_e32 v136, -13, v0
	s_movk_i32 s14, 0x134
	s_mov_b64 s[6:7], 0
.LBB125_483:                            ; =>This Inner Loop Header: Depth=1
	buffer_load_dword v137, v135, s[0:3], 0 offen
	v_mov_b32_e32 v138, s14
	ds_read_b32 v138, v138
	v_add_u32_e32 v136, -1, v136
	s_add_i32 s14, s14, 4
	v_cmp_eq_u32_e32 vcc, 0, v136
	v_add_u32_e32 v135, 4, v135
	s_or_b64 s[6:7], vcc, s[6:7]
	s_waitcnt vmcnt(0) lgkmcnt(0)
	v_fmac_f32_e32 v134, v137, v138
	s_andn2_b64 exec, exec, s[6:7]
	s_cbranch_execnz .LBB125_483
; %bb.484:
	s_or_b64 exec, exec, s[6:7]
.LBB125_485:
	s_or_b64 exec, exec, s[12:13]
	v_mov_b32_e32 v135, 0
	ds_read_b32 v135, v135 offset:48
	s_waitcnt lgkmcnt(0)
	v_mul_f32_e32 v134, v134, v135
	buffer_store_dword v134, off, s[0:3], 0 offset:48
.LBB125_486:
	s_or_b64 exec, exec, s[10:11]
	buffer_load_dword v134, off, s[0:3], 0 offset:44
	v_cmp_lt_u32_e64 s[6:7], 11, v0
	s_waitcnt vmcnt(0)
	ds_write_b32 v126, v134
	s_waitcnt lgkmcnt(0)
	; wave barrier
	s_waitcnt lgkmcnt(0)
	s_and_saveexec_b64 s[10:11], s[6:7]
	s_cbranch_execz .LBB125_496
; %bb.487:
	s_andn2_b64 vcc, exec, s[8:9]
	s_cbranch_vccnz .LBB125_489
; %bb.488:
	buffer_load_dword v134, v127, s[0:3], 0 offen
	ds_read_b32 v135, v126
	s_waitcnt vmcnt(0) lgkmcnt(0)
	v_mul_f32_e32 v134, v134, v135
	s_cbranch_execz .LBB125_490
	s_branch .LBB125_491
.LBB125_489:
                                        ; implicit-def: $vgpr134
.LBB125_490:
	ds_read_b32 v134, v126
.LBB125_491:
	s_and_saveexec_b64 s[12:13], s[4:5]
	s_cbranch_execz .LBB125_495
; %bb.492:
	v_add_u32_e32 v135, -12, v0
	s_movk_i32 s14, 0x130
	s_mov_b64 s[4:5], 0
.LBB125_493:                            ; =>This Inner Loop Header: Depth=1
	buffer_load_dword v136, v133, s[0:3], 0 offen
	v_mov_b32_e32 v137, s14
	ds_read_b32 v137, v137
	v_add_u32_e32 v135, -1, v135
	s_add_i32 s14, s14, 4
	v_cmp_eq_u32_e32 vcc, 0, v135
	v_add_u32_e32 v133, 4, v133
	s_or_b64 s[4:5], vcc, s[4:5]
	s_waitcnt vmcnt(0) lgkmcnt(0)
	v_fmac_f32_e32 v134, v136, v137
	s_andn2_b64 exec, exec, s[4:5]
	s_cbranch_execnz .LBB125_493
; %bb.494:
	s_or_b64 exec, exec, s[4:5]
.LBB125_495:
	s_or_b64 exec, exec, s[12:13]
	v_mov_b32_e32 v133, 0
	ds_read_b32 v133, v133 offset:44
	s_waitcnt lgkmcnt(0)
	v_mul_f32_e32 v133, v134, v133
	buffer_store_dword v133, off, s[0:3], 0 offset:44
.LBB125_496:
	s_or_b64 exec, exec, s[10:11]
	buffer_load_dword v133, off, s[0:3], 0 offset:40
	v_cmp_lt_u32_e64 s[4:5], 10, v0
	s_waitcnt vmcnt(0)
	ds_write_b32 v126, v133
	s_waitcnt lgkmcnt(0)
	; wave barrier
	s_waitcnt lgkmcnt(0)
	s_and_saveexec_b64 s[10:11], s[4:5]
	s_cbranch_execz .LBB125_506
; %bb.497:
	s_andn2_b64 vcc, exec, s[8:9]
	s_cbranch_vccnz .LBB125_499
; %bb.498:
	buffer_load_dword v133, v127, s[0:3], 0 offen
	ds_read_b32 v134, v126
	s_waitcnt vmcnt(0) lgkmcnt(0)
	v_mul_f32_e32 v133, v133, v134
	s_cbranch_execz .LBB125_500
	s_branch .LBB125_501
.LBB125_499:
                                        ; implicit-def: $vgpr133
.LBB125_500:
	ds_read_b32 v133, v126
.LBB125_501:
	s_and_saveexec_b64 s[12:13], s[6:7]
	s_cbranch_execz .LBB125_505
; %bb.502:
	v_mov_b32_e32 v134, 0
	v_add_u32_e32 v134, 44, v134
	v_add_u32_e32 v135, -11, v0
	s_movk_i32 s14, 0x12c
	s_mov_b64 s[6:7], 0
.LBB125_503:                            ; =>This Inner Loop Header: Depth=1
	buffer_load_dword v136, v134, s[0:3], 0 offen
	v_mov_b32_e32 v137, s14
	ds_read_b32 v137, v137
	v_add_u32_e32 v135, -1, v135
	s_add_i32 s14, s14, 4
	v_cmp_eq_u32_e32 vcc, 0, v135
	v_add_u32_e32 v134, 4, v134
	s_or_b64 s[6:7], vcc, s[6:7]
	s_waitcnt vmcnt(0) lgkmcnt(0)
	v_fmac_f32_e32 v133, v136, v137
	s_andn2_b64 exec, exec, s[6:7]
	s_cbranch_execnz .LBB125_503
; %bb.504:
	s_or_b64 exec, exec, s[6:7]
.LBB125_505:
	s_or_b64 exec, exec, s[12:13]
	v_mov_b32_e32 v134, 0
	ds_read_b32 v134, v134 offset:40
	s_waitcnt lgkmcnt(0)
	v_mul_f32_e32 v133, v133, v134
	buffer_store_dword v133, off, s[0:3], 0 offset:40
.LBB125_506:
	s_or_b64 exec, exec, s[10:11]
	buffer_load_dword v133, off, s[0:3], 0 offset:36
	v_cmp_lt_u32_e64 s[6:7], 9, v0
	s_waitcnt vmcnt(0)
	ds_write_b32 v126, v133
	s_waitcnt lgkmcnt(0)
	; wave barrier
	s_waitcnt lgkmcnt(0)
	s_and_saveexec_b64 s[10:11], s[6:7]
	s_cbranch_execz .LBB125_516
; %bb.507:
	s_andn2_b64 vcc, exec, s[8:9]
	s_cbranch_vccnz .LBB125_509
; %bb.508:
	buffer_load_dword v133, v127, s[0:3], 0 offen
	ds_read_b32 v134, v126
	s_waitcnt vmcnt(0) lgkmcnt(0)
	v_mul_f32_e32 v133, v133, v134
	s_cbranch_execz .LBB125_510
	s_branch .LBB125_511
.LBB125_509:
                                        ; implicit-def: $vgpr133
.LBB125_510:
	ds_read_b32 v133, v126
.LBB125_511:
	s_and_saveexec_b64 s[12:13], s[4:5]
	s_cbranch_execz .LBB125_515
; %bb.512:
	v_add_u32_e32 v134, -10, v0
	s_movk_i32 s14, 0x128
	s_mov_b64 s[4:5], 0
.LBB125_513:                            ; =>This Inner Loop Header: Depth=1
	buffer_load_dword v135, v132, s[0:3], 0 offen
	v_mov_b32_e32 v136, s14
	ds_read_b32 v136, v136
	v_add_u32_e32 v134, -1, v134
	s_add_i32 s14, s14, 4
	v_cmp_eq_u32_e32 vcc, 0, v134
	v_add_u32_e32 v132, 4, v132
	s_or_b64 s[4:5], vcc, s[4:5]
	s_waitcnt vmcnt(0) lgkmcnt(0)
	v_fmac_f32_e32 v133, v135, v136
	s_andn2_b64 exec, exec, s[4:5]
	s_cbranch_execnz .LBB125_513
; %bb.514:
	s_or_b64 exec, exec, s[4:5]
.LBB125_515:
	s_or_b64 exec, exec, s[12:13]
	v_mov_b32_e32 v132, 0
	ds_read_b32 v132, v132 offset:36
	s_waitcnt lgkmcnt(0)
	v_mul_f32_e32 v132, v133, v132
	buffer_store_dword v132, off, s[0:3], 0 offset:36
.LBB125_516:
	s_or_b64 exec, exec, s[10:11]
	buffer_load_dword v132, off, s[0:3], 0 offset:32
	v_cmp_lt_u32_e64 s[4:5], 8, v0
	s_waitcnt vmcnt(0)
	ds_write_b32 v126, v132
	s_waitcnt lgkmcnt(0)
	; wave barrier
	s_waitcnt lgkmcnt(0)
	s_and_saveexec_b64 s[10:11], s[4:5]
	s_cbranch_execz .LBB125_526
; %bb.517:
	s_andn2_b64 vcc, exec, s[8:9]
	s_cbranch_vccnz .LBB125_519
; %bb.518:
	buffer_load_dword v132, v127, s[0:3], 0 offen
	ds_read_b32 v133, v126
	s_waitcnt vmcnt(0) lgkmcnt(0)
	v_mul_f32_e32 v132, v132, v133
	s_cbranch_execz .LBB125_520
	s_branch .LBB125_521
.LBB125_519:
                                        ; implicit-def: $vgpr132
.LBB125_520:
	ds_read_b32 v132, v126
.LBB125_521:
	s_and_saveexec_b64 s[12:13], s[6:7]
	s_cbranch_execz .LBB125_525
; %bb.522:
	v_mov_b32_e32 v133, 0
	v_add_u32_e32 v133, 36, v133
	v_add_u32_e32 v134, -9, v0
	s_movk_i32 s14, 0x124
	s_mov_b64 s[6:7], 0
.LBB125_523:                            ; =>This Inner Loop Header: Depth=1
	buffer_load_dword v135, v133, s[0:3], 0 offen
	v_mov_b32_e32 v136, s14
	ds_read_b32 v136, v136
	v_add_u32_e32 v134, -1, v134
	s_add_i32 s14, s14, 4
	v_cmp_eq_u32_e32 vcc, 0, v134
	v_add_u32_e32 v133, 4, v133
	s_or_b64 s[6:7], vcc, s[6:7]
	s_waitcnt vmcnt(0) lgkmcnt(0)
	v_fmac_f32_e32 v132, v135, v136
	s_andn2_b64 exec, exec, s[6:7]
	s_cbranch_execnz .LBB125_523
; %bb.524:
	s_or_b64 exec, exec, s[6:7]
.LBB125_525:
	s_or_b64 exec, exec, s[12:13]
	v_mov_b32_e32 v133, 0
	ds_read_b32 v133, v133 offset:32
	s_waitcnt lgkmcnt(0)
	v_mul_f32_e32 v132, v132, v133
	buffer_store_dword v132, off, s[0:3], 0 offset:32
.LBB125_526:
	s_or_b64 exec, exec, s[10:11]
	buffer_load_dword v132, off, s[0:3], 0 offset:28
	v_cmp_lt_u32_e64 s[6:7], 7, v0
	s_waitcnt vmcnt(0)
	ds_write_b32 v126, v132
	s_waitcnt lgkmcnt(0)
	; wave barrier
	s_waitcnt lgkmcnt(0)
	s_and_saveexec_b64 s[10:11], s[6:7]
	s_cbranch_execz .LBB125_536
; %bb.527:
	s_andn2_b64 vcc, exec, s[8:9]
	s_cbranch_vccnz .LBB125_529
; %bb.528:
	buffer_load_dword v132, v127, s[0:3], 0 offen
	ds_read_b32 v133, v126
	s_waitcnt vmcnt(0) lgkmcnt(0)
	v_mul_f32_e32 v132, v132, v133
	s_cbranch_execz .LBB125_530
	s_branch .LBB125_531
.LBB125_529:
                                        ; implicit-def: $vgpr132
.LBB125_530:
	ds_read_b32 v132, v126
.LBB125_531:
	s_and_saveexec_b64 s[12:13], s[4:5]
	s_cbranch_execz .LBB125_535
; %bb.532:
	v_add_u32_e32 v133, -8, v0
	s_movk_i32 s14, 0x120
	s_mov_b64 s[4:5], 0
.LBB125_533:                            ; =>This Inner Loop Header: Depth=1
	buffer_load_dword v134, v131, s[0:3], 0 offen
	v_mov_b32_e32 v135, s14
	ds_read_b32 v135, v135
	v_add_u32_e32 v133, -1, v133
	s_add_i32 s14, s14, 4
	v_cmp_eq_u32_e32 vcc, 0, v133
	v_add_u32_e32 v131, 4, v131
	s_or_b64 s[4:5], vcc, s[4:5]
	s_waitcnt vmcnt(0) lgkmcnt(0)
	v_fmac_f32_e32 v132, v134, v135
	s_andn2_b64 exec, exec, s[4:5]
	s_cbranch_execnz .LBB125_533
; %bb.534:
	s_or_b64 exec, exec, s[4:5]
.LBB125_535:
	s_or_b64 exec, exec, s[12:13]
	v_mov_b32_e32 v131, 0
	ds_read_b32 v131, v131 offset:28
	s_waitcnt lgkmcnt(0)
	v_mul_f32_e32 v131, v132, v131
	buffer_store_dword v131, off, s[0:3], 0 offset:28
.LBB125_536:
	s_or_b64 exec, exec, s[10:11]
	buffer_load_dword v131, off, s[0:3], 0 offset:24
	v_cmp_lt_u32_e64 s[4:5], 6, v0
	s_waitcnt vmcnt(0)
	ds_write_b32 v126, v131
	s_waitcnt lgkmcnt(0)
	; wave barrier
	s_waitcnt lgkmcnt(0)
	s_and_saveexec_b64 s[10:11], s[4:5]
	s_cbranch_execz .LBB125_546
; %bb.537:
	s_andn2_b64 vcc, exec, s[8:9]
	s_cbranch_vccnz .LBB125_539
; %bb.538:
	buffer_load_dword v131, v127, s[0:3], 0 offen
	ds_read_b32 v132, v126
	s_waitcnt vmcnt(0) lgkmcnt(0)
	v_mul_f32_e32 v131, v131, v132
	s_cbranch_execz .LBB125_540
	s_branch .LBB125_541
.LBB125_539:
                                        ; implicit-def: $vgpr131
.LBB125_540:
	ds_read_b32 v131, v126
.LBB125_541:
	s_and_saveexec_b64 s[12:13], s[6:7]
	s_cbranch_execz .LBB125_545
; %bb.542:
	v_mov_b32_e32 v132, 0
	v_add_u32_e32 v132, 28, v132
	v_add_u32_e32 v133, -7, v0
	s_movk_i32 s14, 0x11c
	s_mov_b64 s[6:7], 0
.LBB125_543:                            ; =>This Inner Loop Header: Depth=1
	buffer_load_dword v134, v132, s[0:3], 0 offen
	v_mov_b32_e32 v135, s14
	ds_read_b32 v135, v135
	v_add_u32_e32 v133, -1, v133
	s_add_i32 s14, s14, 4
	v_cmp_eq_u32_e32 vcc, 0, v133
	v_add_u32_e32 v132, 4, v132
	s_or_b64 s[6:7], vcc, s[6:7]
	s_waitcnt vmcnt(0) lgkmcnt(0)
	v_fmac_f32_e32 v131, v134, v135
	s_andn2_b64 exec, exec, s[6:7]
	s_cbranch_execnz .LBB125_543
; %bb.544:
	s_or_b64 exec, exec, s[6:7]
.LBB125_545:
	s_or_b64 exec, exec, s[12:13]
	v_mov_b32_e32 v132, 0
	ds_read_b32 v132, v132 offset:24
	s_waitcnt lgkmcnt(0)
	v_mul_f32_e32 v131, v131, v132
	buffer_store_dword v131, off, s[0:3], 0 offset:24
.LBB125_546:
	s_or_b64 exec, exec, s[10:11]
	buffer_load_dword v131, off, s[0:3], 0 offset:20
	v_cmp_lt_u32_e64 s[6:7], 5, v0
	s_waitcnt vmcnt(0)
	ds_write_b32 v126, v131
	s_waitcnt lgkmcnt(0)
	; wave barrier
	s_waitcnt lgkmcnt(0)
	s_and_saveexec_b64 s[10:11], s[6:7]
	s_cbranch_execz .LBB125_556
; %bb.547:
	s_andn2_b64 vcc, exec, s[8:9]
	s_cbranch_vccnz .LBB125_549
; %bb.548:
	buffer_load_dword v131, v127, s[0:3], 0 offen
	ds_read_b32 v132, v126
	s_waitcnt vmcnt(0) lgkmcnt(0)
	v_mul_f32_e32 v131, v131, v132
	s_cbranch_execz .LBB125_550
	s_branch .LBB125_551
.LBB125_549:
                                        ; implicit-def: $vgpr131
.LBB125_550:
	ds_read_b32 v131, v126
.LBB125_551:
	s_and_saveexec_b64 s[12:13], s[4:5]
	s_cbranch_execz .LBB125_555
; %bb.552:
	v_add_u32_e32 v132, -6, v0
	s_movk_i32 s14, 0x118
	s_mov_b64 s[4:5], 0
.LBB125_553:                            ; =>This Inner Loop Header: Depth=1
	buffer_load_dword v133, v130, s[0:3], 0 offen
	v_mov_b32_e32 v134, s14
	ds_read_b32 v134, v134
	v_add_u32_e32 v132, -1, v132
	s_add_i32 s14, s14, 4
	v_cmp_eq_u32_e32 vcc, 0, v132
	v_add_u32_e32 v130, 4, v130
	s_or_b64 s[4:5], vcc, s[4:5]
	s_waitcnt vmcnt(0) lgkmcnt(0)
	v_fmac_f32_e32 v131, v133, v134
	s_andn2_b64 exec, exec, s[4:5]
	s_cbranch_execnz .LBB125_553
; %bb.554:
	s_or_b64 exec, exec, s[4:5]
.LBB125_555:
	s_or_b64 exec, exec, s[12:13]
	v_mov_b32_e32 v130, 0
	ds_read_b32 v130, v130 offset:20
	s_waitcnt lgkmcnt(0)
	v_mul_f32_e32 v130, v131, v130
	buffer_store_dword v130, off, s[0:3], 0 offset:20
.LBB125_556:
	s_or_b64 exec, exec, s[10:11]
	buffer_load_dword v130, off, s[0:3], 0 offset:16
	v_cmp_lt_u32_e64 s[4:5], 4, v0
	s_waitcnt vmcnt(0)
	ds_write_b32 v126, v130
	s_waitcnt lgkmcnt(0)
	; wave barrier
	s_waitcnt lgkmcnt(0)
	s_and_saveexec_b64 s[10:11], s[4:5]
	s_cbranch_execz .LBB125_566
; %bb.557:
	s_andn2_b64 vcc, exec, s[8:9]
	s_cbranch_vccnz .LBB125_559
; %bb.558:
	buffer_load_dword v130, v127, s[0:3], 0 offen
	ds_read_b32 v131, v126
	s_waitcnt vmcnt(0) lgkmcnt(0)
	v_mul_f32_e32 v130, v130, v131
	s_cbranch_execz .LBB125_560
	s_branch .LBB125_561
.LBB125_559:
                                        ; implicit-def: $vgpr130
.LBB125_560:
	ds_read_b32 v130, v126
.LBB125_561:
	s_and_saveexec_b64 s[12:13], s[6:7]
	s_cbranch_execz .LBB125_565
; %bb.562:
	v_mov_b32_e32 v131, 0
	v_add_u32_e32 v131, 20, v131
	v_add_u32_e32 v132, -5, v0
	s_movk_i32 s14, 0x114
	s_mov_b64 s[6:7], 0
.LBB125_563:                            ; =>This Inner Loop Header: Depth=1
	buffer_load_dword v133, v131, s[0:3], 0 offen
	v_mov_b32_e32 v134, s14
	ds_read_b32 v134, v134
	v_add_u32_e32 v132, -1, v132
	s_add_i32 s14, s14, 4
	v_cmp_eq_u32_e32 vcc, 0, v132
	v_add_u32_e32 v131, 4, v131
	s_or_b64 s[6:7], vcc, s[6:7]
	s_waitcnt vmcnt(0) lgkmcnt(0)
	v_fmac_f32_e32 v130, v133, v134
	s_andn2_b64 exec, exec, s[6:7]
	s_cbranch_execnz .LBB125_563
; %bb.564:
	s_or_b64 exec, exec, s[6:7]
.LBB125_565:
	s_or_b64 exec, exec, s[12:13]
	v_mov_b32_e32 v131, 0
	ds_read_b32 v131, v131 offset:16
	s_waitcnt lgkmcnt(0)
	v_mul_f32_e32 v130, v130, v131
	buffer_store_dword v130, off, s[0:3], 0 offset:16
.LBB125_566:
	s_or_b64 exec, exec, s[10:11]
	buffer_load_dword v130, off, s[0:3], 0 offset:12
	v_cmp_lt_u32_e64 s[6:7], 3, v0
	s_waitcnt vmcnt(0)
	ds_write_b32 v126, v130
	s_waitcnt lgkmcnt(0)
	; wave barrier
	s_waitcnt lgkmcnt(0)
	s_and_saveexec_b64 s[10:11], s[6:7]
	s_cbranch_execz .LBB125_576
; %bb.567:
	s_andn2_b64 vcc, exec, s[8:9]
	s_cbranch_vccnz .LBB125_569
; %bb.568:
	buffer_load_dword v130, v127, s[0:3], 0 offen
	ds_read_b32 v131, v126
	s_waitcnt vmcnt(0) lgkmcnt(0)
	v_mul_f32_e32 v130, v130, v131
	s_cbranch_execz .LBB125_570
	s_branch .LBB125_571
.LBB125_569:
                                        ; implicit-def: $vgpr130
.LBB125_570:
	ds_read_b32 v130, v126
.LBB125_571:
	s_and_saveexec_b64 s[12:13], s[4:5]
	s_cbranch_execz .LBB125_575
; %bb.572:
	v_add_u32_e32 v131, -4, v0
	s_movk_i32 s14, 0x110
	s_mov_b64 s[4:5], 0
.LBB125_573:                            ; =>This Inner Loop Header: Depth=1
	buffer_load_dword v132, v129, s[0:3], 0 offen
	v_mov_b32_e32 v133, s14
	ds_read_b32 v133, v133
	v_add_u32_e32 v131, -1, v131
	s_add_i32 s14, s14, 4
	v_cmp_eq_u32_e32 vcc, 0, v131
	v_add_u32_e32 v129, 4, v129
	s_or_b64 s[4:5], vcc, s[4:5]
	s_waitcnt vmcnt(0) lgkmcnt(0)
	v_fmac_f32_e32 v130, v132, v133
	s_andn2_b64 exec, exec, s[4:5]
	s_cbranch_execnz .LBB125_573
; %bb.574:
	s_or_b64 exec, exec, s[4:5]
.LBB125_575:
	s_or_b64 exec, exec, s[12:13]
	v_mov_b32_e32 v129, 0
	ds_read_b32 v129, v129 offset:12
	s_waitcnt lgkmcnt(0)
	v_mul_f32_e32 v129, v130, v129
	buffer_store_dword v129, off, s[0:3], 0 offset:12
.LBB125_576:
	s_or_b64 exec, exec, s[10:11]
	buffer_load_dword v129, off, s[0:3], 0 offset:8
	v_cmp_lt_u32_e64 s[4:5], 2, v0
	s_waitcnt vmcnt(0)
	ds_write_b32 v126, v129
	s_waitcnt lgkmcnt(0)
	; wave barrier
	s_waitcnt lgkmcnt(0)
	s_and_saveexec_b64 s[10:11], s[4:5]
	s_cbranch_execz .LBB125_586
; %bb.577:
	s_andn2_b64 vcc, exec, s[8:9]
	s_cbranch_vccnz .LBB125_579
; %bb.578:
	buffer_load_dword v129, v127, s[0:3], 0 offen
	ds_read_b32 v130, v126
	s_waitcnt vmcnt(0) lgkmcnt(0)
	v_mul_f32_e32 v129, v129, v130
	s_cbranch_execz .LBB125_580
	s_branch .LBB125_581
.LBB125_579:
                                        ; implicit-def: $vgpr129
.LBB125_580:
	ds_read_b32 v129, v126
.LBB125_581:
	s_and_saveexec_b64 s[12:13], s[6:7]
	s_cbranch_execz .LBB125_585
; %bb.582:
	v_mov_b32_e32 v130, 0
	v_or_b32_e32 v130, 12, v130
	v_add_u32_e32 v131, -3, v0
	s_movk_i32 s14, 0x10c
	s_mov_b64 s[6:7], 0
.LBB125_583:                            ; =>This Inner Loop Header: Depth=1
	buffer_load_dword v132, v130, s[0:3], 0 offen
	v_mov_b32_e32 v133, s14
	ds_read_b32 v133, v133
	v_add_u32_e32 v131, -1, v131
	s_add_i32 s14, s14, 4
	v_cmp_eq_u32_e32 vcc, 0, v131
	v_add_u32_e32 v130, 4, v130
	s_or_b64 s[6:7], vcc, s[6:7]
	s_waitcnt vmcnt(0) lgkmcnt(0)
	v_fmac_f32_e32 v129, v132, v133
	s_andn2_b64 exec, exec, s[6:7]
	s_cbranch_execnz .LBB125_583
; %bb.584:
	s_or_b64 exec, exec, s[6:7]
.LBB125_585:
	s_or_b64 exec, exec, s[12:13]
	v_mov_b32_e32 v130, 0
	ds_read_b32 v130, v130 offset:8
	s_waitcnt lgkmcnt(0)
	v_mul_f32_e32 v129, v129, v130
	buffer_store_dword v129, off, s[0:3], 0 offset:8
.LBB125_586:
	s_or_b64 exec, exec, s[10:11]
	buffer_load_dword v129, off, s[0:3], 0 offset:4
	v_cmp_lt_u32_e64 s[6:7], 1, v0
	s_waitcnt vmcnt(0)
	ds_write_b32 v126, v129
	s_waitcnt lgkmcnt(0)
	; wave barrier
	s_waitcnt lgkmcnt(0)
	s_and_saveexec_b64 s[10:11], s[6:7]
	s_cbranch_execz .LBB125_596
; %bb.587:
	s_andn2_b64 vcc, exec, s[8:9]
	s_cbranch_vccnz .LBB125_589
; %bb.588:
	buffer_load_dword v129, v127, s[0:3], 0 offen
	ds_read_b32 v130, v126
	s_waitcnt vmcnt(0) lgkmcnt(0)
	v_mul_f32_e32 v129, v129, v130
	s_cbranch_execz .LBB125_590
	s_branch .LBB125_591
.LBB125_589:
                                        ; implicit-def: $vgpr129
.LBB125_590:
	ds_read_b32 v129, v126
.LBB125_591:
	s_and_saveexec_b64 s[12:13], s[4:5]
	s_cbranch_execz .LBB125_595
; %bb.592:
	v_add_u32_e32 v130, -2, v0
	s_movk_i32 s14, 0x108
	s_mov_b64 s[4:5], 0
.LBB125_593:                            ; =>This Inner Loop Header: Depth=1
	buffer_load_dword v131, v128, s[0:3], 0 offen
	v_mov_b32_e32 v132, s14
	ds_read_b32 v132, v132
	v_add_u32_e32 v130, -1, v130
	s_add_i32 s14, s14, 4
	v_cmp_eq_u32_e32 vcc, 0, v130
	v_add_u32_e32 v128, 4, v128
	s_or_b64 s[4:5], vcc, s[4:5]
	s_waitcnt vmcnt(0) lgkmcnt(0)
	v_fmac_f32_e32 v129, v131, v132
	s_andn2_b64 exec, exec, s[4:5]
	s_cbranch_execnz .LBB125_593
; %bb.594:
	s_or_b64 exec, exec, s[4:5]
.LBB125_595:
	s_or_b64 exec, exec, s[12:13]
	v_mov_b32_e32 v128, 0
	ds_read_b32 v128, v128 offset:4
	s_waitcnt lgkmcnt(0)
	v_mul_f32_e32 v128, v129, v128
	buffer_store_dword v128, off, s[0:3], 0 offset:4
.LBB125_596:
	s_or_b64 exec, exec, s[10:11]
	buffer_load_dword v128, off, s[0:3], 0
	v_cmp_ne_u32_e32 vcc, 0, v0
	s_waitcnt vmcnt(0)
	ds_write_b32 v126, v128
	s_waitcnt lgkmcnt(0)
	; wave barrier
	s_waitcnt lgkmcnt(0)
	s_and_saveexec_b64 s[4:5], vcc
	s_cbranch_execz .LBB125_606
; %bb.597:
	s_andn2_b64 vcc, exec, s[8:9]
	s_cbranch_vccnz .LBB125_599
; %bb.598:
	buffer_load_dword v128, v127, s[0:3], 0 offen
	ds_read_b32 v129, v126
	s_waitcnt vmcnt(0) lgkmcnt(0)
	v_mul_f32_e32 v128, v128, v129
	s_cbranch_execz .LBB125_600
	s_branch .LBB125_601
.LBB125_599:
                                        ; implicit-def: $vgpr128
.LBB125_600:
	ds_read_b32 v128, v126
.LBB125_601:
	s_and_saveexec_b64 s[10:11], s[6:7]
	s_cbranch_execz .LBB125_605
; %bb.602:
	v_mov_b32_e32 v129, 0
	v_or_b32_e32 v129, 4, v129
	v_add_u32_e32 v130, -1, v0
	s_movk_i32 s12, 0x104
	s_mov_b64 s[6:7], 0
.LBB125_603:                            ; =>This Inner Loop Header: Depth=1
	buffer_load_dword v131, v129, s[0:3], 0 offen
	v_mov_b32_e32 v132, s12
	ds_read_b32 v132, v132
	v_add_u32_e32 v130, -1, v130
	s_add_i32 s12, s12, 4
	v_cmp_eq_u32_e32 vcc, 0, v130
	v_add_u32_e32 v129, 4, v129
	s_or_b64 s[6:7], vcc, s[6:7]
	s_waitcnt vmcnt(0) lgkmcnt(0)
	v_fmac_f32_e32 v128, v131, v132
	s_andn2_b64 exec, exec, s[6:7]
	s_cbranch_execnz .LBB125_603
; %bb.604:
	s_or_b64 exec, exec, s[6:7]
.LBB125_605:
	s_or_b64 exec, exec, s[10:11]
	v_mov_b32_e32 v129, 0
	ds_read_b32 v129, v129
	s_waitcnt lgkmcnt(0)
	v_mul_f32_e32 v128, v128, v129
	buffer_store_dword v128, off, s[0:3], 0
.LBB125_606:
	s_or_b64 exec, exec, s[4:5]
	s_mov_b64 s[4:5], 0
.LBB125_607:
	s_and_b64 vcc, exec, s[4:5]
	s_cbranch_vccz .LBB125_1211
; %bb.608:
	buffer_load_dword v128, off, s[0:3], 0 offset:4
	v_cmp_eq_u32_e64 s[6:7], 0, v0
	s_waitcnt vmcnt(0)
	ds_write_b32 v126, v128
	s_waitcnt lgkmcnt(0)
	; wave barrier
	s_waitcnt lgkmcnt(0)
	s_and_saveexec_b64 s[4:5], s[6:7]
	s_cbranch_execz .LBB125_614
; %bb.609:
	s_and_b64 vcc, exec, s[8:9]
	s_cbranch_vccz .LBB125_611
; %bb.610:
	buffer_load_dword v128, v127, s[0:3], 0 offen
	ds_read_b32 v129, v126
	s_waitcnt vmcnt(0) lgkmcnt(0)
	v_mul_f32_e32 v128, v128, v129
	s_cbranch_execz .LBB125_612
	s_branch .LBB125_613
.LBB125_611:
                                        ; implicit-def: $vgpr128
.LBB125_612:
	ds_read_b32 v128, v126
.LBB125_613:
	v_mov_b32_e32 v129, 0
	ds_read_b32 v129, v129 offset:4
	s_waitcnt lgkmcnt(0)
	v_mul_f32_e32 v128, v128, v129
	buffer_store_dword v128, off, s[0:3], 0 offset:4
.LBB125_614:
	s_or_b64 exec, exec, s[4:5]
	buffer_load_dword v128, off, s[0:3], 0 offset:8
	v_cndmask_b32_e64 v129, 0, 1, s[8:9]
	v_cmp_gt_u32_e32 vcc, 2, v0
	v_cmp_ne_u32_e64 s[4:5], 1, v129
	s_waitcnt vmcnt(0)
	ds_write_b32 v126, v128
	s_waitcnt lgkmcnt(0)
	; wave barrier
	s_waitcnt lgkmcnt(0)
	s_and_saveexec_b64 s[8:9], vcc
	s_cbranch_execz .LBB125_622
; %bb.615:
	s_and_b64 vcc, exec, s[4:5]
	s_cbranch_vccnz .LBB125_617
; %bb.616:
	buffer_load_dword v128, v127, s[0:3], 0 offen
	ds_read_b32 v129, v126
	s_waitcnt vmcnt(0) lgkmcnt(0)
	v_mul_f32_e32 v128, v128, v129
	s_cbranch_execz .LBB125_618
	s_branch .LBB125_619
.LBB125_617:
                                        ; implicit-def: $vgpr128
.LBB125_618:
	ds_read_b32 v128, v126
.LBB125_619:
	s_and_saveexec_b64 s[10:11], s[6:7]
	s_cbranch_execz .LBB125_621
; %bb.620:
	buffer_load_dword v129, v127, s[0:3], 0 offen offset:4
	ds_read_b32 v130, v126 offset:4
	s_waitcnt vmcnt(0) lgkmcnt(0)
	v_fmac_f32_e32 v128, v129, v130
.LBB125_621:
	s_or_b64 exec, exec, s[10:11]
	v_mov_b32_e32 v129, 0
	ds_read_b32 v129, v129 offset:8
	s_waitcnt lgkmcnt(0)
	v_mul_f32_e32 v128, v128, v129
	buffer_store_dword v128, off, s[0:3], 0 offset:8
.LBB125_622:
	s_or_b64 exec, exec, s[8:9]
	buffer_load_dword v128, off, s[0:3], 0 offset:12
	v_cmp_gt_u32_e32 vcc, 3, v0
	s_waitcnt vmcnt(0)
	ds_write_b32 v126, v128
	s_waitcnt lgkmcnt(0)
	; wave barrier
	s_waitcnt lgkmcnt(0)
	s_and_saveexec_b64 s[8:9], vcc
	s_cbranch_execz .LBB125_630
; %bb.623:
	s_and_b64 vcc, exec, s[4:5]
	s_cbranch_vccnz .LBB125_625
; %bb.624:
	buffer_load_dword v128, v127, s[0:3], 0 offen
	ds_read_b32 v129, v126
	s_waitcnt vmcnt(0) lgkmcnt(0)
	v_mul_f32_e32 v128, v128, v129
	s_cbranch_execz .LBB125_626
	s_branch .LBB125_627
.LBB125_625:
                                        ; implicit-def: $vgpr128
.LBB125_626:
	ds_read_b32 v128, v126
.LBB125_627:
	v_cmp_ne_u32_e32 vcc, 2, v0
	s_and_saveexec_b64 s[10:11], vcc
	s_cbranch_execz .LBB125_629
; %bb.628:
	buffer_load_dword v129, v127, s[0:3], 0 offen offset:4
	buffer_load_dword v130, off, s[0:3], 0 offset:8
	v_mov_b32_e32 v131, 0
	ds_read_b32 v132, v126 offset:4
	ds_read_b32 v131, v131 offset:264
	s_waitcnt vmcnt(1) lgkmcnt(1)
	v_fmac_f32_e32 v128, v129, v132
	s_waitcnt vmcnt(0) lgkmcnt(0)
	v_fma_f32 v129, v130, v131, v128
	v_cndmask_b32_e64 v128, v128, v129, s[6:7]
.LBB125_629:
	s_or_b64 exec, exec, s[10:11]
	v_mov_b32_e32 v129, 0
	ds_read_b32 v129, v129 offset:12
	s_waitcnt lgkmcnt(0)
	v_mul_f32_e32 v128, v128, v129
	buffer_store_dword v128, off, s[0:3], 0 offset:12
.LBB125_630:
	s_or_b64 exec, exec, s[8:9]
	buffer_load_dword v128, off, s[0:3], 0 offset:16
	v_cmp_gt_u32_e32 vcc, 4, v0
	s_waitcnt vmcnt(0)
	ds_write_b32 v126, v128
	s_waitcnt lgkmcnt(0)
	; wave barrier
	s_waitcnt lgkmcnt(0)
	s_and_saveexec_b64 s[6:7], vcc
	s_cbranch_execz .LBB125_640
; %bb.631:
	s_and_b64 vcc, exec, s[4:5]
	s_cbranch_vccnz .LBB125_633
; %bb.632:
	buffer_load_dword v128, v127, s[0:3], 0 offen
	ds_read_b32 v129, v126
	s_waitcnt vmcnt(0) lgkmcnt(0)
	v_mul_f32_e32 v128, v128, v129
	s_cbranch_execz .LBB125_634
	s_branch .LBB125_635
.LBB125_633:
                                        ; implicit-def: $vgpr128
.LBB125_634:
	ds_read_b32 v128, v126
.LBB125_635:
	v_cmp_ne_u32_e32 vcc, 3, v0
	s_and_saveexec_b64 s[8:9], vcc
	s_cbranch_execz .LBB125_639
; %bb.636:
	v_mov_b32_e32 v130, 0
	v_add_u32_e32 v129, 0x104, v1
	v_add3_u32 v130, v1, v130, 4
	s_mov_b64 s[10:11], 0
	v_mov_b32_e32 v131, v0
.LBB125_637:                            ; =>This Inner Loop Header: Depth=1
	buffer_load_dword v132, v130, s[0:3], 0 offen
	ds_read_b32 v133, v129
	v_add_u32_e32 v131, 1, v131
	v_cmp_lt_u32_e32 vcc, 2, v131
	v_add_u32_e32 v129, 4, v129
	v_add_u32_e32 v130, 4, v130
	s_or_b64 s[10:11], vcc, s[10:11]
	s_waitcnt vmcnt(0) lgkmcnt(0)
	v_fmac_f32_e32 v128, v132, v133
	s_andn2_b64 exec, exec, s[10:11]
	s_cbranch_execnz .LBB125_637
; %bb.638:
	s_or_b64 exec, exec, s[10:11]
.LBB125_639:
	s_or_b64 exec, exec, s[8:9]
	v_mov_b32_e32 v129, 0
	ds_read_b32 v129, v129 offset:16
	s_waitcnt lgkmcnt(0)
	v_mul_f32_e32 v128, v128, v129
	buffer_store_dword v128, off, s[0:3], 0 offset:16
.LBB125_640:
	s_or_b64 exec, exec, s[6:7]
	buffer_load_dword v128, off, s[0:3], 0 offset:20
	v_cmp_gt_u32_e32 vcc, 5, v0
	s_waitcnt vmcnt(0)
	ds_write_b32 v126, v128
	s_waitcnt lgkmcnt(0)
	; wave barrier
	s_waitcnt lgkmcnt(0)
	s_and_saveexec_b64 s[6:7], vcc
	s_cbranch_execz .LBB125_650
; %bb.641:
	s_and_b64 vcc, exec, s[4:5]
	s_cbranch_vccnz .LBB125_643
; %bb.642:
	buffer_load_dword v128, v127, s[0:3], 0 offen
	ds_read_b32 v129, v126
	s_waitcnt vmcnt(0) lgkmcnt(0)
	v_mul_f32_e32 v128, v128, v129
	s_cbranch_execz .LBB125_644
	s_branch .LBB125_645
.LBB125_643:
                                        ; implicit-def: $vgpr128
.LBB125_644:
	ds_read_b32 v128, v126
.LBB125_645:
	v_cmp_ne_u32_e32 vcc, 4, v0
	s_and_saveexec_b64 s[8:9], vcc
	s_cbranch_execz .LBB125_649
; %bb.646:
	v_mov_b32_e32 v130, 0
	v_add_u32_e32 v129, 0x104, v1
	v_add3_u32 v130, v1, v130, 4
	s_mov_b64 s[10:11], 0
	v_mov_b32_e32 v131, v0
.LBB125_647:                            ; =>This Inner Loop Header: Depth=1
	buffer_load_dword v132, v130, s[0:3], 0 offen
	ds_read_b32 v133, v129
	v_add_u32_e32 v131, 1, v131
	v_cmp_lt_u32_e32 vcc, 3, v131
	v_add_u32_e32 v129, 4, v129
	v_add_u32_e32 v130, 4, v130
	s_or_b64 s[10:11], vcc, s[10:11]
	s_waitcnt vmcnt(0) lgkmcnt(0)
	v_fmac_f32_e32 v128, v132, v133
	s_andn2_b64 exec, exec, s[10:11]
	s_cbranch_execnz .LBB125_647
; %bb.648:
	s_or_b64 exec, exec, s[10:11]
.LBB125_649:
	s_or_b64 exec, exec, s[8:9]
	v_mov_b32_e32 v129, 0
	ds_read_b32 v129, v129 offset:20
	s_waitcnt lgkmcnt(0)
	v_mul_f32_e32 v128, v128, v129
	buffer_store_dword v128, off, s[0:3], 0 offset:20
.LBB125_650:
	;; [unrolled: 56-line block ×37, first 2 shown]
	s_or_b64 exec, exec, s[6:7]
	buffer_load_dword v128, off, s[0:3], 0 offset:164
	v_cmp_gt_u32_e32 vcc, 41, v0
	s_waitcnt vmcnt(0)
	ds_write_b32 v126, v128
	s_waitcnt lgkmcnt(0)
	; wave barrier
	s_waitcnt lgkmcnt(0)
	s_and_saveexec_b64 s[6:7], vcc
	s_cbranch_execz .LBB125_1010
; %bb.1001:
	s_and_b64 vcc, exec, s[4:5]
	s_cbranch_vccnz .LBB125_1003
; %bb.1002:
	buffer_load_dword v128, v127, s[0:3], 0 offen
	ds_read_b32 v129, v126
	s_waitcnt vmcnt(0) lgkmcnt(0)
	v_mul_f32_e32 v128, v128, v129
	s_cbranch_execz .LBB125_1004
	s_branch .LBB125_1005
.LBB125_1003:
                                        ; implicit-def: $vgpr128
.LBB125_1004:
	ds_read_b32 v128, v126
.LBB125_1005:
	v_cmp_ne_u32_e32 vcc, 40, v0
	s_and_saveexec_b64 s[8:9], vcc
	s_cbranch_execz .LBB125_1009
; %bb.1006:
	v_mov_b32_e32 v130, 0
	v_add_u32_e32 v129, 0x104, v1
	v_add3_u32 v130, v1, v130, 4
	s_mov_b64 s[10:11], 0
	v_mov_b32_e32 v131, v0
.LBB125_1007:                           ; =>This Inner Loop Header: Depth=1
	buffer_load_dword v132, v130, s[0:3], 0 offen
	ds_read_b32 v133, v129
	v_add_u32_e32 v131, 1, v131
	v_cmp_lt_u32_e32 vcc, 39, v131
	v_add_u32_e32 v129, 4, v129
	v_add_u32_e32 v130, 4, v130
	s_or_b64 s[10:11], vcc, s[10:11]
	s_waitcnt vmcnt(0) lgkmcnt(0)
	v_fmac_f32_e32 v128, v132, v133
	s_andn2_b64 exec, exec, s[10:11]
	s_cbranch_execnz .LBB125_1007
; %bb.1008:
	s_or_b64 exec, exec, s[10:11]
.LBB125_1009:
	s_or_b64 exec, exec, s[8:9]
	v_mov_b32_e32 v129, 0
	ds_read_b32 v129, v129 offset:164
	s_waitcnt lgkmcnt(0)
	v_mul_f32_e32 v128, v128, v129
	buffer_store_dword v128, off, s[0:3], 0 offset:164
.LBB125_1010:
	s_or_b64 exec, exec, s[6:7]
	buffer_load_dword v128, off, s[0:3], 0 offset:168
	v_cmp_gt_u32_e32 vcc, 42, v0
	s_waitcnt vmcnt(0)
	ds_write_b32 v126, v128
	s_waitcnt lgkmcnt(0)
	; wave barrier
	s_waitcnt lgkmcnt(0)
	s_and_saveexec_b64 s[6:7], vcc
	s_cbranch_execz .LBB125_1020
; %bb.1011:
	s_and_b64 vcc, exec, s[4:5]
	s_cbranch_vccnz .LBB125_1013
; %bb.1012:
	buffer_load_dword v128, v127, s[0:3], 0 offen
	ds_read_b32 v129, v126
	s_waitcnt vmcnt(0) lgkmcnt(0)
	v_mul_f32_e32 v128, v128, v129
	s_cbranch_execz .LBB125_1014
	s_branch .LBB125_1015
.LBB125_1013:
                                        ; implicit-def: $vgpr128
.LBB125_1014:
	ds_read_b32 v128, v126
.LBB125_1015:
	v_cmp_ne_u32_e32 vcc, 41, v0
	s_and_saveexec_b64 s[8:9], vcc
	s_cbranch_execz .LBB125_1019
; %bb.1016:
	v_mov_b32_e32 v130, 0
	v_add_u32_e32 v129, 0x104, v1
	v_add3_u32 v130, v1, v130, 4
	s_mov_b64 s[10:11], 0
	v_mov_b32_e32 v131, v0
.LBB125_1017:                           ; =>This Inner Loop Header: Depth=1
	buffer_load_dword v132, v130, s[0:3], 0 offen
	ds_read_b32 v133, v129
	v_add_u32_e32 v131, 1, v131
	v_cmp_lt_u32_e32 vcc, 40, v131
	v_add_u32_e32 v129, 4, v129
	v_add_u32_e32 v130, 4, v130
	s_or_b64 s[10:11], vcc, s[10:11]
	s_waitcnt vmcnt(0) lgkmcnt(0)
	v_fmac_f32_e32 v128, v132, v133
	s_andn2_b64 exec, exec, s[10:11]
	s_cbranch_execnz .LBB125_1017
; %bb.1018:
	s_or_b64 exec, exec, s[10:11]
.LBB125_1019:
	s_or_b64 exec, exec, s[8:9]
	v_mov_b32_e32 v129, 0
	ds_read_b32 v129, v129 offset:168
	s_waitcnt lgkmcnt(0)
	v_mul_f32_e32 v128, v128, v129
	buffer_store_dword v128, off, s[0:3], 0 offset:168
.LBB125_1020:
	;; [unrolled: 56-line block ×19, first 2 shown]
	s_or_b64 exec, exec, s[6:7]
	buffer_load_dword v128, off, s[0:3], 0 offset:240
	v_cmp_gt_u32_e64 s[6:7], 60, v0
	s_waitcnt vmcnt(0)
	ds_write_b32 v126, v128
	s_waitcnt lgkmcnt(0)
	; wave barrier
	s_waitcnt lgkmcnt(0)
	s_and_saveexec_b64 s[8:9], s[6:7]
	s_cbranch_execz .LBB125_1200
; %bb.1191:
	s_and_b64 vcc, exec, s[4:5]
	s_cbranch_vccnz .LBB125_1193
; %bb.1192:
	buffer_load_dword v128, v127, s[0:3], 0 offen
	ds_read_b32 v129, v126
	s_waitcnt vmcnt(0) lgkmcnt(0)
	v_mul_f32_e32 v128, v128, v129
	s_cbranch_execz .LBB125_1194
	s_branch .LBB125_1195
.LBB125_1193:
                                        ; implicit-def: $vgpr128
.LBB125_1194:
	ds_read_b32 v128, v126
.LBB125_1195:
	v_cmp_ne_u32_e32 vcc, 59, v0
	s_and_saveexec_b64 s[10:11], vcc
	s_cbranch_execz .LBB125_1199
; %bb.1196:
	v_mov_b32_e32 v130, 0
	v_add_u32_e32 v129, 0x104, v1
	v_add3_u32 v130, v1, v130, 4
	s_mov_b64 s[12:13], 0
	v_mov_b32_e32 v131, v0
.LBB125_1197:                           ; =>This Inner Loop Header: Depth=1
	buffer_load_dword v132, v130, s[0:3], 0 offen
	ds_read_b32 v133, v129
	v_add_u32_e32 v131, 1, v131
	v_cmp_lt_u32_e32 vcc, 58, v131
	v_add_u32_e32 v129, 4, v129
	v_add_u32_e32 v130, 4, v130
	s_or_b64 s[12:13], vcc, s[12:13]
	s_waitcnt vmcnt(0) lgkmcnt(0)
	v_fmac_f32_e32 v128, v132, v133
	s_andn2_b64 exec, exec, s[12:13]
	s_cbranch_execnz .LBB125_1197
; %bb.1198:
	s_or_b64 exec, exec, s[12:13]
.LBB125_1199:
	s_or_b64 exec, exec, s[10:11]
	v_mov_b32_e32 v129, 0
	ds_read_b32 v129, v129 offset:240
	s_waitcnt lgkmcnt(0)
	v_mul_f32_e32 v128, v128, v129
	buffer_store_dword v128, off, s[0:3], 0 offset:240
.LBB125_1200:
	s_or_b64 exec, exec, s[8:9]
	buffer_load_dword v128, off, s[0:3], 0 offset:244
	v_cmp_ne_u32_e32 vcc, 61, v0
	s_waitcnt vmcnt(0)
	ds_write_b32 v126, v128
	s_waitcnt lgkmcnt(0)
	; wave barrier
	s_waitcnt lgkmcnt(0)
	s_and_saveexec_b64 s[8:9], vcc
	s_cbranch_execz .LBB125_1210
; %bb.1201:
	s_and_b64 vcc, exec, s[4:5]
	s_cbranch_vccnz .LBB125_1203
; %bb.1202:
	buffer_load_dword v127, v127, s[0:3], 0 offen
	ds_read_b32 v128, v126
	s_waitcnt vmcnt(0) lgkmcnt(0)
	v_mul_f32_e32 v127, v127, v128
	s_cbranch_execz .LBB125_1204
	s_branch .LBB125_1205
.LBB125_1203:
                                        ; implicit-def: $vgpr127
.LBB125_1204:
	ds_read_b32 v127, v126
.LBB125_1205:
	s_and_saveexec_b64 s[4:5], s[6:7]
	s_cbranch_execz .LBB125_1209
; %bb.1206:
	v_mov_b32_e32 v128, 0
	v_add_u32_e32 v126, 0x104, v1
	v_add3_u32 v1, v1, v128, 4
	s_mov_b64 s[6:7], 0
.LBB125_1207:                           ; =>This Inner Loop Header: Depth=1
	buffer_load_dword v128, v1, s[0:3], 0 offen
	ds_read_b32 v129, v126
	v_add_u32_e32 v0, 1, v0
	v_cmp_lt_u32_e32 vcc, 59, v0
	v_add_u32_e32 v126, 4, v126
	v_add_u32_e32 v1, 4, v1
	s_or_b64 s[6:7], vcc, s[6:7]
	s_waitcnt vmcnt(0) lgkmcnt(0)
	v_fmac_f32_e32 v127, v128, v129
	s_andn2_b64 exec, exec, s[6:7]
	s_cbranch_execnz .LBB125_1207
; %bb.1208:
	s_or_b64 exec, exec, s[6:7]
.LBB125_1209:
	s_or_b64 exec, exec, s[4:5]
	v_mov_b32_e32 v0, 0
	ds_read_b32 v0, v0 offset:244
	s_waitcnt lgkmcnt(0)
	v_mul_f32_e32 v0, v127, v0
	buffer_store_dword v0, off, s[0:3], 0 offset:244
.LBB125_1210:
	s_or_b64 exec, exec, s[8:9]
.LBB125_1211:
	buffer_load_dword v0, off, s[0:3], 0
	buffer_load_dword v1, off, s[0:3], 0 offset:4
	buffer_load_dword v126, off, s[0:3], 0 offset:8
	buffer_load_dword v127, off, s[0:3], 0 offset:12
	buffer_load_dword v128, off, s[0:3], 0 offset:16
	buffer_load_dword v129, off, s[0:3], 0 offset:20
	buffer_load_dword v130, off, s[0:3], 0 offset:24
	buffer_load_dword v131, off, s[0:3], 0 offset:28
	buffer_load_dword v132, off, s[0:3], 0 offset:32
	buffer_load_dword v133, off, s[0:3], 0 offset:36
	buffer_load_dword v134, off, s[0:3], 0 offset:40
	buffer_load_dword v135, off, s[0:3], 0 offset:44
	buffer_load_dword v136, off, s[0:3], 0 offset:48
	buffer_load_dword v137, off, s[0:3], 0 offset:52
	buffer_load_dword v138, off, s[0:3], 0 offset:56
	buffer_load_dword v139, off, s[0:3], 0 offset:60
	buffer_load_dword v140, off, s[0:3], 0 offset:64
	buffer_load_dword v141, off, s[0:3], 0 offset:68
	buffer_load_dword v142, off, s[0:3], 0 offset:72
	buffer_load_dword v143, off, s[0:3], 0 offset:76
	buffer_load_dword v144, off, s[0:3], 0 offset:80
	buffer_load_dword v145, off, s[0:3], 0 offset:84
	buffer_load_dword v146, off, s[0:3], 0 offset:88
	buffer_load_dword v147, off, s[0:3], 0 offset:92
	buffer_load_dword v148, off, s[0:3], 0 offset:96
	buffer_load_dword v149, off, s[0:3], 0 offset:100
	buffer_load_dword v150, off, s[0:3], 0 offset:104
	buffer_load_dword v151, off, s[0:3], 0 offset:108
	buffer_load_dword v152, off, s[0:3], 0 offset:112
	buffer_load_dword v153, off, s[0:3], 0 offset:116
	buffer_load_dword v154, off, s[0:3], 0 offset:120
	buffer_load_dword v155, off, s[0:3], 0 offset:124
	buffer_load_dword v156, off, s[0:3], 0 offset:128
	buffer_load_dword v157, off, s[0:3], 0 offset:132
	buffer_load_dword v158, off, s[0:3], 0 offset:136
	buffer_load_dword v159, off, s[0:3], 0 offset:140
	buffer_load_dword v160, off, s[0:3], 0 offset:144
	buffer_load_dword v161, off, s[0:3], 0 offset:148
	buffer_load_dword v162, off, s[0:3], 0 offset:152
	buffer_load_dword v163, off, s[0:3], 0 offset:156
	s_waitcnt vmcnt(39)
	global_store_dword v[114:115], v0, off
	s_waitcnt vmcnt(39)
	global_store_dword v[116:117], v1, off
	;; [unrolled: 2-line block ×3, first 2 shown]
	buffer_load_dword v0, off, s[0:3], 0 offset:160
	buffer_load_dword v1, off, s[0:3], 0 offset:164
	s_nop 0
	buffer_load_dword v4, off, s[0:3], 0 offset:168
	buffer_load_dword v5, off, s[0:3], 0 offset:172
	;; [unrolled: 1-line block ×6, first 2 shown]
	s_waitcnt vmcnt(47)
	global_store_dword v[2:3], v127, off
	s_waitcnt vmcnt(47)
	global_store_dword v[6:7], v128, off
	;; [unrolled: 2-line block ×3, first 2 shown]
	buffer_load_dword v2, off, s[0:3], 0 offset:192
	buffer_load_dword v3, off, s[0:3], 0 offset:196
	buffer_load_dword v6, off, s[0:3], 0 offset:200
	buffer_load_dword v7, off, s[0:3], 0 offset:204
	s_nop 0
	buffer_load_dword v10, off, s[0:3], 0 offset:208
	buffer_load_dword v11, off, s[0:3], 0 offset:212
	;; [unrolled: 1-line block ×4, first 2 shown]
	s_waitcnt vmcnt(55)
	global_store_dword v[8:9], v130, off
	s_waitcnt vmcnt(55)
	global_store_dword v[12:13], v131, off
	buffer_load_dword v8, off, s[0:3], 0 offset:224
	buffer_load_dword v9, off, s[0:3], 0 offset:228
	s_nop 0
	buffer_load_dword v12, off, s[0:3], 0 offset:232
	buffer_load_dword v13, off, s[0:3], 0 offset:236
	;; [unrolled: 1-line block ×4, first 2 shown]
	s_waitcnt vmcnt(61)
	global_store_dword v[14:15], v132, off
	s_waitcnt vmcnt(61)
	global_store_dword v[16:17], v133, off
	;; [unrolled: 2-line block ×54, first 2 shown]
.LBB125_1212:
	s_endpgm
	.section	.rodata,"a",@progbits
	.p2align	6, 0x0
	.amdhsa_kernel _ZN9rocsolver6v33100L18trti2_kernel_smallILi62EfPKPfEEv13rocblas_fill_17rocblas_diagonal_T1_iil
		.amdhsa_group_segment_fixed_size 504
		.amdhsa_private_segment_fixed_size 256
		.amdhsa_kernarg_size 32
		.amdhsa_user_sgpr_count 8
		.amdhsa_user_sgpr_private_segment_buffer 1
		.amdhsa_user_sgpr_dispatch_ptr 0
		.amdhsa_user_sgpr_queue_ptr 0
		.amdhsa_user_sgpr_kernarg_segment_ptr 1
		.amdhsa_user_sgpr_dispatch_id 0
		.amdhsa_user_sgpr_flat_scratch_init 1
		.amdhsa_user_sgpr_kernarg_preload_length 0
		.amdhsa_user_sgpr_kernarg_preload_offset 0
		.amdhsa_user_sgpr_private_segment_size 0
		.amdhsa_uses_dynamic_stack 0
		.amdhsa_system_sgpr_private_segment_wavefront_offset 1
		.amdhsa_system_sgpr_workgroup_id_x 1
		.amdhsa_system_sgpr_workgroup_id_y 0
		.amdhsa_system_sgpr_workgroup_id_z 0
		.amdhsa_system_sgpr_workgroup_info 0
		.amdhsa_system_vgpr_workitem_id 0
		.amdhsa_next_free_vgpr 164
		.amdhsa_next_free_sgpr 16
		.amdhsa_accum_offset 164
		.amdhsa_reserve_vcc 1
		.amdhsa_reserve_flat_scratch 0
		.amdhsa_float_round_mode_32 0
		.amdhsa_float_round_mode_16_64 0
		.amdhsa_float_denorm_mode_32 3
		.amdhsa_float_denorm_mode_16_64 3
		.amdhsa_dx10_clamp 1
		.amdhsa_ieee_mode 1
		.amdhsa_fp16_overflow 0
		.amdhsa_tg_split 0
		.amdhsa_exception_fp_ieee_invalid_op 0
		.amdhsa_exception_fp_denorm_src 0
		.amdhsa_exception_fp_ieee_div_zero 0
		.amdhsa_exception_fp_ieee_overflow 0
		.amdhsa_exception_fp_ieee_underflow 0
		.amdhsa_exception_fp_ieee_inexact 0
		.amdhsa_exception_int_div_zero 0
	.end_amdhsa_kernel
	.section	.text._ZN9rocsolver6v33100L18trti2_kernel_smallILi62EfPKPfEEv13rocblas_fill_17rocblas_diagonal_T1_iil,"axG",@progbits,_ZN9rocsolver6v33100L18trti2_kernel_smallILi62EfPKPfEEv13rocblas_fill_17rocblas_diagonal_T1_iil,comdat
.Lfunc_end125:
	.size	_ZN9rocsolver6v33100L18trti2_kernel_smallILi62EfPKPfEEv13rocblas_fill_17rocblas_diagonal_T1_iil, .Lfunc_end125-_ZN9rocsolver6v33100L18trti2_kernel_smallILi62EfPKPfEEv13rocblas_fill_17rocblas_diagonal_T1_iil
                                        ; -- End function
	.section	.AMDGPU.csdata,"",@progbits
; Kernel info:
; codeLenInByte = 30480
; NumSgprs: 20
; NumVgprs: 164
; NumAgprs: 0
; TotalNumVgprs: 164
; ScratchSize: 256
; MemoryBound: 0
; FloatMode: 240
; IeeeMode: 1
; LDSByteSize: 504 bytes/workgroup (compile time only)
; SGPRBlocks: 2
; VGPRBlocks: 20
; NumSGPRsForWavesPerEU: 20
; NumVGPRsForWavesPerEU: 164
; AccumOffset: 164
; Occupancy: 3
; WaveLimiterHint : 1
; COMPUTE_PGM_RSRC2:SCRATCH_EN: 1
; COMPUTE_PGM_RSRC2:USER_SGPR: 8
; COMPUTE_PGM_RSRC2:TRAP_HANDLER: 0
; COMPUTE_PGM_RSRC2:TGID_X_EN: 1
; COMPUTE_PGM_RSRC2:TGID_Y_EN: 0
; COMPUTE_PGM_RSRC2:TGID_Z_EN: 0
; COMPUTE_PGM_RSRC2:TIDIG_COMP_CNT: 0
; COMPUTE_PGM_RSRC3_GFX90A:ACCUM_OFFSET: 40
; COMPUTE_PGM_RSRC3_GFX90A:TG_SPLIT: 0
	.section	.text._ZN9rocsolver6v33100L18trti2_kernel_smallILi63EfPKPfEEv13rocblas_fill_17rocblas_diagonal_T1_iil,"axG",@progbits,_ZN9rocsolver6v33100L18trti2_kernel_smallILi63EfPKPfEEv13rocblas_fill_17rocblas_diagonal_T1_iil,comdat
	.globl	_ZN9rocsolver6v33100L18trti2_kernel_smallILi63EfPKPfEEv13rocblas_fill_17rocblas_diagonal_T1_iil ; -- Begin function _ZN9rocsolver6v33100L18trti2_kernel_smallILi63EfPKPfEEv13rocblas_fill_17rocblas_diagonal_T1_iil
	.p2align	8
	.type	_ZN9rocsolver6v33100L18trti2_kernel_smallILi63EfPKPfEEv13rocblas_fill_17rocblas_diagonal_T1_iil,@function
_ZN9rocsolver6v33100L18trti2_kernel_smallILi63EfPKPfEEv13rocblas_fill_17rocblas_diagonal_T1_iil: ; @_ZN9rocsolver6v33100L18trti2_kernel_smallILi63EfPKPfEEv13rocblas_fill_17rocblas_diagonal_T1_iil
; %bb.0:
	s_add_u32 s0, s0, s9
	s_addc_u32 s1, s1, 0
	v_cmp_gt_u32_e32 vcc, 63, v0
	s_and_saveexec_b64 s[6:7], vcc
	s_cbranch_execz .LBB126_1232
; %bb.1:
	s_load_dwordx2 s[6:7], s[4:5], 0x10
	s_load_dwordx4 s[12:15], s[4:5], 0x0
	s_ashr_i32 s9, s8, 31
	s_lshl_b64 s[4:5], s[8:9], 3
	s_waitcnt lgkmcnt(0)
	s_ashr_i32 s9, s6, 31
	s_add_u32 s4, s14, s4
	s_addc_u32 s5, s15, s5
	s_load_dwordx2 s[4:5], s[4:5], 0x0
	s_mov_b32 s8, s6
	s_lshl_b64 s[8:9], s[8:9], 2
	s_waitcnt lgkmcnt(0)
	s_add_u32 s4, s4, s8
	s_addc_u32 s5, s5, s9
	s_add_i32 s6, s7, s7
	v_add_u32_e32 v4, s6, v0
	v_ashrrev_i32_e32 v5, 31, v4
	v_lshlrev_b64 v[2:3], 2, v[4:5]
	v_add_u32_e32 v4, s7, v4
	v_mov_b32_e32 v1, s5
	v_add_co_u32_e32 v2, vcc, s4, v2
	v_ashrrev_i32_e32 v5, 31, v4
	v_addc_co_u32_e32 v3, vcc, v1, v3, vcc
	v_lshlrev_b64 v[6:7], 2, v[4:5]
	v_add_u32_e32 v8, s7, v4
	v_add_co_u32_e32 v6, vcc, s4, v6
	v_ashrrev_i32_e32 v9, 31, v8
	v_addc_co_u32_e32 v7, vcc, v1, v7, vcc
	v_lshlrev_b64 v[4:5], 2, v[8:9]
	v_add_u32_e32 v8, s7, v8
	;; [unrolled: 5-line block ×51, first 2 shown]
	v_add_co_u32_e32 v104, vcc, s4, v104
	v_ashrrev_i32_e32 v109, 31, v108
	v_addc_co_u32_e32 v105, vcc, v1, v105, vcc
	v_lshlrev_b64 v[106:107], 2, v[108:109]
	v_add_co_u32_e32 v106, vcc, s4, v106
	v_add_u32_e32 v110, s7, v108
	v_addc_co_u32_e32 v107, vcc, v1, v107, vcc
	v_ashrrev_i32_e32 v111, 31, v110
	v_lshlrev_b32_e32 v1, 2, v0
	v_lshlrev_b64 v[108:109], 2, v[110:111]
	v_mov_b32_e32 v111, s5
	v_add_co_u32_e32 v120, vcc, s4, v1
	s_ashr_i32 s9, s7, 31
	s_mov_b32 s8, s7
	v_addc_co_u32_e32 v121, vcc, 0, v111, vcc
	s_lshl_b64 s[8:9], s[8:9], 2
	v_mov_b32_e32 v111, s9
	v_add_co_u32_e32 v116, vcc, s8, v120
	v_addc_co_u32_e32 v117, vcc, v121, v111, vcc
	global_load_dword v128, v1, s[4:5]
	global_load_dword v129, v[116:117], off
	global_load_dword v130, v[2:3], off
	;; [unrolled: 1-line block ×26, first 2 shown]
	v_mov_b32_e32 v112, s5
	v_add_co_u32_e32 v108, vcc, s4, v108
	v_addc_co_u32_e32 v109, vcc, v112, v109, vcc
	v_add_u32_e32 v112, s7, v110
	v_ashrrev_i32_e32 v113, 31, v112
	v_lshlrev_b64 v[110:111], 2, v[112:113]
	v_mov_b32_e32 v114, s5
	v_add_co_u32_e32 v110, vcc, s4, v110
	v_addc_co_u32_e32 v111, vcc, v114, v111, vcc
	v_add_u32_e32 v114, s7, v112
	v_ashrrev_i32_e32 v115, 31, v114
	v_lshlrev_b64 v[112:113], 2, v[114:115]
	;; [unrolled: 6-line block ×6, first 2 shown]
	v_add_u32_e32 v126, s7, v126
	v_mov_b32_e32 v155, s5
	v_add_co_u32_e32 v124, vcc, s4, v124
	v_ashrrev_i32_e32 v127, 31, v126
	v_addc_co_u32_e32 v125, vcc, v155, v125, vcc
	v_lshlrev_b64 v[126:127], 2, v[126:127]
	v_add_co_u32_e32 v126, vcc, s4, v126
	v_addc_co_u32_e32 v127, vcc, v155, v127, vcc
	global_load_dword v155, v[126:127], off
	s_waitcnt vmcnt(27)
	buffer_store_dword v128, off, s[0:3], 0
	s_waitcnt vmcnt(27)
	buffer_store_dword v129, off, s[0:3], 0 offset:4
	s_waitcnt vmcnt(27)
	buffer_store_dword v130, off, s[0:3], 0 offset:8
	;; [unrolled: 2-line block ×11, first 2 shown]
	buffer_store_dword v138, off, s[0:3], 0 offset:48
	buffer_store_dword v139, off, s[0:3], 0 offset:52
	;; [unrolled: 1-line block ×5, first 2 shown]
	s_waitcnt vmcnt(27)
	buffer_store_dword v145, off, s[0:3], 0 offset:68
	s_waitcnt vmcnt(27)
	buffer_store_dword v146, off, s[0:3], 0 offset:72
	;; [unrolled: 2-line block ×5, first 2 shown]
	buffer_store_dword v149, off, s[0:3], 0 offset:92
	global_load_dword v128, v[62:63], off
	global_load_dword v129, v[60:61], off
	global_load_dword v130, v[58:59], off
	global_load_dword v131, v[56:57], off
	global_load_dword v132, v[54:55], off
	global_load_dword v133, v[50:51], off
	global_load_dword v134, v[64:65], off
	global_load_dword v135, v[78:79], off
	global_load_dword v136, v[76:77], off
	global_load_dword v137, v[74:75], off
	global_load_dword v138, v[72:73], off
	global_load_dword v139, v[70:71], off
	global_load_dword v140, v[68:69], off
	global_load_dword v141, v[66:67], off
	global_load_dword v142, v[80:81], off
	global_load_dword v143, v[94:95], off
	global_load_dword v144, v[92:93], off
	global_load_dword v145, v[90:91], off
	global_load_dword v146, v[88:89], off
	global_load_dword v147, v[86:87], off
	global_load_dword v149, v[84:85], off
	global_load_dword v151, v[82:83], off
	global_load_dword v152, v[96:97], off
	global_load_dword v156, v[110:111], off
	global_load_dword v157, v[108:109], off
	global_load_dword v158, v[106:107], off
	global_load_dword v159, v[104:105], off
	global_load_dword v160, v[102:103], off
	global_load_dword v161, v[100:101], off
	global_load_dword v162, v[98:99], off
	s_nop 0
	buffer_store_dword v150, off, s[0:3], 0 offset:88
	s_waitcnt vmcnt(56)
	buffer_store_dword v153, off, s[0:3], 0 offset:100
	buffer_store_dword v148, off, s[0:3], 0 offset:96
	s_waitcnt vmcnt(57)
	buffer_store_dword v154, off, s[0:3], 0 offset:108
	global_load_dword v148, v[112:113], off
	global_load_dword v150, v[122:123], off
	;; [unrolled: 1-line block ×3, first 2 shown]
	s_nop 0
	global_load_dword v154, v[114:115], off
	global_load_dword v163, v[124:125], off
	s_cmpk_lg_i32 s13, 0x84
	s_waitcnt vmcnt(33)
	buffer_store_dword v133, off, s[0:3], 0 offset:104
	buffer_store_dword v131, off, s[0:3], 0 offset:116
	buffer_store_dword v132, off, s[0:3], 0 offset:112
	buffer_store_dword v129, off, s[0:3], 0 offset:124
	buffer_store_dword v130, off, s[0:3], 0 offset:120
	s_waitcnt vmcnt(37)
	buffer_store_dword v134, off, s[0:3], 0 offset:132
	buffer_store_dword v128, off, s[0:3], 0 offset:128
	s_waitcnt vmcnt(33)
	buffer_store_dword v140, off, s[0:3], 0 offset:140
	s_waitcnt vmcnt(33)
	buffer_store_dword v141, off, s[0:3], 0 offset:136
	buffer_store_dword v138, off, s[0:3], 0 offset:148
	buffer_store_dword v139, off, s[0:3], 0 offset:144
	buffer_store_dword v136, off, s[0:3], 0 offset:156
	buffer_store_dword v137, off, s[0:3], 0 offset:152
	s_waitcnt vmcnt(37)
	buffer_store_dword v142, off, s[0:3], 0 offset:164
	buffer_store_dword v135, off, s[0:3], 0 offset:160
	s_waitcnt vmcnt(33)
	buffer_store_dword v149, off, s[0:3], 0 offset:172
	;; [unrolled: 11-line block ×4, first 2 shown]
	s_waitcnt vmcnt(33)
	buffer_store_dword v154, off, s[0:3], 0 offset:232
	s_waitcnt vmcnt(33)
	buffer_store_dword v163, off, s[0:3], 0 offset:244
	buffer_store_dword v150, off, s[0:3], 0 offset:240
	;; [unrolled: 1-line block ×3, first 2 shown]
	s_cselect_b64 s[10:11], -1, 0
	s_cmpk_eq_i32 s13, 0x84
	v_mov_b32_e32 v159, 0
	v_mov_b32_e32 v128, -1.0
	s_cbranch_scc1 .LBB126_3
; %bb.2:
	v_lshl_add_u32 v128, v0, 2, v159
	buffer_load_dword v129, v128, s[0:3], 0 offen
	s_waitcnt vmcnt(0)
	v_div_scale_f32 v130, s[4:5], v129, v129, 1.0
	v_rcp_f32_e32 v131, v130
	v_div_scale_f32 v132, vcc, 1.0, v129, 1.0
	v_fma_f32 v133, -v130, v131, 1.0
	v_fmac_f32_e32 v131, v133, v131
	v_mul_f32_e32 v133, v132, v131
	v_fma_f32 v134, -v130, v133, v132
	v_fmac_f32_e32 v133, v134, v131
	v_fma_f32 v130, -v130, v133, v132
	v_div_fmas_f32 v130, v130, v131, v133
	v_div_fixup_f32 v129, v130, v129, 1.0
	buffer_store_dword v129, v128, s[0:3], 0 offen
	v_xor_b32_e32 v128, 0x80000000, v129
.LBB126_3:
	ds_write_b32 v1, v128
	s_cmpk_eq_i32 s12, 0x79
	v_or_b32_e32 v128, 0x100, v1
	v_add_u32_e32 v129, 0, v1
	s_mov_b64 s[4:5], -1
	s_cbranch_scc1 .LBB126_617
; %bb.4:
	buffer_load_dword v130, off, s[0:3], 0 offset:244
	v_cmp_eq_u32_e64 s[4:5], 62, v0
	s_waitcnt vmcnt(0)
	ds_write_b32 v128, v130
	s_waitcnt lgkmcnt(0)
	; wave barrier
	s_waitcnt lgkmcnt(0)
	s_and_saveexec_b64 s[6:7], s[4:5]
	s_cbranch_execz .LBB126_10
; %bb.5:
	s_and_b64 vcc, exec, s[10:11]
	s_cbranch_vccz .LBB126_7
; %bb.6:
	buffer_load_dword v130, v129, s[0:3], 0 offen
	ds_read_b32 v131, v128
	s_waitcnt vmcnt(0) lgkmcnt(0)
	v_mul_f32_e32 v130, v130, v131
	s_cbranch_execz .LBB126_8
	s_branch .LBB126_9
.LBB126_7:
                                        ; implicit-def: $vgpr130
.LBB126_8:
	ds_read_b32 v130, v128
.LBB126_9:
	v_mov_b32_e32 v131, 0
	ds_read_b32 v131, v131 offset:244
	s_waitcnt lgkmcnt(0)
	v_mul_f32_e32 v130, v130, v131
	buffer_store_dword v130, off, s[0:3], 0 offset:244
.LBB126_10:
	s_or_b64 exec, exec, s[6:7]
	buffer_load_dword v160, off, s[0:3], 0 offset:240
	v_or_b32_e32 v130, 8, v159
	v_add_u32_e32 v131, 16, v159
	v_add_u32_e32 v132, 24, v159
	;; [unrolled: 1-line block ×29, first 2 shown]
	v_cmp_lt_u32_e64 s[8:9], 60, v0
	s_waitcnt vmcnt(0)
	ds_write_b32 v128, v160
	s_waitcnt lgkmcnt(0)
	; wave barrier
	s_waitcnt lgkmcnt(0)
	s_and_saveexec_b64 s[6:7], s[8:9]
	s_cbranch_execz .LBB126_16
; %bb.11:
	s_andn2_b64 vcc, exec, s[10:11]
	s_cbranch_vccnz .LBB126_13
; %bb.12:
	buffer_load_dword v160, v129, s[0:3], 0 offen
	ds_read_b32 v161, v128
	s_waitcnt vmcnt(0) lgkmcnt(0)
	v_mul_f32_e32 v160, v160, v161
	s_cbranch_execz .LBB126_14
	s_branch .LBB126_15
.LBB126_13:
                                        ; implicit-def: $vgpr160
.LBB126_14:
	ds_read_b32 v160, v128
.LBB126_15:
	buffer_load_dword v161, off, s[0:3], 0 offset:244
	v_mov_b32_e32 v162, 0
	ds_read2_b32 v[162:163], v162 offset0:60 offset1:125
	s_waitcnt vmcnt(0) lgkmcnt(0)
	v_fma_f32 v161, v161, v163, v160
	v_cndmask_b32_e64 v160, v160, v161, s[4:5]
	v_mul_f32_e32 v160, v160, v162
	buffer_store_dword v160, off, s[0:3], 0 offset:240
.LBB126_16:
	s_or_b64 exec, exec, s[6:7]
	buffer_load_dword v160, off, s[0:3], 0 offset:236
	v_cmp_lt_u32_e64 s[6:7], 59, v0
	s_waitcnt vmcnt(0)
	ds_write_b32 v128, v160
	s_waitcnt lgkmcnt(0)
	; wave barrier
	s_waitcnt lgkmcnt(0)
	s_and_saveexec_b64 s[4:5], s[6:7]
	s_cbranch_execz .LBB126_26
; %bb.17:
	s_andn2_b64 vcc, exec, s[10:11]
	s_cbranch_vccnz .LBB126_19
; %bb.18:
	buffer_load_dword v160, v129, s[0:3], 0 offen
	ds_read_b32 v161, v128
	s_waitcnt vmcnt(0) lgkmcnt(0)
	v_mul_f32_e32 v160, v160, v161
	s_cbranch_execz .LBB126_20
	s_branch .LBB126_21
.LBB126_19:
                                        ; implicit-def: $vgpr160
.LBB126_20:
	ds_read_b32 v160, v128
.LBB126_21:
	s_and_saveexec_b64 s[12:13], s[8:9]
	s_cbranch_execz .LBB126_25
; %bb.22:
	v_subrev_u32_e32 v161, 60, v0
	s_movk_i32 s14, 0x1f0
	s_mov_b64 s[8:9], 0
.LBB126_23:                             ; =>This Inner Loop Header: Depth=1
	buffer_load_dword v162, v159, s[0:3], 0 offen
	v_mov_b32_e32 v163, s14
	ds_read_b32 v163, v163
	v_add_u32_e32 v161, -1, v161
	s_add_i32 s14, s14, 4
	v_cmp_eq_u32_e32 vcc, 0, v161
	v_add_u32_e32 v159, 4, v159
	s_or_b64 s[8:9], vcc, s[8:9]
	s_waitcnt vmcnt(0) lgkmcnt(0)
	v_fmac_f32_e32 v160, v162, v163
	s_andn2_b64 exec, exec, s[8:9]
	s_cbranch_execnz .LBB126_23
; %bb.24:
	s_or_b64 exec, exec, s[8:9]
.LBB126_25:
	s_or_b64 exec, exec, s[12:13]
	v_mov_b32_e32 v159, 0
	ds_read_b32 v159, v159 offset:236
	s_waitcnt lgkmcnt(0)
	v_mul_f32_e32 v159, v160, v159
	buffer_store_dword v159, off, s[0:3], 0 offset:236
.LBB126_26:
	s_or_b64 exec, exec, s[4:5]
	buffer_load_dword v159, off, s[0:3], 0 offset:232
	v_cmp_lt_u32_e64 s[4:5], 58, v0
	s_waitcnt vmcnt(0)
	ds_write_b32 v128, v159
	s_waitcnt lgkmcnt(0)
	; wave barrier
	s_waitcnt lgkmcnt(0)
	s_and_saveexec_b64 s[8:9], s[4:5]
	s_cbranch_execz .LBB126_36
; %bb.27:
	s_andn2_b64 vcc, exec, s[10:11]
	s_cbranch_vccnz .LBB126_29
; %bb.28:
	buffer_load_dword v159, v129, s[0:3], 0 offen
	ds_read_b32 v160, v128
	s_waitcnt vmcnt(0) lgkmcnt(0)
	v_mul_f32_e32 v159, v159, v160
	s_cbranch_execz .LBB126_30
	s_branch .LBB126_31
.LBB126_29:
                                        ; implicit-def: $vgpr159
.LBB126_30:
	ds_read_b32 v159, v128
.LBB126_31:
	s_and_saveexec_b64 s[12:13], s[6:7]
	s_cbranch_execz .LBB126_35
; %bb.32:
	v_mov_b32_e32 v160, 0
	v_add_u32_e32 v160, 0xec, v160
	v_subrev_u32_e32 v161, 59, v0
	s_movk_i32 s14, 0x1ec
	s_mov_b64 s[6:7], 0
.LBB126_33:                             ; =>This Inner Loop Header: Depth=1
	buffer_load_dword v162, v160, s[0:3], 0 offen
	v_mov_b32_e32 v163, s14
	ds_read_b32 v163, v163
	v_add_u32_e32 v161, -1, v161
	s_add_i32 s14, s14, 4
	v_cmp_eq_u32_e32 vcc, 0, v161
	v_add_u32_e32 v160, 4, v160
	s_or_b64 s[6:7], vcc, s[6:7]
	s_waitcnt vmcnt(0) lgkmcnt(0)
	v_fmac_f32_e32 v159, v162, v163
	s_andn2_b64 exec, exec, s[6:7]
	s_cbranch_execnz .LBB126_33
; %bb.34:
	s_or_b64 exec, exec, s[6:7]
.LBB126_35:
	s_or_b64 exec, exec, s[12:13]
	v_mov_b32_e32 v160, 0
	ds_read_b32 v160, v160 offset:232
	s_waitcnt lgkmcnt(0)
	v_mul_f32_e32 v159, v159, v160
	buffer_store_dword v159, off, s[0:3], 0 offset:232
.LBB126_36:
	s_or_b64 exec, exec, s[8:9]
	buffer_load_dword v159, off, s[0:3], 0 offset:228
	v_cmp_lt_u32_e64 s[6:7], 57, v0
	s_waitcnt vmcnt(0)
	ds_write_b32 v128, v159
	s_waitcnt lgkmcnt(0)
	; wave barrier
	s_waitcnt lgkmcnt(0)
	s_and_saveexec_b64 s[8:9], s[6:7]
	s_cbranch_execz .LBB126_46
; %bb.37:
	s_andn2_b64 vcc, exec, s[10:11]
	s_cbranch_vccnz .LBB126_39
; %bb.38:
	buffer_load_dword v159, v129, s[0:3], 0 offen
	ds_read_b32 v160, v128
	s_waitcnt vmcnt(0) lgkmcnt(0)
	v_mul_f32_e32 v159, v159, v160
	s_cbranch_execz .LBB126_40
	s_branch .LBB126_41
.LBB126_39:
                                        ; implicit-def: $vgpr159
.LBB126_40:
	ds_read_b32 v159, v128
.LBB126_41:
	s_and_saveexec_b64 s[12:13], s[4:5]
	s_cbranch_execz .LBB126_45
; %bb.42:
	v_subrev_u32_e32 v160, 58, v0
	s_movk_i32 s14, 0x1e8
	s_mov_b64 s[4:5], 0
.LBB126_43:                             ; =>This Inner Loop Header: Depth=1
	buffer_load_dword v161, v158, s[0:3], 0 offen
	v_mov_b32_e32 v162, s14
	ds_read_b32 v162, v162
	v_add_u32_e32 v160, -1, v160
	s_add_i32 s14, s14, 4
	v_cmp_eq_u32_e32 vcc, 0, v160
	v_add_u32_e32 v158, 4, v158
	s_or_b64 s[4:5], vcc, s[4:5]
	s_waitcnt vmcnt(0) lgkmcnt(0)
	v_fmac_f32_e32 v159, v161, v162
	s_andn2_b64 exec, exec, s[4:5]
	s_cbranch_execnz .LBB126_43
; %bb.44:
	s_or_b64 exec, exec, s[4:5]
.LBB126_45:
	s_or_b64 exec, exec, s[12:13]
	v_mov_b32_e32 v158, 0
	ds_read_b32 v158, v158 offset:228
	s_waitcnt lgkmcnt(0)
	v_mul_f32_e32 v158, v159, v158
	buffer_store_dword v158, off, s[0:3], 0 offset:228
.LBB126_46:
	s_or_b64 exec, exec, s[8:9]
	buffer_load_dword v158, off, s[0:3], 0 offset:224
	v_cmp_lt_u32_e64 s[4:5], 56, v0
	s_waitcnt vmcnt(0)
	ds_write_b32 v128, v158
	s_waitcnt lgkmcnt(0)
	; wave barrier
	s_waitcnt lgkmcnt(0)
	s_and_saveexec_b64 s[8:9], s[4:5]
	s_cbranch_execz .LBB126_56
; %bb.47:
	s_andn2_b64 vcc, exec, s[10:11]
	s_cbranch_vccnz .LBB126_49
; %bb.48:
	buffer_load_dword v158, v129, s[0:3], 0 offen
	ds_read_b32 v159, v128
	s_waitcnt vmcnt(0) lgkmcnt(0)
	v_mul_f32_e32 v158, v158, v159
	s_cbranch_execz .LBB126_50
	s_branch .LBB126_51
.LBB126_49:
                                        ; implicit-def: $vgpr158
.LBB126_50:
	ds_read_b32 v158, v128
.LBB126_51:
	s_and_saveexec_b64 s[12:13], s[6:7]
	s_cbranch_execz .LBB126_55
; %bb.52:
	v_mov_b32_e32 v159, 0
	v_add_u32_e32 v159, 0xe4, v159
	v_subrev_u32_e32 v160, 57, v0
	s_movk_i32 s14, 0x1e4
	s_mov_b64 s[6:7], 0
.LBB126_53:                             ; =>This Inner Loop Header: Depth=1
	buffer_load_dword v161, v159, s[0:3], 0 offen
	v_mov_b32_e32 v162, s14
	ds_read_b32 v162, v162
	v_add_u32_e32 v160, -1, v160
	s_add_i32 s14, s14, 4
	v_cmp_eq_u32_e32 vcc, 0, v160
	v_add_u32_e32 v159, 4, v159
	s_or_b64 s[6:7], vcc, s[6:7]
	s_waitcnt vmcnt(0) lgkmcnt(0)
	v_fmac_f32_e32 v158, v161, v162
	s_andn2_b64 exec, exec, s[6:7]
	s_cbranch_execnz .LBB126_53
; %bb.54:
	s_or_b64 exec, exec, s[6:7]
.LBB126_55:
	s_or_b64 exec, exec, s[12:13]
	v_mov_b32_e32 v159, 0
	ds_read_b32 v159, v159 offset:224
	s_waitcnt lgkmcnt(0)
	v_mul_f32_e32 v158, v158, v159
	buffer_store_dword v158, off, s[0:3], 0 offset:224
.LBB126_56:
	s_or_b64 exec, exec, s[8:9]
	buffer_load_dword v158, off, s[0:3], 0 offset:220
	v_cmp_lt_u32_e64 s[6:7], 55, v0
	s_waitcnt vmcnt(0)
	ds_write_b32 v128, v158
	s_waitcnt lgkmcnt(0)
	; wave barrier
	s_waitcnt lgkmcnt(0)
	s_and_saveexec_b64 s[8:9], s[6:7]
	s_cbranch_execz .LBB126_66
; %bb.57:
	s_andn2_b64 vcc, exec, s[10:11]
	s_cbranch_vccnz .LBB126_59
; %bb.58:
	buffer_load_dword v158, v129, s[0:3], 0 offen
	ds_read_b32 v159, v128
	s_waitcnt vmcnt(0) lgkmcnt(0)
	v_mul_f32_e32 v158, v158, v159
	s_cbranch_execz .LBB126_60
	s_branch .LBB126_61
.LBB126_59:
                                        ; implicit-def: $vgpr158
.LBB126_60:
	ds_read_b32 v158, v128
.LBB126_61:
	s_and_saveexec_b64 s[12:13], s[4:5]
	s_cbranch_execz .LBB126_65
; %bb.62:
	v_subrev_u32_e32 v159, 56, v0
	s_movk_i32 s14, 0x1e0
	s_mov_b64 s[4:5], 0
.LBB126_63:                             ; =>This Inner Loop Header: Depth=1
	buffer_load_dword v160, v157, s[0:3], 0 offen
	v_mov_b32_e32 v161, s14
	ds_read_b32 v161, v161
	v_add_u32_e32 v159, -1, v159
	s_add_i32 s14, s14, 4
	v_cmp_eq_u32_e32 vcc, 0, v159
	v_add_u32_e32 v157, 4, v157
	s_or_b64 s[4:5], vcc, s[4:5]
	s_waitcnt vmcnt(0) lgkmcnt(0)
	v_fmac_f32_e32 v158, v160, v161
	s_andn2_b64 exec, exec, s[4:5]
	s_cbranch_execnz .LBB126_63
; %bb.64:
	s_or_b64 exec, exec, s[4:5]
.LBB126_65:
	s_or_b64 exec, exec, s[12:13]
	v_mov_b32_e32 v157, 0
	ds_read_b32 v157, v157 offset:220
	s_waitcnt lgkmcnt(0)
	v_mul_f32_e32 v157, v158, v157
	buffer_store_dword v157, off, s[0:3], 0 offset:220
.LBB126_66:
	s_or_b64 exec, exec, s[8:9]
	buffer_load_dword v157, off, s[0:3], 0 offset:216
	v_cmp_lt_u32_e64 s[4:5], 54, v0
	s_waitcnt vmcnt(0)
	ds_write_b32 v128, v157
	s_waitcnt lgkmcnt(0)
	; wave barrier
	s_waitcnt lgkmcnt(0)
	s_and_saveexec_b64 s[8:9], s[4:5]
	s_cbranch_execz .LBB126_76
; %bb.67:
	s_andn2_b64 vcc, exec, s[10:11]
	s_cbranch_vccnz .LBB126_69
; %bb.68:
	buffer_load_dword v157, v129, s[0:3], 0 offen
	ds_read_b32 v158, v128
	s_waitcnt vmcnt(0) lgkmcnt(0)
	v_mul_f32_e32 v157, v157, v158
	s_cbranch_execz .LBB126_70
	s_branch .LBB126_71
.LBB126_69:
                                        ; implicit-def: $vgpr157
.LBB126_70:
	ds_read_b32 v157, v128
.LBB126_71:
	s_and_saveexec_b64 s[12:13], s[6:7]
	s_cbranch_execz .LBB126_75
; %bb.72:
	v_mov_b32_e32 v158, 0
	v_add_u32_e32 v158, 0xdc, v158
	v_subrev_u32_e32 v159, 55, v0
	s_movk_i32 s14, 0x1dc
	s_mov_b64 s[6:7], 0
.LBB126_73:                             ; =>This Inner Loop Header: Depth=1
	buffer_load_dword v160, v158, s[0:3], 0 offen
	v_mov_b32_e32 v161, s14
	ds_read_b32 v161, v161
	v_add_u32_e32 v159, -1, v159
	s_add_i32 s14, s14, 4
	v_cmp_eq_u32_e32 vcc, 0, v159
	v_add_u32_e32 v158, 4, v158
	s_or_b64 s[6:7], vcc, s[6:7]
	s_waitcnt vmcnt(0) lgkmcnt(0)
	v_fmac_f32_e32 v157, v160, v161
	s_andn2_b64 exec, exec, s[6:7]
	s_cbranch_execnz .LBB126_73
; %bb.74:
	s_or_b64 exec, exec, s[6:7]
.LBB126_75:
	s_or_b64 exec, exec, s[12:13]
	v_mov_b32_e32 v158, 0
	ds_read_b32 v158, v158 offset:216
	s_waitcnt lgkmcnt(0)
	v_mul_f32_e32 v157, v157, v158
	buffer_store_dword v157, off, s[0:3], 0 offset:216
.LBB126_76:
	s_or_b64 exec, exec, s[8:9]
	buffer_load_dword v157, off, s[0:3], 0 offset:212
	v_cmp_lt_u32_e64 s[6:7], 53, v0
	s_waitcnt vmcnt(0)
	ds_write_b32 v128, v157
	s_waitcnt lgkmcnt(0)
	; wave barrier
	s_waitcnt lgkmcnt(0)
	s_and_saveexec_b64 s[8:9], s[6:7]
	s_cbranch_execz .LBB126_86
; %bb.77:
	s_andn2_b64 vcc, exec, s[10:11]
	s_cbranch_vccnz .LBB126_79
; %bb.78:
	buffer_load_dword v157, v129, s[0:3], 0 offen
	ds_read_b32 v158, v128
	s_waitcnt vmcnt(0) lgkmcnt(0)
	v_mul_f32_e32 v157, v157, v158
	s_cbranch_execz .LBB126_80
	s_branch .LBB126_81
.LBB126_79:
                                        ; implicit-def: $vgpr157
.LBB126_80:
	ds_read_b32 v157, v128
.LBB126_81:
	s_and_saveexec_b64 s[12:13], s[4:5]
	s_cbranch_execz .LBB126_85
; %bb.82:
	v_subrev_u32_e32 v158, 54, v0
	s_movk_i32 s14, 0x1d8
	s_mov_b64 s[4:5], 0
.LBB126_83:                             ; =>This Inner Loop Header: Depth=1
	buffer_load_dword v159, v156, s[0:3], 0 offen
	v_mov_b32_e32 v160, s14
	ds_read_b32 v160, v160
	v_add_u32_e32 v158, -1, v158
	s_add_i32 s14, s14, 4
	v_cmp_eq_u32_e32 vcc, 0, v158
	v_add_u32_e32 v156, 4, v156
	s_or_b64 s[4:5], vcc, s[4:5]
	s_waitcnt vmcnt(0) lgkmcnt(0)
	v_fmac_f32_e32 v157, v159, v160
	s_andn2_b64 exec, exec, s[4:5]
	s_cbranch_execnz .LBB126_83
; %bb.84:
	s_or_b64 exec, exec, s[4:5]
.LBB126_85:
	s_or_b64 exec, exec, s[12:13]
	v_mov_b32_e32 v156, 0
	ds_read_b32 v156, v156 offset:212
	s_waitcnt lgkmcnt(0)
	v_mul_f32_e32 v156, v157, v156
	buffer_store_dword v156, off, s[0:3], 0 offset:212
.LBB126_86:
	s_or_b64 exec, exec, s[8:9]
	buffer_load_dword v156, off, s[0:3], 0 offset:208
	v_cmp_lt_u32_e64 s[4:5], 52, v0
	s_waitcnt vmcnt(0)
	ds_write_b32 v128, v156
	s_waitcnt lgkmcnt(0)
	; wave barrier
	s_waitcnt lgkmcnt(0)
	s_and_saveexec_b64 s[8:9], s[4:5]
	s_cbranch_execz .LBB126_96
; %bb.87:
	s_andn2_b64 vcc, exec, s[10:11]
	s_cbranch_vccnz .LBB126_89
; %bb.88:
	buffer_load_dword v156, v129, s[0:3], 0 offen
	ds_read_b32 v157, v128
	s_waitcnt vmcnt(0) lgkmcnt(0)
	v_mul_f32_e32 v156, v156, v157
	s_cbranch_execz .LBB126_90
	s_branch .LBB126_91
.LBB126_89:
                                        ; implicit-def: $vgpr156
.LBB126_90:
	ds_read_b32 v156, v128
.LBB126_91:
	s_and_saveexec_b64 s[12:13], s[6:7]
	s_cbranch_execz .LBB126_95
; %bb.92:
	v_mov_b32_e32 v157, 0
	v_add_u32_e32 v157, 0xd4, v157
	v_subrev_u32_e32 v158, 53, v0
	s_movk_i32 s14, 0x1d4
	s_mov_b64 s[6:7], 0
.LBB126_93:                             ; =>This Inner Loop Header: Depth=1
	buffer_load_dword v159, v157, s[0:3], 0 offen
	v_mov_b32_e32 v160, s14
	ds_read_b32 v160, v160
	v_add_u32_e32 v158, -1, v158
	s_add_i32 s14, s14, 4
	v_cmp_eq_u32_e32 vcc, 0, v158
	v_add_u32_e32 v157, 4, v157
	s_or_b64 s[6:7], vcc, s[6:7]
	s_waitcnt vmcnt(0) lgkmcnt(0)
	v_fmac_f32_e32 v156, v159, v160
	s_andn2_b64 exec, exec, s[6:7]
	s_cbranch_execnz .LBB126_93
; %bb.94:
	s_or_b64 exec, exec, s[6:7]
.LBB126_95:
	s_or_b64 exec, exec, s[12:13]
	v_mov_b32_e32 v157, 0
	ds_read_b32 v157, v157 offset:208
	s_waitcnt lgkmcnt(0)
	v_mul_f32_e32 v156, v156, v157
	buffer_store_dword v156, off, s[0:3], 0 offset:208
.LBB126_96:
	s_or_b64 exec, exec, s[8:9]
	buffer_load_dword v156, off, s[0:3], 0 offset:204
	v_cmp_lt_u32_e64 s[6:7], 51, v0
	s_waitcnt vmcnt(0)
	ds_write_b32 v128, v156
	s_waitcnt lgkmcnt(0)
	; wave barrier
	s_waitcnt lgkmcnt(0)
	s_and_saveexec_b64 s[8:9], s[6:7]
	s_cbranch_execz .LBB126_106
; %bb.97:
	s_andn2_b64 vcc, exec, s[10:11]
	s_cbranch_vccnz .LBB126_99
; %bb.98:
	buffer_load_dword v156, v129, s[0:3], 0 offen
	ds_read_b32 v157, v128
	s_waitcnt vmcnt(0) lgkmcnt(0)
	v_mul_f32_e32 v156, v156, v157
	s_cbranch_execz .LBB126_100
	s_branch .LBB126_101
.LBB126_99:
                                        ; implicit-def: $vgpr156
.LBB126_100:
	ds_read_b32 v156, v128
.LBB126_101:
	s_and_saveexec_b64 s[12:13], s[4:5]
	s_cbranch_execz .LBB126_105
; %bb.102:
	v_subrev_u32_e32 v157, 52, v0
	s_movk_i32 s14, 0x1d0
	s_mov_b64 s[4:5], 0
.LBB126_103:                            ; =>This Inner Loop Header: Depth=1
	buffer_load_dword v158, v155, s[0:3], 0 offen
	v_mov_b32_e32 v159, s14
	ds_read_b32 v159, v159
	v_add_u32_e32 v157, -1, v157
	s_add_i32 s14, s14, 4
	v_cmp_eq_u32_e32 vcc, 0, v157
	v_add_u32_e32 v155, 4, v155
	s_or_b64 s[4:5], vcc, s[4:5]
	s_waitcnt vmcnt(0) lgkmcnt(0)
	v_fmac_f32_e32 v156, v158, v159
	s_andn2_b64 exec, exec, s[4:5]
	s_cbranch_execnz .LBB126_103
; %bb.104:
	s_or_b64 exec, exec, s[4:5]
.LBB126_105:
	s_or_b64 exec, exec, s[12:13]
	v_mov_b32_e32 v155, 0
	ds_read_b32 v155, v155 offset:204
	s_waitcnt lgkmcnt(0)
	v_mul_f32_e32 v155, v156, v155
	buffer_store_dword v155, off, s[0:3], 0 offset:204
.LBB126_106:
	s_or_b64 exec, exec, s[8:9]
	buffer_load_dword v155, off, s[0:3], 0 offset:200
	v_cmp_lt_u32_e64 s[4:5], 50, v0
	s_waitcnt vmcnt(0)
	ds_write_b32 v128, v155
	s_waitcnt lgkmcnt(0)
	; wave barrier
	s_waitcnt lgkmcnt(0)
	s_and_saveexec_b64 s[8:9], s[4:5]
	s_cbranch_execz .LBB126_116
; %bb.107:
	s_andn2_b64 vcc, exec, s[10:11]
	s_cbranch_vccnz .LBB126_109
; %bb.108:
	buffer_load_dword v155, v129, s[0:3], 0 offen
	ds_read_b32 v156, v128
	s_waitcnt vmcnt(0) lgkmcnt(0)
	v_mul_f32_e32 v155, v155, v156
	s_cbranch_execz .LBB126_110
	s_branch .LBB126_111
.LBB126_109:
                                        ; implicit-def: $vgpr155
.LBB126_110:
	ds_read_b32 v155, v128
.LBB126_111:
	s_and_saveexec_b64 s[12:13], s[6:7]
	s_cbranch_execz .LBB126_115
; %bb.112:
	v_mov_b32_e32 v156, 0
	v_add_u32_e32 v156, 0xcc, v156
	v_subrev_u32_e32 v157, 51, v0
	s_movk_i32 s14, 0x1cc
	s_mov_b64 s[6:7], 0
.LBB126_113:                            ; =>This Inner Loop Header: Depth=1
	buffer_load_dword v158, v156, s[0:3], 0 offen
	v_mov_b32_e32 v159, s14
	ds_read_b32 v159, v159
	v_add_u32_e32 v157, -1, v157
	s_add_i32 s14, s14, 4
	v_cmp_eq_u32_e32 vcc, 0, v157
	v_add_u32_e32 v156, 4, v156
	s_or_b64 s[6:7], vcc, s[6:7]
	s_waitcnt vmcnt(0) lgkmcnt(0)
	v_fmac_f32_e32 v155, v158, v159
	s_andn2_b64 exec, exec, s[6:7]
	s_cbranch_execnz .LBB126_113
; %bb.114:
	s_or_b64 exec, exec, s[6:7]
.LBB126_115:
	s_or_b64 exec, exec, s[12:13]
	v_mov_b32_e32 v156, 0
	ds_read_b32 v156, v156 offset:200
	s_waitcnt lgkmcnt(0)
	v_mul_f32_e32 v155, v155, v156
	buffer_store_dword v155, off, s[0:3], 0 offset:200
.LBB126_116:
	s_or_b64 exec, exec, s[8:9]
	buffer_load_dword v155, off, s[0:3], 0 offset:196
	v_cmp_lt_u32_e64 s[6:7], 49, v0
	s_waitcnt vmcnt(0)
	ds_write_b32 v128, v155
	s_waitcnt lgkmcnt(0)
	; wave barrier
	s_waitcnt lgkmcnt(0)
	s_and_saveexec_b64 s[8:9], s[6:7]
	s_cbranch_execz .LBB126_126
; %bb.117:
	s_andn2_b64 vcc, exec, s[10:11]
	s_cbranch_vccnz .LBB126_119
; %bb.118:
	buffer_load_dword v155, v129, s[0:3], 0 offen
	ds_read_b32 v156, v128
	s_waitcnt vmcnt(0) lgkmcnt(0)
	v_mul_f32_e32 v155, v155, v156
	s_cbranch_execz .LBB126_120
	s_branch .LBB126_121
.LBB126_119:
                                        ; implicit-def: $vgpr155
.LBB126_120:
	ds_read_b32 v155, v128
.LBB126_121:
	s_and_saveexec_b64 s[12:13], s[4:5]
	s_cbranch_execz .LBB126_125
; %bb.122:
	v_subrev_u32_e32 v156, 50, v0
	s_movk_i32 s14, 0x1c8
	s_mov_b64 s[4:5], 0
.LBB126_123:                            ; =>This Inner Loop Header: Depth=1
	buffer_load_dword v157, v154, s[0:3], 0 offen
	v_mov_b32_e32 v158, s14
	ds_read_b32 v158, v158
	v_add_u32_e32 v156, -1, v156
	s_add_i32 s14, s14, 4
	v_cmp_eq_u32_e32 vcc, 0, v156
	v_add_u32_e32 v154, 4, v154
	s_or_b64 s[4:5], vcc, s[4:5]
	s_waitcnt vmcnt(0) lgkmcnt(0)
	v_fmac_f32_e32 v155, v157, v158
	s_andn2_b64 exec, exec, s[4:5]
	s_cbranch_execnz .LBB126_123
; %bb.124:
	s_or_b64 exec, exec, s[4:5]
.LBB126_125:
	s_or_b64 exec, exec, s[12:13]
	v_mov_b32_e32 v154, 0
	ds_read_b32 v154, v154 offset:196
	s_waitcnt lgkmcnt(0)
	v_mul_f32_e32 v154, v155, v154
	buffer_store_dword v154, off, s[0:3], 0 offset:196
.LBB126_126:
	s_or_b64 exec, exec, s[8:9]
	buffer_load_dword v154, off, s[0:3], 0 offset:192
	v_cmp_lt_u32_e64 s[4:5], 48, v0
	s_waitcnt vmcnt(0)
	ds_write_b32 v128, v154
	s_waitcnt lgkmcnt(0)
	; wave barrier
	s_waitcnt lgkmcnt(0)
	s_and_saveexec_b64 s[8:9], s[4:5]
	s_cbranch_execz .LBB126_136
; %bb.127:
	s_andn2_b64 vcc, exec, s[10:11]
	s_cbranch_vccnz .LBB126_129
; %bb.128:
	buffer_load_dword v154, v129, s[0:3], 0 offen
	ds_read_b32 v155, v128
	s_waitcnt vmcnt(0) lgkmcnt(0)
	v_mul_f32_e32 v154, v154, v155
	s_cbranch_execz .LBB126_130
	s_branch .LBB126_131
.LBB126_129:
                                        ; implicit-def: $vgpr154
.LBB126_130:
	ds_read_b32 v154, v128
.LBB126_131:
	s_and_saveexec_b64 s[12:13], s[6:7]
	s_cbranch_execz .LBB126_135
; %bb.132:
	v_mov_b32_e32 v155, 0
	v_add_u32_e32 v155, 0xc4, v155
	v_subrev_u32_e32 v156, 49, v0
	s_movk_i32 s14, 0x1c4
	s_mov_b64 s[6:7], 0
.LBB126_133:                            ; =>This Inner Loop Header: Depth=1
	buffer_load_dword v157, v155, s[0:3], 0 offen
	v_mov_b32_e32 v158, s14
	ds_read_b32 v158, v158
	v_add_u32_e32 v156, -1, v156
	s_add_i32 s14, s14, 4
	v_cmp_eq_u32_e32 vcc, 0, v156
	v_add_u32_e32 v155, 4, v155
	s_or_b64 s[6:7], vcc, s[6:7]
	s_waitcnt vmcnt(0) lgkmcnt(0)
	v_fmac_f32_e32 v154, v157, v158
	s_andn2_b64 exec, exec, s[6:7]
	s_cbranch_execnz .LBB126_133
; %bb.134:
	s_or_b64 exec, exec, s[6:7]
.LBB126_135:
	s_or_b64 exec, exec, s[12:13]
	v_mov_b32_e32 v155, 0
	ds_read_b32 v155, v155 offset:192
	s_waitcnt lgkmcnt(0)
	v_mul_f32_e32 v154, v154, v155
	buffer_store_dword v154, off, s[0:3], 0 offset:192
.LBB126_136:
	s_or_b64 exec, exec, s[8:9]
	buffer_load_dword v154, off, s[0:3], 0 offset:188
	v_cmp_lt_u32_e64 s[6:7], 47, v0
	s_waitcnt vmcnt(0)
	ds_write_b32 v128, v154
	s_waitcnt lgkmcnt(0)
	; wave barrier
	s_waitcnt lgkmcnt(0)
	s_and_saveexec_b64 s[8:9], s[6:7]
	s_cbranch_execz .LBB126_146
; %bb.137:
	s_andn2_b64 vcc, exec, s[10:11]
	s_cbranch_vccnz .LBB126_139
; %bb.138:
	buffer_load_dword v154, v129, s[0:3], 0 offen
	ds_read_b32 v155, v128
	s_waitcnt vmcnt(0) lgkmcnt(0)
	v_mul_f32_e32 v154, v154, v155
	s_cbranch_execz .LBB126_140
	s_branch .LBB126_141
.LBB126_139:
                                        ; implicit-def: $vgpr154
.LBB126_140:
	ds_read_b32 v154, v128
.LBB126_141:
	s_and_saveexec_b64 s[12:13], s[4:5]
	s_cbranch_execz .LBB126_145
; %bb.142:
	v_subrev_u32_e32 v155, 48, v0
	s_movk_i32 s14, 0x1c0
	s_mov_b64 s[4:5], 0
.LBB126_143:                            ; =>This Inner Loop Header: Depth=1
	buffer_load_dword v156, v153, s[0:3], 0 offen
	v_mov_b32_e32 v157, s14
	ds_read_b32 v157, v157
	v_add_u32_e32 v155, -1, v155
	s_add_i32 s14, s14, 4
	v_cmp_eq_u32_e32 vcc, 0, v155
	v_add_u32_e32 v153, 4, v153
	s_or_b64 s[4:5], vcc, s[4:5]
	s_waitcnt vmcnt(0) lgkmcnt(0)
	v_fmac_f32_e32 v154, v156, v157
	s_andn2_b64 exec, exec, s[4:5]
	s_cbranch_execnz .LBB126_143
; %bb.144:
	s_or_b64 exec, exec, s[4:5]
.LBB126_145:
	s_or_b64 exec, exec, s[12:13]
	v_mov_b32_e32 v153, 0
	ds_read_b32 v153, v153 offset:188
	s_waitcnt lgkmcnt(0)
	v_mul_f32_e32 v153, v154, v153
	buffer_store_dword v153, off, s[0:3], 0 offset:188
.LBB126_146:
	s_or_b64 exec, exec, s[8:9]
	buffer_load_dword v153, off, s[0:3], 0 offset:184
	v_cmp_lt_u32_e64 s[4:5], 46, v0
	s_waitcnt vmcnt(0)
	ds_write_b32 v128, v153
	s_waitcnt lgkmcnt(0)
	; wave barrier
	s_waitcnt lgkmcnt(0)
	s_and_saveexec_b64 s[8:9], s[4:5]
	s_cbranch_execz .LBB126_156
; %bb.147:
	s_andn2_b64 vcc, exec, s[10:11]
	s_cbranch_vccnz .LBB126_149
; %bb.148:
	buffer_load_dword v153, v129, s[0:3], 0 offen
	ds_read_b32 v154, v128
	s_waitcnt vmcnt(0) lgkmcnt(0)
	v_mul_f32_e32 v153, v153, v154
	s_cbranch_execz .LBB126_150
	s_branch .LBB126_151
.LBB126_149:
                                        ; implicit-def: $vgpr153
.LBB126_150:
	ds_read_b32 v153, v128
.LBB126_151:
	s_and_saveexec_b64 s[12:13], s[6:7]
	s_cbranch_execz .LBB126_155
; %bb.152:
	v_mov_b32_e32 v154, 0
	v_add_u32_e32 v154, 0xbc, v154
	v_subrev_u32_e32 v155, 47, v0
	s_movk_i32 s14, 0x1bc
	s_mov_b64 s[6:7], 0
.LBB126_153:                            ; =>This Inner Loop Header: Depth=1
	buffer_load_dword v156, v154, s[0:3], 0 offen
	v_mov_b32_e32 v157, s14
	ds_read_b32 v157, v157
	v_add_u32_e32 v155, -1, v155
	s_add_i32 s14, s14, 4
	v_cmp_eq_u32_e32 vcc, 0, v155
	v_add_u32_e32 v154, 4, v154
	s_or_b64 s[6:7], vcc, s[6:7]
	s_waitcnt vmcnt(0) lgkmcnt(0)
	v_fmac_f32_e32 v153, v156, v157
	s_andn2_b64 exec, exec, s[6:7]
	s_cbranch_execnz .LBB126_153
; %bb.154:
	s_or_b64 exec, exec, s[6:7]
.LBB126_155:
	s_or_b64 exec, exec, s[12:13]
	v_mov_b32_e32 v154, 0
	ds_read_b32 v154, v154 offset:184
	s_waitcnt lgkmcnt(0)
	v_mul_f32_e32 v153, v153, v154
	buffer_store_dword v153, off, s[0:3], 0 offset:184
.LBB126_156:
	s_or_b64 exec, exec, s[8:9]
	buffer_load_dword v153, off, s[0:3], 0 offset:180
	v_cmp_lt_u32_e64 s[6:7], 45, v0
	s_waitcnt vmcnt(0)
	ds_write_b32 v128, v153
	s_waitcnt lgkmcnt(0)
	; wave barrier
	s_waitcnt lgkmcnt(0)
	s_and_saveexec_b64 s[8:9], s[6:7]
	s_cbranch_execz .LBB126_166
; %bb.157:
	s_andn2_b64 vcc, exec, s[10:11]
	s_cbranch_vccnz .LBB126_159
; %bb.158:
	buffer_load_dword v153, v129, s[0:3], 0 offen
	ds_read_b32 v154, v128
	s_waitcnt vmcnt(0) lgkmcnt(0)
	v_mul_f32_e32 v153, v153, v154
	s_cbranch_execz .LBB126_160
	s_branch .LBB126_161
.LBB126_159:
                                        ; implicit-def: $vgpr153
.LBB126_160:
	ds_read_b32 v153, v128
.LBB126_161:
	s_and_saveexec_b64 s[12:13], s[4:5]
	s_cbranch_execz .LBB126_165
; %bb.162:
	v_subrev_u32_e32 v154, 46, v0
	s_movk_i32 s14, 0x1b8
	s_mov_b64 s[4:5], 0
.LBB126_163:                            ; =>This Inner Loop Header: Depth=1
	buffer_load_dword v155, v152, s[0:3], 0 offen
	v_mov_b32_e32 v156, s14
	ds_read_b32 v156, v156
	v_add_u32_e32 v154, -1, v154
	s_add_i32 s14, s14, 4
	v_cmp_eq_u32_e32 vcc, 0, v154
	v_add_u32_e32 v152, 4, v152
	s_or_b64 s[4:5], vcc, s[4:5]
	s_waitcnt vmcnt(0) lgkmcnt(0)
	v_fmac_f32_e32 v153, v155, v156
	s_andn2_b64 exec, exec, s[4:5]
	s_cbranch_execnz .LBB126_163
; %bb.164:
	s_or_b64 exec, exec, s[4:5]
.LBB126_165:
	s_or_b64 exec, exec, s[12:13]
	v_mov_b32_e32 v152, 0
	ds_read_b32 v152, v152 offset:180
	s_waitcnt lgkmcnt(0)
	v_mul_f32_e32 v152, v153, v152
	buffer_store_dword v152, off, s[0:3], 0 offset:180
.LBB126_166:
	s_or_b64 exec, exec, s[8:9]
	buffer_load_dword v152, off, s[0:3], 0 offset:176
	v_cmp_lt_u32_e64 s[4:5], 44, v0
	s_waitcnt vmcnt(0)
	ds_write_b32 v128, v152
	s_waitcnt lgkmcnt(0)
	; wave barrier
	s_waitcnt lgkmcnt(0)
	s_and_saveexec_b64 s[8:9], s[4:5]
	s_cbranch_execz .LBB126_176
; %bb.167:
	s_andn2_b64 vcc, exec, s[10:11]
	s_cbranch_vccnz .LBB126_169
; %bb.168:
	buffer_load_dword v152, v129, s[0:3], 0 offen
	ds_read_b32 v153, v128
	s_waitcnt vmcnt(0) lgkmcnt(0)
	v_mul_f32_e32 v152, v152, v153
	s_cbranch_execz .LBB126_170
	s_branch .LBB126_171
.LBB126_169:
                                        ; implicit-def: $vgpr152
.LBB126_170:
	ds_read_b32 v152, v128
.LBB126_171:
	s_and_saveexec_b64 s[12:13], s[6:7]
	s_cbranch_execz .LBB126_175
; %bb.172:
	v_mov_b32_e32 v153, 0
	v_add_u32_e32 v153, 0xb4, v153
	v_subrev_u32_e32 v154, 45, v0
	s_movk_i32 s14, 0x1b4
	s_mov_b64 s[6:7], 0
.LBB126_173:                            ; =>This Inner Loop Header: Depth=1
	buffer_load_dword v155, v153, s[0:3], 0 offen
	v_mov_b32_e32 v156, s14
	ds_read_b32 v156, v156
	v_add_u32_e32 v154, -1, v154
	s_add_i32 s14, s14, 4
	v_cmp_eq_u32_e32 vcc, 0, v154
	v_add_u32_e32 v153, 4, v153
	s_or_b64 s[6:7], vcc, s[6:7]
	s_waitcnt vmcnt(0) lgkmcnt(0)
	v_fmac_f32_e32 v152, v155, v156
	s_andn2_b64 exec, exec, s[6:7]
	s_cbranch_execnz .LBB126_173
; %bb.174:
	s_or_b64 exec, exec, s[6:7]
.LBB126_175:
	s_or_b64 exec, exec, s[12:13]
	v_mov_b32_e32 v153, 0
	ds_read_b32 v153, v153 offset:176
	s_waitcnt lgkmcnt(0)
	v_mul_f32_e32 v152, v152, v153
	buffer_store_dword v152, off, s[0:3], 0 offset:176
.LBB126_176:
	s_or_b64 exec, exec, s[8:9]
	buffer_load_dword v152, off, s[0:3], 0 offset:172
	v_cmp_lt_u32_e64 s[6:7], 43, v0
	s_waitcnt vmcnt(0)
	ds_write_b32 v128, v152
	s_waitcnt lgkmcnt(0)
	; wave barrier
	s_waitcnt lgkmcnt(0)
	s_and_saveexec_b64 s[8:9], s[6:7]
	s_cbranch_execz .LBB126_186
; %bb.177:
	s_andn2_b64 vcc, exec, s[10:11]
	s_cbranch_vccnz .LBB126_179
; %bb.178:
	buffer_load_dword v152, v129, s[0:3], 0 offen
	ds_read_b32 v153, v128
	s_waitcnt vmcnt(0) lgkmcnt(0)
	v_mul_f32_e32 v152, v152, v153
	s_cbranch_execz .LBB126_180
	s_branch .LBB126_181
.LBB126_179:
                                        ; implicit-def: $vgpr152
.LBB126_180:
	ds_read_b32 v152, v128
.LBB126_181:
	s_and_saveexec_b64 s[12:13], s[4:5]
	s_cbranch_execz .LBB126_185
; %bb.182:
	v_subrev_u32_e32 v153, 44, v0
	s_movk_i32 s14, 0x1b0
	s_mov_b64 s[4:5], 0
.LBB126_183:                            ; =>This Inner Loop Header: Depth=1
	buffer_load_dword v154, v151, s[0:3], 0 offen
	v_mov_b32_e32 v155, s14
	ds_read_b32 v155, v155
	v_add_u32_e32 v153, -1, v153
	s_add_i32 s14, s14, 4
	v_cmp_eq_u32_e32 vcc, 0, v153
	v_add_u32_e32 v151, 4, v151
	s_or_b64 s[4:5], vcc, s[4:5]
	s_waitcnt vmcnt(0) lgkmcnt(0)
	v_fmac_f32_e32 v152, v154, v155
	s_andn2_b64 exec, exec, s[4:5]
	s_cbranch_execnz .LBB126_183
; %bb.184:
	s_or_b64 exec, exec, s[4:5]
.LBB126_185:
	s_or_b64 exec, exec, s[12:13]
	v_mov_b32_e32 v151, 0
	ds_read_b32 v151, v151 offset:172
	s_waitcnt lgkmcnt(0)
	v_mul_f32_e32 v151, v152, v151
	buffer_store_dword v151, off, s[0:3], 0 offset:172
.LBB126_186:
	s_or_b64 exec, exec, s[8:9]
	buffer_load_dword v151, off, s[0:3], 0 offset:168
	v_cmp_lt_u32_e64 s[4:5], 42, v0
	s_waitcnt vmcnt(0)
	ds_write_b32 v128, v151
	s_waitcnt lgkmcnt(0)
	; wave barrier
	s_waitcnt lgkmcnt(0)
	s_and_saveexec_b64 s[8:9], s[4:5]
	s_cbranch_execz .LBB126_196
; %bb.187:
	s_andn2_b64 vcc, exec, s[10:11]
	s_cbranch_vccnz .LBB126_189
; %bb.188:
	buffer_load_dword v151, v129, s[0:3], 0 offen
	ds_read_b32 v152, v128
	s_waitcnt vmcnt(0) lgkmcnt(0)
	v_mul_f32_e32 v151, v151, v152
	s_cbranch_execz .LBB126_190
	s_branch .LBB126_191
.LBB126_189:
                                        ; implicit-def: $vgpr151
.LBB126_190:
	ds_read_b32 v151, v128
.LBB126_191:
	s_and_saveexec_b64 s[12:13], s[6:7]
	s_cbranch_execz .LBB126_195
; %bb.192:
	v_mov_b32_e32 v152, 0
	v_add_u32_e32 v152, 0xac, v152
	v_subrev_u32_e32 v153, 43, v0
	s_movk_i32 s14, 0x1ac
	s_mov_b64 s[6:7], 0
.LBB126_193:                            ; =>This Inner Loop Header: Depth=1
	buffer_load_dword v154, v152, s[0:3], 0 offen
	v_mov_b32_e32 v155, s14
	ds_read_b32 v155, v155
	v_add_u32_e32 v153, -1, v153
	s_add_i32 s14, s14, 4
	v_cmp_eq_u32_e32 vcc, 0, v153
	v_add_u32_e32 v152, 4, v152
	s_or_b64 s[6:7], vcc, s[6:7]
	s_waitcnt vmcnt(0) lgkmcnt(0)
	v_fmac_f32_e32 v151, v154, v155
	s_andn2_b64 exec, exec, s[6:7]
	s_cbranch_execnz .LBB126_193
; %bb.194:
	s_or_b64 exec, exec, s[6:7]
.LBB126_195:
	s_or_b64 exec, exec, s[12:13]
	v_mov_b32_e32 v152, 0
	ds_read_b32 v152, v152 offset:168
	s_waitcnt lgkmcnt(0)
	v_mul_f32_e32 v151, v151, v152
	buffer_store_dword v151, off, s[0:3], 0 offset:168
.LBB126_196:
	s_or_b64 exec, exec, s[8:9]
	buffer_load_dword v151, off, s[0:3], 0 offset:164
	v_cmp_lt_u32_e64 s[6:7], 41, v0
	s_waitcnt vmcnt(0)
	ds_write_b32 v128, v151
	s_waitcnt lgkmcnt(0)
	; wave barrier
	s_waitcnt lgkmcnt(0)
	s_and_saveexec_b64 s[8:9], s[6:7]
	s_cbranch_execz .LBB126_206
; %bb.197:
	s_andn2_b64 vcc, exec, s[10:11]
	s_cbranch_vccnz .LBB126_199
; %bb.198:
	buffer_load_dword v151, v129, s[0:3], 0 offen
	ds_read_b32 v152, v128
	s_waitcnt vmcnt(0) lgkmcnt(0)
	v_mul_f32_e32 v151, v151, v152
	s_cbranch_execz .LBB126_200
	s_branch .LBB126_201
.LBB126_199:
                                        ; implicit-def: $vgpr151
.LBB126_200:
	ds_read_b32 v151, v128
.LBB126_201:
	s_and_saveexec_b64 s[12:13], s[4:5]
	s_cbranch_execz .LBB126_205
; %bb.202:
	v_subrev_u32_e32 v152, 42, v0
	s_movk_i32 s14, 0x1a8
	s_mov_b64 s[4:5], 0
.LBB126_203:                            ; =>This Inner Loop Header: Depth=1
	buffer_load_dword v153, v150, s[0:3], 0 offen
	v_mov_b32_e32 v154, s14
	ds_read_b32 v154, v154
	v_add_u32_e32 v152, -1, v152
	s_add_i32 s14, s14, 4
	v_cmp_eq_u32_e32 vcc, 0, v152
	v_add_u32_e32 v150, 4, v150
	s_or_b64 s[4:5], vcc, s[4:5]
	s_waitcnt vmcnt(0) lgkmcnt(0)
	v_fmac_f32_e32 v151, v153, v154
	s_andn2_b64 exec, exec, s[4:5]
	s_cbranch_execnz .LBB126_203
; %bb.204:
	s_or_b64 exec, exec, s[4:5]
.LBB126_205:
	s_or_b64 exec, exec, s[12:13]
	v_mov_b32_e32 v150, 0
	ds_read_b32 v150, v150 offset:164
	s_waitcnt lgkmcnt(0)
	v_mul_f32_e32 v150, v151, v150
	buffer_store_dword v150, off, s[0:3], 0 offset:164
.LBB126_206:
	s_or_b64 exec, exec, s[8:9]
	buffer_load_dword v150, off, s[0:3], 0 offset:160
	v_cmp_lt_u32_e64 s[4:5], 40, v0
	s_waitcnt vmcnt(0)
	ds_write_b32 v128, v150
	s_waitcnt lgkmcnt(0)
	; wave barrier
	s_waitcnt lgkmcnt(0)
	s_and_saveexec_b64 s[8:9], s[4:5]
	s_cbranch_execz .LBB126_216
; %bb.207:
	s_andn2_b64 vcc, exec, s[10:11]
	s_cbranch_vccnz .LBB126_209
; %bb.208:
	buffer_load_dword v150, v129, s[0:3], 0 offen
	ds_read_b32 v151, v128
	s_waitcnt vmcnt(0) lgkmcnt(0)
	v_mul_f32_e32 v150, v150, v151
	s_cbranch_execz .LBB126_210
	s_branch .LBB126_211
.LBB126_209:
                                        ; implicit-def: $vgpr150
.LBB126_210:
	ds_read_b32 v150, v128
.LBB126_211:
	s_and_saveexec_b64 s[12:13], s[6:7]
	s_cbranch_execz .LBB126_215
; %bb.212:
	v_mov_b32_e32 v151, 0
	v_add_u32_e32 v151, 0xa4, v151
	v_subrev_u32_e32 v152, 41, v0
	s_movk_i32 s14, 0x1a4
	s_mov_b64 s[6:7], 0
.LBB126_213:                            ; =>This Inner Loop Header: Depth=1
	buffer_load_dword v153, v151, s[0:3], 0 offen
	v_mov_b32_e32 v154, s14
	ds_read_b32 v154, v154
	v_add_u32_e32 v152, -1, v152
	s_add_i32 s14, s14, 4
	v_cmp_eq_u32_e32 vcc, 0, v152
	v_add_u32_e32 v151, 4, v151
	s_or_b64 s[6:7], vcc, s[6:7]
	s_waitcnt vmcnt(0) lgkmcnt(0)
	v_fmac_f32_e32 v150, v153, v154
	s_andn2_b64 exec, exec, s[6:7]
	s_cbranch_execnz .LBB126_213
; %bb.214:
	s_or_b64 exec, exec, s[6:7]
.LBB126_215:
	s_or_b64 exec, exec, s[12:13]
	v_mov_b32_e32 v151, 0
	ds_read_b32 v151, v151 offset:160
	s_waitcnt lgkmcnt(0)
	v_mul_f32_e32 v150, v150, v151
	buffer_store_dword v150, off, s[0:3], 0 offset:160
.LBB126_216:
	s_or_b64 exec, exec, s[8:9]
	buffer_load_dword v150, off, s[0:3], 0 offset:156
	v_cmp_lt_u32_e64 s[6:7], 39, v0
	s_waitcnt vmcnt(0)
	ds_write_b32 v128, v150
	s_waitcnt lgkmcnt(0)
	; wave barrier
	s_waitcnt lgkmcnt(0)
	s_and_saveexec_b64 s[8:9], s[6:7]
	s_cbranch_execz .LBB126_226
; %bb.217:
	s_andn2_b64 vcc, exec, s[10:11]
	s_cbranch_vccnz .LBB126_219
; %bb.218:
	buffer_load_dword v150, v129, s[0:3], 0 offen
	ds_read_b32 v151, v128
	s_waitcnt vmcnt(0) lgkmcnt(0)
	v_mul_f32_e32 v150, v150, v151
	s_cbranch_execz .LBB126_220
	s_branch .LBB126_221
.LBB126_219:
                                        ; implicit-def: $vgpr150
.LBB126_220:
	ds_read_b32 v150, v128
.LBB126_221:
	s_and_saveexec_b64 s[12:13], s[4:5]
	s_cbranch_execz .LBB126_225
; %bb.222:
	v_subrev_u32_e32 v151, 40, v0
	s_movk_i32 s14, 0x1a0
	s_mov_b64 s[4:5], 0
.LBB126_223:                            ; =>This Inner Loop Header: Depth=1
	buffer_load_dword v152, v149, s[0:3], 0 offen
	v_mov_b32_e32 v153, s14
	ds_read_b32 v153, v153
	v_add_u32_e32 v151, -1, v151
	s_add_i32 s14, s14, 4
	v_cmp_eq_u32_e32 vcc, 0, v151
	v_add_u32_e32 v149, 4, v149
	s_or_b64 s[4:5], vcc, s[4:5]
	s_waitcnt vmcnt(0) lgkmcnt(0)
	v_fmac_f32_e32 v150, v152, v153
	s_andn2_b64 exec, exec, s[4:5]
	s_cbranch_execnz .LBB126_223
; %bb.224:
	s_or_b64 exec, exec, s[4:5]
.LBB126_225:
	s_or_b64 exec, exec, s[12:13]
	v_mov_b32_e32 v149, 0
	ds_read_b32 v149, v149 offset:156
	s_waitcnt lgkmcnt(0)
	v_mul_f32_e32 v149, v150, v149
	buffer_store_dword v149, off, s[0:3], 0 offset:156
.LBB126_226:
	s_or_b64 exec, exec, s[8:9]
	buffer_load_dword v149, off, s[0:3], 0 offset:152
	v_cmp_lt_u32_e64 s[4:5], 38, v0
	s_waitcnt vmcnt(0)
	ds_write_b32 v128, v149
	s_waitcnt lgkmcnt(0)
	; wave barrier
	s_waitcnt lgkmcnt(0)
	s_and_saveexec_b64 s[8:9], s[4:5]
	s_cbranch_execz .LBB126_236
; %bb.227:
	s_andn2_b64 vcc, exec, s[10:11]
	s_cbranch_vccnz .LBB126_229
; %bb.228:
	buffer_load_dword v149, v129, s[0:3], 0 offen
	ds_read_b32 v150, v128
	s_waitcnt vmcnt(0) lgkmcnt(0)
	v_mul_f32_e32 v149, v149, v150
	s_cbranch_execz .LBB126_230
	s_branch .LBB126_231
.LBB126_229:
                                        ; implicit-def: $vgpr149
.LBB126_230:
	ds_read_b32 v149, v128
.LBB126_231:
	s_and_saveexec_b64 s[12:13], s[6:7]
	s_cbranch_execz .LBB126_235
; %bb.232:
	v_mov_b32_e32 v150, 0
	v_add_u32_e32 v150, 0x9c, v150
	v_subrev_u32_e32 v151, 39, v0
	s_movk_i32 s14, 0x19c
	s_mov_b64 s[6:7], 0
.LBB126_233:                            ; =>This Inner Loop Header: Depth=1
	buffer_load_dword v152, v150, s[0:3], 0 offen
	v_mov_b32_e32 v153, s14
	ds_read_b32 v153, v153
	v_add_u32_e32 v151, -1, v151
	s_add_i32 s14, s14, 4
	v_cmp_eq_u32_e32 vcc, 0, v151
	v_add_u32_e32 v150, 4, v150
	s_or_b64 s[6:7], vcc, s[6:7]
	s_waitcnt vmcnt(0) lgkmcnt(0)
	v_fmac_f32_e32 v149, v152, v153
	s_andn2_b64 exec, exec, s[6:7]
	s_cbranch_execnz .LBB126_233
; %bb.234:
	s_or_b64 exec, exec, s[6:7]
.LBB126_235:
	s_or_b64 exec, exec, s[12:13]
	v_mov_b32_e32 v150, 0
	ds_read_b32 v150, v150 offset:152
	s_waitcnt lgkmcnt(0)
	v_mul_f32_e32 v149, v149, v150
	buffer_store_dword v149, off, s[0:3], 0 offset:152
.LBB126_236:
	s_or_b64 exec, exec, s[8:9]
	buffer_load_dword v149, off, s[0:3], 0 offset:148
	v_cmp_lt_u32_e64 s[6:7], 37, v0
	s_waitcnt vmcnt(0)
	ds_write_b32 v128, v149
	s_waitcnt lgkmcnt(0)
	; wave barrier
	s_waitcnt lgkmcnt(0)
	s_and_saveexec_b64 s[8:9], s[6:7]
	s_cbranch_execz .LBB126_246
; %bb.237:
	s_andn2_b64 vcc, exec, s[10:11]
	s_cbranch_vccnz .LBB126_239
; %bb.238:
	buffer_load_dword v149, v129, s[0:3], 0 offen
	ds_read_b32 v150, v128
	s_waitcnt vmcnt(0) lgkmcnt(0)
	v_mul_f32_e32 v149, v149, v150
	s_cbranch_execz .LBB126_240
	s_branch .LBB126_241
.LBB126_239:
                                        ; implicit-def: $vgpr149
.LBB126_240:
	ds_read_b32 v149, v128
.LBB126_241:
	s_and_saveexec_b64 s[12:13], s[4:5]
	s_cbranch_execz .LBB126_245
; %bb.242:
	v_subrev_u32_e32 v150, 38, v0
	s_movk_i32 s14, 0x198
	s_mov_b64 s[4:5], 0
.LBB126_243:                            ; =>This Inner Loop Header: Depth=1
	buffer_load_dword v151, v148, s[0:3], 0 offen
	v_mov_b32_e32 v152, s14
	ds_read_b32 v152, v152
	v_add_u32_e32 v150, -1, v150
	s_add_i32 s14, s14, 4
	v_cmp_eq_u32_e32 vcc, 0, v150
	v_add_u32_e32 v148, 4, v148
	s_or_b64 s[4:5], vcc, s[4:5]
	s_waitcnt vmcnt(0) lgkmcnt(0)
	v_fmac_f32_e32 v149, v151, v152
	s_andn2_b64 exec, exec, s[4:5]
	s_cbranch_execnz .LBB126_243
; %bb.244:
	s_or_b64 exec, exec, s[4:5]
.LBB126_245:
	s_or_b64 exec, exec, s[12:13]
	v_mov_b32_e32 v148, 0
	ds_read_b32 v148, v148 offset:148
	s_waitcnt lgkmcnt(0)
	v_mul_f32_e32 v148, v149, v148
	buffer_store_dword v148, off, s[0:3], 0 offset:148
.LBB126_246:
	s_or_b64 exec, exec, s[8:9]
	buffer_load_dword v148, off, s[0:3], 0 offset:144
	v_cmp_lt_u32_e64 s[4:5], 36, v0
	s_waitcnt vmcnt(0)
	ds_write_b32 v128, v148
	s_waitcnt lgkmcnt(0)
	; wave barrier
	s_waitcnt lgkmcnt(0)
	s_and_saveexec_b64 s[8:9], s[4:5]
	s_cbranch_execz .LBB126_256
; %bb.247:
	s_andn2_b64 vcc, exec, s[10:11]
	s_cbranch_vccnz .LBB126_249
; %bb.248:
	buffer_load_dword v148, v129, s[0:3], 0 offen
	ds_read_b32 v149, v128
	s_waitcnt vmcnt(0) lgkmcnt(0)
	v_mul_f32_e32 v148, v148, v149
	s_cbranch_execz .LBB126_250
	s_branch .LBB126_251
.LBB126_249:
                                        ; implicit-def: $vgpr148
.LBB126_250:
	ds_read_b32 v148, v128
.LBB126_251:
	s_and_saveexec_b64 s[12:13], s[6:7]
	s_cbranch_execz .LBB126_255
; %bb.252:
	v_mov_b32_e32 v149, 0
	v_add_u32_e32 v149, 0x94, v149
	v_subrev_u32_e32 v150, 37, v0
	s_movk_i32 s14, 0x194
	s_mov_b64 s[6:7], 0
.LBB126_253:                            ; =>This Inner Loop Header: Depth=1
	buffer_load_dword v151, v149, s[0:3], 0 offen
	v_mov_b32_e32 v152, s14
	ds_read_b32 v152, v152
	v_add_u32_e32 v150, -1, v150
	s_add_i32 s14, s14, 4
	v_cmp_eq_u32_e32 vcc, 0, v150
	v_add_u32_e32 v149, 4, v149
	s_or_b64 s[6:7], vcc, s[6:7]
	s_waitcnt vmcnt(0) lgkmcnt(0)
	v_fmac_f32_e32 v148, v151, v152
	s_andn2_b64 exec, exec, s[6:7]
	s_cbranch_execnz .LBB126_253
; %bb.254:
	s_or_b64 exec, exec, s[6:7]
.LBB126_255:
	s_or_b64 exec, exec, s[12:13]
	v_mov_b32_e32 v149, 0
	ds_read_b32 v149, v149 offset:144
	s_waitcnt lgkmcnt(0)
	v_mul_f32_e32 v148, v148, v149
	buffer_store_dword v148, off, s[0:3], 0 offset:144
.LBB126_256:
	s_or_b64 exec, exec, s[8:9]
	buffer_load_dword v148, off, s[0:3], 0 offset:140
	v_cmp_lt_u32_e64 s[6:7], 35, v0
	s_waitcnt vmcnt(0)
	ds_write_b32 v128, v148
	s_waitcnt lgkmcnt(0)
	; wave barrier
	s_waitcnt lgkmcnt(0)
	s_and_saveexec_b64 s[8:9], s[6:7]
	s_cbranch_execz .LBB126_266
; %bb.257:
	s_andn2_b64 vcc, exec, s[10:11]
	s_cbranch_vccnz .LBB126_259
; %bb.258:
	buffer_load_dword v148, v129, s[0:3], 0 offen
	ds_read_b32 v149, v128
	s_waitcnt vmcnt(0) lgkmcnt(0)
	v_mul_f32_e32 v148, v148, v149
	s_cbranch_execz .LBB126_260
	s_branch .LBB126_261
.LBB126_259:
                                        ; implicit-def: $vgpr148
.LBB126_260:
	ds_read_b32 v148, v128
.LBB126_261:
	s_and_saveexec_b64 s[12:13], s[4:5]
	s_cbranch_execz .LBB126_265
; %bb.262:
	v_subrev_u32_e32 v149, 36, v0
	s_movk_i32 s14, 0x190
	s_mov_b64 s[4:5], 0
.LBB126_263:                            ; =>This Inner Loop Header: Depth=1
	buffer_load_dword v150, v147, s[0:3], 0 offen
	v_mov_b32_e32 v151, s14
	ds_read_b32 v151, v151
	v_add_u32_e32 v149, -1, v149
	s_add_i32 s14, s14, 4
	v_cmp_eq_u32_e32 vcc, 0, v149
	v_add_u32_e32 v147, 4, v147
	s_or_b64 s[4:5], vcc, s[4:5]
	s_waitcnt vmcnt(0) lgkmcnt(0)
	v_fmac_f32_e32 v148, v150, v151
	s_andn2_b64 exec, exec, s[4:5]
	s_cbranch_execnz .LBB126_263
; %bb.264:
	s_or_b64 exec, exec, s[4:5]
.LBB126_265:
	s_or_b64 exec, exec, s[12:13]
	v_mov_b32_e32 v147, 0
	ds_read_b32 v147, v147 offset:140
	s_waitcnt lgkmcnt(0)
	v_mul_f32_e32 v147, v148, v147
	buffer_store_dword v147, off, s[0:3], 0 offset:140
.LBB126_266:
	s_or_b64 exec, exec, s[8:9]
	buffer_load_dword v147, off, s[0:3], 0 offset:136
	v_cmp_lt_u32_e64 s[4:5], 34, v0
	s_waitcnt vmcnt(0)
	ds_write_b32 v128, v147
	s_waitcnt lgkmcnt(0)
	; wave barrier
	s_waitcnt lgkmcnt(0)
	s_and_saveexec_b64 s[8:9], s[4:5]
	s_cbranch_execz .LBB126_276
; %bb.267:
	s_andn2_b64 vcc, exec, s[10:11]
	s_cbranch_vccnz .LBB126_269
; %bb.268:
	buffer_load_dword v147, v129, s[0:3], 0 offen
	ds_read_b32 v148, v128
	s_waitcnt vmcnt(0) lgkmcnt(0)
	v_mul_f32_e32 v147, v147, v148
	s_cbranch_execz .LBB126_270
	s_branch .LBB126_271
.LBB126_269:
                                        ; implicit-def: $vgpr147
.LBB126_270:
	ds_read_b32 v147, v128
.LBB126_271:
	s_and_saveexec_b64 s[12:13], s[6:7]
	s_cbranch_execz .LBB126_275
; %bb.272:
	v_mov_b32_e32 v148, 0
	v_add_u32_e32 v148, 0x8c, v148
	v_subrev_u32_e32 v149, 35, v0
	s_movk_i32 s14, 0x18c
	s_mov_b64 s[6:7], 0
.LBB126_273:                            ; =>This Inner Loop Header: Depth=1
	buffer_load_dword v150, v148, s[0:3], 0 offen
	v_mov_b32_e32 v151, s14
	ds_read_b32 v151, v151
	v_add_u32_e32 v149, -1, v149
	s_add_i32 s14, s14, 4
	v_cmp_eq_u32_e32 vcc, 0, v149
	v_add_u32_e32 v148, 4, v148
	s_or_b64 s[6:7], vcc, s[6:7]
	s_waitcnt vmcnt(0) lgkmcnt(0)
	v_fmac_f32_e32 v147, v150, v151
	s_andn2_b64 exec, exec, s[6:7]
	s_cbranch_execnz .LBB126_273
; %bb.274:
	s_or_b64 exec, exec, s[6:7]
.LBB126_275:
	s_or_b64 exec, exec, s[12:13]
	v_mov_b32_e32 v148, 0
	ds_read_b32 v148, v148 offset:136
	s_waitcnt lgkmcnt(0)
	v_mul_f32_e32 v147, v147, v148
	buffer_store_dword v147, off, s[0:3], 0 offset:136
.LBB126_276:
	s_or_b64 exec, exec, s[8:9]
	buffer_load_dword v147, off, s[0:3], 0 offset:132
	v_cmp_lt_u32_e64 s[6:7], 33, v0
	s_waitcnt vmcnt(0)
	ds_write_b32 v128, v147
	s_waitcnt lgkmcnt(0)
	; wave barrier
	s_waitcnt lgkmcnt(0)
	s_and_saveexec_b64 s[8:9], s[6:7]
	s_cbranch_execz .LBB126_286
; %bb.277:
	s_andn2_b64 vcc, exec, s[10:11]
	s_cbranch_vccnz .LBB126_279
; %bb.278:
	buffer_load_dword v147, v129, s[0:3], 0 offen
	ds_read_b32 v148, v128
	s_waitcnt vmcnt(0) lgkmcnt(0)
	v_mul_f32_e32 v147, v147, v148
	s_cbranch_execz .LBB126_280
	s_branch .LBB126_281
.LBB126_279:
                                        ; implicit-def: $vgpr147
.LBB126_280:
	ds_read_b32 v147, v128
.LBB126_281:
	s_and_saveexec_b64 s[12:13], s[4:5]
	s_cbranch_execz .LBB126_285
; %bb.282:
	v_subrev_u32_e32 v148, 34, v0
	s_movk_i32 s14, 0x188
	s_mov_b64 s[4:5], 0
.LBB126_283:                            ; =>This Inner Loop Header: Depth=1
	buffer_load_dword v149, v146, s[0:3], 0 offen
	v_mov_b32_e32 v150, s14
	ds_read_b32 v150, v150
	v_add_u32_e32 v148, -1, v148
	s_add_i32 s14, s14, 4
	v_cmp_eq_u32_e32 vcc, 0, v148
	v_add_u32_e32 v146, 4, v146
	s_or_b64 s[4:5], vcc, s[4:5]
	s_waitcnt vmcnt(0) lgkmcnt(0)
	v_fmac_f32_e32 v147, v149, v150
	s_andn2_b64 exec, exec, s[4:5]
	s_cbranch_execnz .LBB126_283
; %bb.284:
	s_or_b64 exec, exec, s[4:5]
.LBB126_285:
	s_or_b64 exec, exec, s[12:13]
	v_mov_b32_e32 v146, 0
	ds_read_b32 v146, v146 offset:132
	s_waitcnt lgkmcnt(0)
	v_mul_f32_e32 v146, v147, v146
	buffer_store_dword v146, off, s[0:3], 0 offset:132
.LBB126_286:
	s_or_b64 exec, exec, s[8:9]
	buffer_load_dword v146, off, s[0:3], 0 offset:128
	v_cmp_lt_u32_e64 s[4:5], 32, v0
	s_waitcnt vmcnt(0)
	ds_write_b32 v128, v146
	s_waitcnt lgkmcnt(0)
	; wave barrier
	s_waitcnt lgkmcnt(0)
	s_and_saveexec_b64 s[8:9], s[4:5]
	s_cbranch_execz .LBB126_296
; %bb.287:
	s_andn2_b64 vcc, exec, s[10:11]
	s_cbranch_vccnz .LBB126_289
; %bb.288:
	buffer_load_dword v146, v129, s[0:3], 0 offen
	ds_read_b32 v147, v128
	s_waitcnt vmcnt(0) lgkmcnt(0)
	v_mul_f32_e32 v146, v146, v147
	s_cbranch_execz .LBB126_290
	s_branch .LBB126_291
.LBB126_289:
                                        ; implicit-def: $vgpr146
.LBB126_290:
	ds_read_b32 v146, v128
.LBB126_291:
	s_and_saveexec_b64 s[12:13], s[6:7]
	s_cbranch_execz .LBB126_295
; %bb.292:
	v_mov_b32_e32 v147, 0
	v_add_u32_e32 v147, 0x84, v147
	v_subrev_u32_e32 v148, 33, v0
	s_movk_i32 s14, 0x184
	s_mov_b64 s[6:7], 0
.LBB126_293:                            ; =>This Inner Loop Header: Depth=1
	buffer_load_dword v149, v147, s[0:3], 0 offen
	v_mov_b32_e32 v150, s14
	ds_read_b32 v150, v150
	v_add_u32_e32 v148, -1, v148
	s_add_i32 s14, s14, 4
	v_cmp_eq_u32_e32 vcc, 0, v148
	v_add_u32_e32 v147, 4, v147
	s_or_b64 s[6:7], vcc, s[6:7]
	s_waitcnt vmcnt(0) lgkmcnt(0)
	v_fmac_f32_e32 v146, v149, v150
	s_andn2_b64 exec, exec, s[6:7]
	s_cbranch_execnz .LBB126_293
; %bb.294:
	s_or_b64 exec, exec, s[6:7]
.LBB126_295:
	s_or_b64 exec, exec, s[12:13]
	v_mov_b32_e32 v147, 0
	ds_read_b32 v147, v147 offset:128
	s_waitcnt lgkmcnt(0)
	v_mul_f32_e32 v146, v146, v147
	buffer_store_dword v146, off, s[0:3], 0 offset:128
.LBB126_296:
	s_or_b64 exec, exec, s[8:9]
	buffer_load_dword v146, off, s[0:3], 0 offset:124
	v_cmp_lt_u32_e64 s[6:7], 31, v0
	s_waitcnt vmcnt(0)
	ds_write_b32 v128, v146
	s_waitcnt lgkmcnt(0)
	; wave barrier
	s_waitcnt lgkmcnt(0)
	s_and_saveexec_b64 s[8:9], s[6:7]
	s_cbranch_execz .LBB126_306
; %bb.297:
	s_andn2_b64 vcc, exec, s[10:11]
	s_cbranch_vccnz .LBB126_299
; %bb.298:
	buffer_load_dword v146, v129, s[0:3], 0 offen
	ds_read_b32 v147, v128
	s_waitcnt vmcnt(0) lgkmcnt(0)
	v_mul_f32_e32 v146, v146, v147
	s_cbranch_execz .LBB126_300
	s_branch .LBB126_301
.LBB126_299:
                                        ; implicit-def: $vgpr146
.LBB126_300:
	ds_read_b32 v146, v128
.LBB126_301:
	s_and_saveexec_b64 s[12:13], s[4:5]
	s_cbranch_execz .LBB126_305
; %bb.302:
	v_subrev_u32_e32 v147, 32, v0
	s_movk_i32 s14, 0x180
	s_mov_b64 s[4:5], 0
.LBB126_303:                            ; =>This Inner Loop Header: Depth=1
	buffer_load_dword v148, v145, s[0:3], 0 offen
	v_mov_b32_e32 v149, s14
	ds_read_b32 v149, v149
	v_add_u32_e32 v147, -1, v147
	s_add_i32 s14, s14, 4
	v_cmp_eq_u32_e32 vcc, 0, v147
	v_add_u32_e32 v145, 4, v145
	s_or_b64 s[4:5], vcc, s[4:5]
	s_waitcnt vmcnt(0) lgkmcnt(0)
	v_fmac_f32_e32 v146, v148, v149
	s_andn2_b64 exec, exec, s[4:5]
	s_cbranch_execnz .LBB126_303
; %bb.304:
	s_or_b64 exec, exec, s[4:5]
.LBB126_305:
	s_or_b64 exec, exec, s[12:13]
	v_mov_b32_e32 v145, 0
	ds_read_b32 v145, v145 offset:124
	s_waitcnt lgkmcnt(0)
	v_mul_f32_e32 v145, v146, v145
	buffer_store_dword v145, off, s[0:3], 0 offset:124
.LBB126_306:
	s_or_b64 exec, exec, s[8:9]
	buffer_load_dword v145, off, s[0:3], 0 offset:120
	v_cmp_lt_u32_e64 s[4:5], 30, v0
	s_waitcnt vmcnt(0)
	ds_write_b32 v128, v145
	s_waitcnt lgkmcnt(0)
	; wave barrier
	s_waitcnt lgkmcnt(0)
	s_and_saveexec_b64 s[8:9], s[4:5]
	s_cbranch_execz .LBB126_316
; %bb.307:
	s_andn2_b64 vcc, exec, s[10:11]
	s_cbranch_vccnz .LBB126_309
; %bb.308:
	buffer_load_dword v145, v129, s[0:3], 0 offen
	ds_read_b32 v146, v128
	s_waitcnt vmcnt(0) lgkmcnt(0)
	v_mul_f32_e32 v145, v145, v146
	s_cbranch_execz .LBB126_310
	s_branch .LBB126_311
.LBB126_309:
                                        ; implicit-def: $vgpr145
.LBB126_310:
	ds_read_b32 v145, v128
.LBB126_311:
	s_and_saveexec_b64 s[12:13], s[6:7]
	s_cbranch_execz .LBB126_315
; %bb.312:
	v_mov_b32_e32 v146, 0
	v_add_u32_e32 v146, 0x7c, v146
	v_subrev_u32_e32 v147, 31, v0
	s_movk_i32 s14, 0x17c
	s_mov_b64 s[6:7], 0
.LBB126_313:                            ; =>This Inner Loop Header: Depth=1
	buffer_load_dword v148, v146, s[0:3], 0 offen
	v_mov_b32_e32 v149, s14
	ds_read_b32 v149, v149
	v_add_u32_e32 v147, -1, v147
	s_add_i32 s14, s14, 4
	v_cmp_eq_u32_e32 vcc, 0, v147
	v_add_u32_e32 v146, 4, v146
	s_or_b64 s[6:7], vcc, s[6:7]
	s_waitcnt vmcnt(0) lgkmcnt(0)
	v_fmac_f32_e32 v145, v148, v149
	s_andn2_b64 exec, exec, s[6:7]
	s_cbranch_execnz .LBB126_313
; %bb.314:
	s_or_b64 exec, exec, s[6:7]
.LBB126_315:
	s_or_b64 exec, exec, s[12:13]
	v_mov_b32_e32 v146, 0
	ds_read_b32 v146, v146 offset:120
	s_waitcnt lgkmcnt(0)
	v_mul_f32_e32 v145, v145, v146
	buffer_store_dword v145, off, s[0:3], 0 offset:120
.LBB126_316:
	s_or_b64 exec, exec, s[8:9]
	buffer_load_dword v145, off, s[0:3], 0 offset:116
	v_cmp_lt_u32_e64 s[6:7], 29, v0
	s_waitcnt vmcnt(0)
	ds_write_b32 v128, v145
	s_waitcnt lgkmcnt(0)
	; wave barrier
	s_waitcnt lgkmcnt(0)
	s_and_saveexec_b64 s[8:9], s[6:7]
	s_cbranch_execz .LBB126_326
; %bb.317:
	s_andn2_b64 vcc, exec, s[10:11]
	s_cbranch_vccnz .LBB126_319
; %bb.318:
	buffer_load_dword v145, v129, s[0:3], 0 offen
	ds_read_b32 v146, v128
	s_waitcnt vmcnt(0) lgkmcnt(0)
	v_mul_f32_e32 v145, v145, v146
	s_cbranch_execz .LBB126_320
	s_branch .LBB126_321
.LBB126_319:
                                        ; implicit-def: $vgpr145
.LBB126_320:
	ds_read_b32 v145, v128
.LBB126_321:
	s_and_saveexec_b64 s[12:13], s[4:5]
	s_cbranch_execz .LBB126_325
; %bb.322:
	v_subrev_u32_e32 v146, 30, v0
	s_movk_i32 s14, 0x178
	s_mov_b64 s[4:5], 0
.LBB126_323:                            ; =>This Inner Loop Header: Depth=1
	buffer_load_dword v147, v144, s[0:3], 0 offen
	v_mov_b32_e32 v148, s14
	ds_read_b32 v148, v148
	v_add_u32_e32 v146, -1, v146
	s_add_i32 s14, s14, 4
	v_cmp_eq_u32_e32 vcc, 0, v146
	v_add_u32_e32 v144, 4, v144
	s_or_b64 s[4:5], vcc, s[4:5]
	s_waitcnt vmcnt(0) lgkmcnt(0)
	v_fmac_f32_e32 v145, v147, v148
	s_andn2_b64 exec, exec, s[4:5]
	s_cbranch_execnz .LBB126_323
; %bb.324:
	s_or_b64 exec, exec, s[4:5]
.LBB126_325:
	s_or_b64 exec, exec, s[12:13]
	v_mov_b32_e32 v144, 0
	ds_read_b32 v144, v144 offset:116
	s_waitcnt lgkmcnt(0)
	v_mul_f32_e32 v144, v145, v144
	buffer_store_dword v144, off, s[0:3], 0 offset:116
.LBB126_326:
	s_or_b64 exec, exec, s[8:9]
	buffer_load_dword v144, off, s[0:3], 0 offset:112
	v_cmp_lt_u32_e64 s[4:5], 28, v0
	s_waitcnt vmcnt(0)
	ds_write_b32 v128, v144
	s_waitcnt lgkmcnt(0)
	; wave barrier
	s_waitcnt lgkmcnt(0)
	s_and_saveexec_b64 s[8:9], s[4:5]
	s_cbranch_execz .LBB126_336
; %bb.327:
	s_andn2_b64 vcc, exec, s[10:11]
	s_cbranch_vccnz .LBB126_329
; %bb.328:
	buffer_load_dword v144, v129, s[0:3], 0 offen
	ds_read_b32 v145, v128
	s_waitcnt vmcnt(0) lgkmcnt(0)
	v_mul_f32_e32 v144, v144, v145
	s_cbranch_execz .LBB126_330
	s_branch .LBB126_331
.LBB126_329:
                                        ; implicit-def: $vgpr144
.LBB126_330:
	ds_read_b32 v144, v128
.LBB126_331:
	s_and_saveexec_b64 s[12:13], s[6:7]
	s_cbranch_execz .LBB126_335
; %bb.332:
	v_mov_b32_e32 v145, 0
	v_add_u32_e32 v145, 0x74, v145
	v_subrev_u32_e32 v146, 29, v0
	s_movk_i32 s14, 0x174
	s_mov_b64 s[6:7], 0
.LBB126_333:                            ; =>This Inner Loop Header: Depth=1
	buffer_load_dword v147, v145, s[0:3], 0 offen
	v_mov_b32_e32 v148, s14
	ds_read_b32 v148, v148
	v_add_u32_e32 v146, -1, v146
	s_add_i32 s14, s14, 4
	v_cmp_eq_u32_e32 vcc, 0, v146
	v_add_u32_e32 v145, 4, v145
	s_or_b64 s[6:7], vcc, s[6:7]
	s_waitcnt vmcnt(0) lgkmcnt(0)
	v_fmac_f32_e32 v144, v147, v148
	s_andn2_b64 exec, exec, s[6:7]
	s_cbranch_execnz .LBB126_333
; %bb.334:
	s_or_b64 exec, exec, s[6:7]
.LBB126_335:
	s_or_b64 exec, exec, s[12:13]
	v_mov_b32_e32 v145, 0
	ds_read_b32 v145, v145 offset:112
	s_waitcnt lgkmcnt(0)
	v_mul_f32_e32 v144, v144, v145
	buffer_store_dword v144, off, s[0:3], 0 offset:112
.LBB126_336:
	s_or_b64 exec, exec, s[8:9]
	buffer_load_dword v144, off, s[0:3], 0 offset:108
	v_cmp_lt_u32_e64 s[6:7], 27, v0
	s_waitcnt vmcnt(0)
	ds_write_b32 v128, v144
	s_waitcnt lgkmcnt(0)
	; wave barrier
	s_waitcnt lgkmcnt(0)
	s_and_saveexec_b64 s[8:9], s[6:7]
	s_cbranch_execz .LBB126_346
; %bb.337:
	s_andn2_b64 vcc, exec, s[10:11]
	s_cbranch_vccnz .LBB126_339
; %bb.338:
	buffer_load_dword v144, v129, s[0:3], 0 offen
	ds_read_b32 v145, v128
	s_waitcnt vmcnt(0) lgkmcnt(0)
	v_mul_f32_e32 v144, v144, v145
	s_cbranch_execz .LBB126_340
	s_branch .LBB126_341
.LBB126_339:
                                        ; implicit-def: $vgpr144
.LBB126_340:
	ds_read_b32 v144, v128
.LBB126_341:
	s_and_saveexec_b64 s[12:13], s[4:5]
	s_cbranch_execz .LBB126_345
; %bb.342:
	v_subrev_u32_e32 v145, 28, v0
	s_movk_i32 s14, 0x170
	s_mov_b64 s[4:5], 0
.LBB126_343:                            ; =>This Inner Loop Header: Depth=1
	buffer_load_dword v146, v143, s[0:3], 0 offen
	v_mov_b32_e32 v147, s14
	ds_read_b32 v147, v147
	v_add_u32_e32 v145, -1, v145
	s_add_i32 s14, s14, 4
	v_cmp_eq_u32_e32 vcc, 0, v145
	v_add_u32_e32 v143, 4, v143
	s_or_b64 s[4:5], vcc, s[4:5]
	s_waitcnt vmcnt(0) lgkmcnt(0)
	v_fmac_f32_e32 v144, v146, v147
	s_andn2_b64 exec, exec, s[4:5]
	s_cbranch_execnz .LBB126_343
; %bb.344:
	s_or_b64 exec, exec, s[4:5]
.LBB126_345:
	s_or_b64 exec, exec, s[12:13]
	v_mov_b32_e32 v143, 0
	ds_read_b32 v143, v143 offset:108
	s_waitcnt lgkmcnt(0)
	v_mul_f32_e32 v143, v144, v143
	buffer_store_dword v143, off, s[0:3], 0 offset:108
.LBB126_346:
	s_or_b64 exec, exec, s[8:9]
	buffer_load_dword v143, off, s[0:3], 0 offset:104
	v_cmp_lt_u32_e64 s[4:5], 26, v0
	s_waitcnt vmcnt(0)
	ds_write_b32 v128, v143
	s_waitcnt lgkmcnt(0)
	; wave barrier
	s_waitcnt lgkmcnt(0)
	s_and_saveexec_b64 s[8:9], s[4:5]
	s_cbranch_execz .LBB126_356
; %bb.347:
	s_andn2_b64 vcc, exec, s[10:11]
	s_cbranch_vccnz .LBB126_349
; %bb.348:
	buffer_load_dword v143, v129, s[0:3], 0 offen
	ds_read_b32 v144, v128
	s_waitcnt vmcnt(0) lgkmcnt(0)
	v_mul_f32_e32 v143, v143, v144
	s_cbranch_execz .LBB126_350
	s_branch .LBB126_351
.LBB126_349:
                                        ; implicit-def: $vgpr143
.LBB126_350:
	ds_read_b32 v143, v128
.LBB126_351:
	s_and_saveexec_b64 s[12:13], s[6:7]
	s_cbranch_execz .LBB126_355
; %bb.352:
	v_mov_b32_e32 v144, 0
	v_add_u32_e32 v144, 0x6c, v144
	v_subrev_u32_e32 v145, 27, v0
	s_movk_i32 s14, 0x16c
	s_mov_b64 s[6:7], 0
.LBB126_353:                            ; =>This Inner Loop Header: Depth=1
	buffer_load_dword v146, v144, s[0:3], 0 offen
	v_mov_b32_e32 v147, s14
	ds_read_b32 v147, v147
	v_add_u32_e32 v145, -1, v145
	s_add_i32 s14, s14, 4
	v_cmp_eq_u32_e32 vcc, 0, v145
	v_add_u32_e32 v144, 4, v144
	s_or_b64 s[6:7], vcc, s[6:7]
	s_waitcnt vmcnt(0) lgkmcnt(0)
	v_fmac_f32_e32 v143, v146, v147
	s_andn2_b64 exec, exec, s[6:7]
	s_cbranch_execnz .LBB126_353
; %bb.354:
	s_or_b64 exec, exec, s[6:7]
.LBB126_355:
	s_or_b64 exec, exec, s[12:13]
	v_mov_b32_e32 v144, 0
	ds_read_b32 v144, v144 offset:104
	s_waitcnt lgkmcnt(0)
	v_mul_f32_e32 v143, v143, v144
	buffer_store_dword v143, off, s[0:3], 0 offset:104
.LBB126_356:
	s_or_b64 exec, exec, s[8:9]
	buffer_load_dword v143, off, s[0:3], 0 offset:100
	v_cmp_lt_u32_e64 s[6:7], 25, v0
	s_waitcnt vmcnt(0)
	ds_write_b32 v128, v143
	s_waitcnt lgkmcnt(0)
	; wave barrier
	s_waitcnt lgkmcnt(0)
	s_and_saveexec_b64 s[8:9], s[6:7]
	s_cbranch_execz .LBB126_366
; %bb.357:
	s_andn2_b64 vcc, exec, s[10:11]
	s_cbranch_vccnz .LBB126_359
; %bb.358:
	buffer_load_dword v143, v129, s[0:3], 0 offen
	ds_read_b32 v144, v128
	s_waitcnt vmcnt(0) lgkmcnt(0)
	v_mul_f32_e32 v143, v143, v144
	s_cbranch_execz .LBB126_360
	s_branch .LBB126_361
.LBB126_359:
                                        ; implicit-def: $vgpr143
.LBB126_360:
	ds_read_b32 v143, v128
.LBB126_361:
	s_and_saveexec_b64 s[12:13], s[4:5]
	s_cbranch_execz .LBB126_365
; %bb.362:
	v_subrev_u32_e32 v144, 26, v0
	s_movk_i32 s14, 0x168
	s_mov_b64 s[4:5], 0
.LBB126_363:                            ; =>This Inner Loop Header: Depth=1
	buffer_load_dword v145, v142, s[0:3], 0 offen
	v_mov_b32_e32 v146, s14
	ds_read_b32 v146, v146
	v_add_u32_e32 v144, -1, v144
	s_add_i32 s14, s14, 4
	v_cmp_eq_u32_e32 vcc, 0, v144
	v_add_u32_e32 v142, 4, v142
	s_or_b64 s[4:5], vcc, s[4:5]
	s_waitcnt vmcnt(0) lgkmcnt(0)
	v_fmac_f32_e32 v143, v145, v146
	s_andn2_b64 exec, exec, s[4:5]
	s_cbranch_execnz .LBB126_363
; %bb.364:
	s_or_b64 exec, exec, s[4:5]
.LBB126_365:
	s_or_b64 exec, exec, s[12:13]
	v_mov_b32_e32 v142, 0
	ds_read_b32 v142, v142 offset:100
	s_waitcnt lgkmcnt(0)
	v_mul_f32_e32 v142, v143, v142
	buffer_store_dword v142, off, s[0:3], 0 offset:100
.LBB126_366:
	s_or_b64 exec, exec, s[8:9]
	buffer_load_dword v142, off, s[0:3], 0 offset:96
	v_cmp_lt_u32_e64 s[4:5], 24, v0
	s_waitcnt vmcnt(0)
	ds_write_b32 v128, v142
	s_waitcnt lgkmcnt(0)
	; wave barrier
	s_waitcnt lgkmcnt(0)
	s_and_saveexec_b64 s[8:9], s[4:5]
	s_cbranch_execz .LBB126_376
; %bb.367:
	s_andn2_b64 vcc, exec, s[10:11]
	s_cbranch_vccnz .LBB126_369
; %bb.368:
	buffer_load_dword v142, v129, s[0:3], 0 offen
	ds_read_b32 v143, v128
	s_waitcnt vmcnt(0) lgkmcnt(0)
	v_mul_f32_e32 v142, v142, v143
	s_cbranch_execz .LBB126_370
	s_branch .LBB126_371
.LBB126_369:
                                        ; implicit-def: $vgpr142
.LBB126_370:
	ds_read_b32 v142, v128
.LBB126_371:
	s_and_saveexec_b64 s[12:13], s[6:7]
	s_cbranch_execz .LBB126_375
; %bb.372:
	v_mov_b32_e32 v143, 0
	v_add_u32_e32 v143, 0x64, v143
	v_subrev_u32_e32 v144, 25, v0
	s_movk_i32 s14, 0x164
	s_mov_b64 s[6:7], 0
.LBB126_373:                            ; =>This Inner Loop Header: Depth=1
	buffer_load_dword v145, v143, s[0:3], 0 offen
	v_mov_b32_e32 v146, s14
	ds_read_b32 v146, v146
	v_add_u32_e32 v144, -1, v144
	s_add_i32 s14, s14, 4
	v_cmp_eq_u32_e32 vcc, 0, v144
	v_add_u32_e32 v143, 4, v143
	s_or_b64 s[6:7], vcc, s[6:7]
	s_waitcnt vmcnt(0) lgkmcnt(0)
	v_fmac_f32_e32 v142, v145, v146
	s_andn2_b64 exec, exec, s[6:7]
	s_cbranch_execnz .LBB126_373
; %bb.374:
	s_or_b64 exec, exec, s[6:7]
.LBB126_375:
	s_or_b64 exec, exec, s[12:13]
	v_mov_b32_e32 v143, 0
	ds_read_b32 v143, v143 offset:96
	s_waitcnt lgkmcnt(0)
	v_mul_f32_e32 v142, v142, v143
	buffer_store_dword v142, off, s[0:3], 0 offset:96
.LBB126_376:
	s_or_b64 exec, exec, s[8:9]
	buffer_load_dword v142, off, s[0:3], 0 offset:92
	v_cmp_lt_u32_e64 s[6:7], 23, v0
	s_waitcnt vmcnt(0)
	ds_write_b32 v128, v142
	s_waitcnt lgkmcnt(0)
	; wave barrier
	s_waitcnt lgkmcnt(0)
	s_and_saveexec_b64 s[8:9], s[6:7]
	s_cbranch_execz .LBB126_386
; %bb.377:
	s_andn2_b64 vcc, exec, s[10:11]
	s_cbranch_vccnz .LBB126_379
; %bb.378:
	buffer_load_dword v142, v129, s[0:3], 0 offen
	ds_read_b32 v143, v128
	s_waitcnt vmcnt(0) lgkmcnt(0)
	v_mul_f32_e32 v142, v142, v143
	s_cbranch_execz .LBB126_380
	s_branch .LBB126_381
.LBB126_379:
                                        ; implicit-def: $vgpr142
.LBB126_380:
	ds_read_b32 v142, v128
.LBB126_381:
	s_and_saveexec_b64 s[12:13], s[4:5]
	s_cbranch_execz .LBB126_385
; %bb.382:
	v_subrev_u32_e32 v143, 24, v0
	s_movk_i32 s14, 0x160
	s_mov_b64 s[4:5], 0
.LBB126_383:                            ; =>This Inner Loop Header: Depth=1
	buffer_load_dword v144, v141, s[0:3], 0 offen
	v_mov_b32_e32 v145, s14
	ds_read_b32 v145, v145
	v_add_u32_e32 v143, -1, v143
	s_add_i32 s14, s14, 4
	v_cmp_eq_u32_e32 vcc, 0, v143
	v_add_u32_e32 v141, 4, v141
	s_or_b64 s[4:5], vcc, s[4:5]
	s_waitcnt vmcnt(0) lgkmcnt(0)
	v_fmac_f32_e32 v142, v144, v145
	s_andn2_b64 exec, exec, s[4:5]
	s_cbranch_execnz .LBB126_383
; %bb.384:
	s_or_b64 exec, exec, s[4:5]
.LBB126_385:
	s_or_b64 exec, exec, s[12:13]
	v_mov_b32_e32 v141, 0
	ds_read_b32 v141, v141 offset:92
	s_waitcnt lgkmcnt(0)
	v_mul_f32_e32 v141, v142, v141
	buffer_store_dword v141, off, s[0:3], 0 offset:92
.LBB126_386:
	s_or_b64 exec, exec, s[8:9]
	buffer_load_dword v141, off, s[0:3], 0 offset:88
	v_cmp_lt_u32_e64 s[4:5], 22, v0
	s_waitcnt vmcnt(0)
	ds_write_b32 v128, v141
	s_waitcnt lgkmcnt(0)
	; wave barrier
	s_waitcnt lgkmcnt(0)
	s_and_saveexec_b64 s[8:9], s[4:5]
	s_cbranch_execz .LBB126_396
; %bb.387:
	s_andn2_b64 vcc, exec, s[10:11]
	s_cbranch_vccnz .LBB126_389
; %bb.388:
	buffer_load_dword v141, v129, s[0:3], 0 offen
	ds_read_b32 v142, v128
	s_waitcnt vmcnt(0) lgkmcnt(0)
	v_mul_f32_e32 v141, v141, v142
	s_cbranch_execz .LBB126_390
	s_branch .LBB126_391
.LBB126_389:
                                        ; implicit-def: $vgpr141
.LBB126_390:
	ds_read_b32 v141, v128
.LBB126_391:
	s_and_saveexec_b64 s[12:13], s[6:7]
	s_cbranch_execz .LBB126_395
; %bb.392:
	v_mov_b32_e32 v142, 0
	v_add_u32_e32 v142, 0x5c, v142
	v_subrev_u32_e32 v143, 23, v0
	s_movk_i32 s14, 0x15c
	s_mov_b64 s[6:7], 0
.LBB126_393:                            ; =>This Inner Loop Header: Depth=1
	buffer_load_dword v144, v142, s[0:3], 0 offen
	v_mov_b32_e32 v145, s14
	ds_read_b32 v145, v145
	v_add_u32_e32 v143, -1, v143
	s_add_i32 s14, s14, 4
	v_cmp_eq_u32_e32 vcc, 0, v143
	v_add_u32_e32 v142, 4, v142
	s_or_b64 s[6:7], vcc, s[6:7]
	s_waitcnt vmcnt(0) lgkmcnt(0)
	v_fmac_f32_e32 v141, v144, v145
	s_andn2_b64 exec, exec, s[6:7]
	s_cbranch_execnz .LBB126_393
; %bb.394:
	s_or_b64 exec, exec, s[6:7]
.LBB126_395:
	s_or_b64 exec, exec, s[12:13]
	v_mov_b32_e32 v142, 0
	ds_read_b32 v142, v142 offset:88
	s_waitcnt lgkmcnt(0)
	v_mul_f32_e32 v141, v141, v142
	buffer_store_dword v141, off, s[0:3], 0 offset:88
.LBB126_396:
	s_or_b64 exec, exec, s[8:9]
	buffer_load_dword v141, off, s[0:3], 0 offset:84
	v_cmp_lt_u32_e64 s[6:7], 21, v0
	s_waitcnt vmcnt(0)
	ds_write_b32 v128, v141
	s_waitcnt lgkmcnt(0)
	; wave barrier
	s_waitcnt lgkmcnt(0)
	s_and_saveexec_b64 s[8:9], s[6:7]
	s_cbranch_execz .LBB126_406
; %bb.397:
	s_andn2_b64 vcc, exec, s[10:11]
	s_cbranch_vccnz .LBB126_399
; %bb.398:
	buffer_load_dword v141, v129, s[0:3], 0 offen
	ds_read_b32 v142, v128
	s_waitcnt vmcnt(0) lgkmcnt(0)
	v_mul_f32_e32 v141, v141, v142
	s_cbranch_execz .LBB126_400
	s_branch .LBB126_401
.LBB126_399:
                                        ; implicit-def: $vgpr141
.LBB126_400:
	ds_read_b32 v141, v128
.LBB126_401:
	s_and_saveexec_b64 s[12:13], s[4:5]
	s_cbranch_execz .LBB126_405
; %bb.402:
	v_subrev_u32_e32 v142, 22, v0
	s_movk_i32 s14, 0x158
	s_mov_b64 s[4:5], 0
.LBB126_403:                            ; =>This Inner Loop Header: Depth=1
	buffer_load_dword v143, v140, s[0:3], 0 offen
	v_mov_b32_e32 v144, s14
	ds_read_b32 v144, v144
	v_add_u32_e32 v142, -1, v142
	s_add_i32 s14, s14, 4
	v_cmp_eq_u32_e32 vcc, 0, v142
	v_add_u32_e32 v140, 4, v140
	s_or_b64 s[4:5], vcc, s[4:5]
	s_waitcnt vmcnt(0) lgkmcnt(0)
	v_fmac_f32_e32 v141, v143, v144
	s_andn2_b64 exec, exec, s[4:5]
	s_cbranch_execnz .LBB126_403
; %bb.404:
	s_or_b64 exec, exec, s[4:5]
.LBB126_405:
	s_or_b64 exec, exec, s[12:13]
	v_mov_b32_e32 v140, 0
	ds_read_b32 v140, v140 offset:84
	s_waitcnt lgkmcnt(0)
	v_mul_f32_e32 v140, v141, v140
	buffer_store_dword v140, off, s[0:3], 0 offset:84
.LBB126_406:
	s_or_b64 exec, exec, s[8:9]
	buffer_load_dword v140, off, s[0:3], 0 offset:80
	v_cmp_lt_u32_e64 s[4:5], 20, v0
	s_waitcnt vmcnt(0)
	ds_write_b32 v128, v140
	s_waitcnt lgkmcnt(0)
	; wave barrier
	s_waitcnt lgkmcnt(0)
	s_and_saveexec_b64 s[8:9], s[4:5]
	s_cbranch_execz .LBB126_416
; %bb.407:
	s_andn2_b64 vcc, exec, s[10:11]
	s_cbranch_vccnz .LBB126_409
; %bb.408:
	buffer_load_dword v140, v129, s[0:3], 0 offen
	ds_read_b32 v141, v128
	s_waitcnt vmcnt(0) lgkmcnt(0)
	v_mul_f32_e32 v140, v140, v141
	s_cbranch_execz .LBB126_410
	s_branch .LBB126_411
.LBB126_409:
                                        ; implicit-def: $vgpr140
.LBB126_410:
	ds_read_b32 v140, v128
.LBB126_411:
	s_and_saveexec_b64 s[12:13], s[6:7]
	s_cbranch_execz .LBB126_415
; %bb.412:
	v_mov_b32_e32 v141, 0
	v_add_u32_e32 v141, 0x54, v141
	v_subrev_u32_e32 v142, 21, v0
	s_movk_i32 s14, 0x154
	s_mov_b64 s[6:7], 0
.LBB126_413:                            ; =>This Inner Loop Header: Depth=1
	buffer_load_dword v143, v141, s[0:3], 0 offen
	v_mov_b32_e32 v144, s14
	ds_read_b32 v144, v144
	v_add_u32_e32 v142, -1, v142
	s_add_i32 s14, s14, 4
	v_cmp_eq_u32_e32 vcc, 0, v142
	v_add_u32_e32 v141, 4, v141
	s_or_b64 s[6:7], vcc, s[6:7]
	s_waitcnt vmcnt(0) lgkmcnt(0)
	v_fmac_f32_e32 v140, v143, v144
	s_andn2_b64 exec, exec, s[6:7]
	s_cbranch_execnz .LBB126_413
; %bb.414:
	s_or_b64 exec, exec, s[6:7]
.LBB126_415:
	s_or_b64 exec, exec, s[12:13]
	v_mov_b32_e32 v141, 0
	ds_read_b32 v141, v141 offset:80
	s_waitcnt lgkmcnt(0)
	v_mul_f32_e32 v140, v140, v141
	buffer_store_dword v140, off, s[0:3], 0 offset:80
.LBB126_416:
	s_or_b64 exec, exec, s[8:9]
	buffer_load_dword v140, off, s[0:3], 0 offset:76
	v_cmp_lt_u32_e64 s[6:7], 19, v0
	s_waitcnt vmcnt(0)
	ds_write_b32 v128, v140
	s_waitcnt lgkmcnt(0)
	; wave barrier
	s_waitcnt lgkmcnt(0)
	s_and_saveexec_b64 s[8:9], s[6:7]
	s_cbranch_execz .LBB126_426
; %bb.417:
	s_andn2_b64 vcc, exec, s[10:11]
	s_cbranch_vccnz .LBB126_419
; %bb.418:
	buffer_load_dword v140, v129, s[0:3], 0 offen
	ds_read_b32 v141, v128
	s_waitcnt vmcnt(0) lgkmcnt(0)
	v_mul_f32_e32 v140, v140, v141
	s_cbranch_execz .LBB126_420
	s_branch .LBB126_421
.LBB126_419:
                                        ; implicit-def: $vgpr140
.LBB126_420:
	ds_read_b32 v140, v128
.LBB126_421:
	s_and_saveexec_b64 s[12:13], s[4:5]
	s_cbranch_execz .LBB126_425
; %bb.422:
	v_subrev_u32_e32 v141, 20, v0
	s_movk_i32 s14, 0x150
	s_mov_b64 s[4:5], 0
.LBB126_423:                            ; =>This Inner Loop Header: Depth=1
	buffer_load_dword v142, v139, s[0:3], 0 offen
	v_mov_b32_e32 v143, s14
	ds_read_b32 v143, v143
	v_add_u32_e32 v141, -1, v141
	s_add_i32 s14, s14, 4
	v_cmp_eq_u32_e32 vcc, 0, v141
	v_add_u32_e32 v139, 4, v139
	s_or_b64 s[4:5], vcc, s[4:5]
	s_waitcnt vmcnt(0) lgkmcnt(0)
	v_fmac_f32_e32 v140, v142, v143
	s_andn2_b64 exec, exec, s[4:5]
	s_cbranch_execnz .LBB126_423
; %bb.424:
	s_or_b64 exec, exec, s[4:5]
.LBB126_425:
	s_or_b64 exec, exec, s[12:13]
	v_mov_b32_e32 v139, 0
	ds_read_b32 v139, v139 offset:76
	s_waitcnt lgkmcnt(0)
	v_mul_f32_e32 v139, v140, v139
	buffer_store_dword v139, off, s[0:3], 0 offset:76
.LBB126_426:
	s_or_b64 exec, exec, s[8:9]
	buffer_load_dword v139, off, s[0:3], 0 offset:72
	v_cmp_lt_u32_e64 s[4:5], 18, v0
	s_waitcnt vmcnt(0)
	ds_write_b32 v128, v139
	s_waitcnt lgkmcnt(0)
	; wave barrier
	s_waitcnt lgkmcnt(0)
	s_and_saveexec_b64 s[8:9], s[4:5]
	s_cbranch_execz .LBB126_436
; %bb.427:
	s_andn2_b64 vcc, exec, s[10:11]
	s_cbranch_vccnz .LBB126_429
; %bb.428:
	buffer_load_dword v139, v129, s[0:3], 0 offen
	ds_read_b32 v140, v128
	s_waitcnt vmcnt(0) lgkmcnt(0)
	v_mul_f32_e32 v139, v139, v140
	s_cbranch_execz .LBB126_430
	s_branch .LBB126_431
.LBB126_429:
                                        ; implicit-def: $vgpr139
.LBB126_430:
	ds_read_b32 v139, v128
.LBB126_431:
	s_and_saveexec_b64 s[12:13], s[6:7]
	s_cbranch_execz .LBB126_435
; %bb.432:
	v_mov_b32_e32 v140, 0
	v_add_u32_e32 v140, 0x4c, v140
	v_subrev_u32_e32 v141, 19, v0
	s_movk_i32 s14, 0x14c
	s_mov_b64 s[6:7], 0
.LBB126_433:                            ; =>This Inner Loop Header: Depth=1
	buffer_load_dword v142, v140, s[0:3], 0 offen
	v_mov_b32_e32 v143, s14
	ds_read_b32 v143, v143
	v_add_u32_e32 v141, -1, v141
	s_add_i32 s14, s14, 4
	v_cmp_eq_u32_e32 vcc, 0, v141
	v_add_u32_e32 v140, 4, v140
	s_or_b64 s[6:7], vcc, s[6:7]
	s_waitcnt vmcnt(0) lgkmcnt(0)
	v_fmac_f32_e32 v139, v142, v143
	s_andn2_b64 exec, exec, s[6:7]
	s_cbranch_execnz .LBB126_433
; %bb.434:
	s_or_b64 exec, exec, s[6:7]
.LBB126_435:
	s_or_b64 exec, exec, s[12:13]
	v_mov_b32_e32 v140, 0
	ds_read_b32 v140, v140 offset:72
	s_waitcnt lgkmcnt(0)
	v_mul_f32_e32 v139, v139, v140
	buffer_store_dword v139, off, s[0:3], 0 offset:72
.LBB126_436:
	s_or_b64 exec, exec, s[8:9]
	buffer_load_dword v139, off, s[0:3], 0 offset:68
	v_cmp_lt_u32_e64 s[6:7], 17, v0
	s_waitcnt vmcnt(0)
	ds_write_b32 v128, v139
	s_waitcnt lgkmcnt(0)
	; wave barrier
	s_waitcnt lgkmcnt(0)
	s_and_saveexec_b64 s[8:9], s[6:7]
	s_cbranch_execz .LBB126_446
; %bb.437:
	s_andn2_b64 vcc, exec, s[10:11]
	s_cbranch_vccnz .LBB126_439
; %bb.438:
	buffer_load_dword v139, v129, s[0:3], 0 offen
	ds_read_b32 v140, v128
	s_waitcnt vmcnt(0) lgkmcnt(0)
	v_mul_f32_e32 v139, v139, v140
	s_cbranch_execz .LBB126_440
	s_branch .LBB126_441
.LBB126_439:
                                        ; implicit-def: $vgpr139
.LBB126_440:
	ds_read_b32 v139, v128
.LBB126_441:
	s_and_saveexec_b64 s[12:13], s[4:5]
	s_cbranch_execz .LBB126_445
; %bb.442:
	v_subrev_u32_e32 v140, 18, v0
	s_movk_i32 s14, 0x148
	s_mov_b64 s[4:5], 0
.LBB126_443:                            ; =>This Inner Loop Header: Depth=1
	buffer_load_dword v141, v138, s[0:3], 0 offen
	v_mov_b32_e32 v142, s14
	ds_read_b32 v142, v142
	v_add_u32_e32 v140, -1, v140
	s_add_i32 s14, s14, 4
	v_cmp_eq_u32_e32 vcc, 0, v140
	v_add_u32_e32 v138, 4, v138
	s_or_b64 s[4:5], vcc, s[4:5]
	s_waitcnt vmcnt(0) lgkmcnt(0)
	v_fmac_f32_e32 v139, v141, v142
	s_andn2_b64 exec, exec, s[4:5]
	s_cbranch_execnz .LBB126_443
; %bb.444:
	s_or_b64 exec, exec, s[4:5]
.LBB126_445:
	s_or_b64 exec, exec, s[12:13]
	v_mov_b32_e32 v138, 0
	ds_read_b32 v138, v138 offset:68
	s_waitcnt lgkmcnt(0)
	v_mul_f32_e32 v138, v139, v138
	buffer_store_dword v138, off, s[0:3], 0 offset:68
.LBB126_446:
	s_or_b64 exec, exec, s[8:9]
	buffer_load_dword v138, off, s[0:3], 0 offset:64
	v_cmp_lt_u32_e64 s[4:5], 16, v0
	s_waitcnt vmcnt(0)
	ds_write_b32 v128, v138
	s_waitcnt lgkmcnt(0)
	; wave barrier
	s_waitcnt lgkmcnt(0)
	s_and_saveexec_b64 s[8:9], s[4:5]
	s_cbranch_execz .LBB126_456
; %bb.447:
	s_andn2_b64 vcc, exec, s[10:11]
	s_cbranch_vccnz .LBB126_449
; %bb.448:
	buffer_load_dword v138, v129, s[0:3], 0 offen
	ds_read_b32 v139, v128
	s_waitcnt vmcnt(0) lgkmcnt(0)
	v_mul_f32_e32 v138, v138, v139
	s_cbranch_execz .LBB126_450
	s_branch .LBB126_451
.LBB126_449:
                                        ; implicit-def: $vgpr138
.LBB126_450:
	ds_read_b32 v138, v128
.LBB126_451:
	s_and_saveexec_b64 s[12:13], s[6:7]
	s_cbranch_execz .LBB126_455
; %bb.452:
	v_mov_b32_e32 v139, 0
	v_add_u32_e32 v139, 0x44, v139
	v_subrev_u32_e32 v140, 17, v0
	s_movk_i32 s14, 0x144
	s_mov_b64 s[6:7], 0
.LBB126_453:                            ; =>This Inner Loop Header: Depth=1
	buffer_load_dword v141, v139, s[0:3], 0 offen
	v_mov_b32_e32 v142, s14
	ds_read_b32 v142, v142
	v_add_u32_e32 v140, -1, v140
	s_add_i32 s14, s14, 4
	v_cmp_eq_u32_e32 vcc, 0, v140
	v_add_u32_e32 v139, 4, v139
	s_or_b64 s[6:7], vcc, s[6:7]
	s_waitcnt vmcnt(0) lgkmcnt(0)
	v_fmac_f32_e32 v138, v141, v142
	s_andn2_b64 exec, exec, s[6:7]
	s_cbranch_execnz .LBB126_453
; %bb.454:
	s_or_b64 exec, exec, s[6:7]
.LBB126_455:
	s_or_b64 exec, exec, s[12:13]
	v_mov_b32_e32 v139, 0
	ds_read_b32 v139, v139 offset:64
	s_waitcnt lgkmcnt(0)
	v_mul_f32_e32 v138, v138, v139
	buffer_store_dword v138, off, s[0:3], 0 offset:64
.LBB126_456:
	s_or_b64 exec, exec, s[8:9]
	buffer_load_dword v138, off, s[0:3], 0 offset:60
	v_cmp_lt_u32_e64 s[6:7], 15, v0
	s_waitcnt vmcnt(0)
	ds_write_b32 v128, v138
	s_waitcnt lgkmcnt(0)
	; wave barrier
	s_waitcnt lgkmcnt(0)
	s_and_saveexec_b64 s[8:9], s[6:7]
	s_cbranch_execz .LBB126_466
; %bb.457:
	s_andn2_b64 vcc, exec, s[10:11]
	s_cbranch_vccnz .LBB126_459
; %bb.458:
	buffer_load_dword v138, v129, s[0:3], 0 offen
	ds_read_b32 v139, v128
	s_waitcnt vmcnt(0) lgkmcnt(0)
	v_mul_f32_e32 v138, v138, v139
	s_cbranch_execz .LBB126_460
	s_branch .LBB126_461
.LBB126_459:
                                        ; implicit-def: $vgpr138
.LBB126_460:
	ds_read_b32 v138, v128
.LBB126_461:
	s_and_saveexec_b64 s[12:13], s[4:5]
	s_cbranch_execz .LBB126_465
; %bb.462:
	v_add_u32_e32 v139, -16, v0
	s_movk_i32 s14, 0x140
	s_mov_b64 s[4:5], 0
.LBB126_463:                            ; =>This Inner Loop Header: Depth=1
	buffer_load_dword v140, v137, s[0:3], 0 offen
	v_mov_b32_e32 v141, s14
	ds_read_b32 v141, v141
	v_add_u32_e32 v139, -1, v139
	s_add_i32 s14, s14, 4
	v_cmp_eq_u32_e32 vcc, 0, v139
	v_add_u32_e32 v137, 4, v137
	s_or_b64 s[4:5], vcc, s[4:5]
	s_waitcnt vmcnt(0) lgkmcnt(0)
	v_fmac_f32_e32 v138, v140, v141
	s_andn2_b64 exec, exec, s[4:5]
	s_cbranch_execnz .LBB126_463
; %bb.464:
	s_or_b64 exec, exec, s[4:5]
.LBB126_465:
	s_or_b64 exec, exec, s[12:13]
	v_mov_b32_e32 v137, 0
	ds_read_b32 v137, v137 offset:60
	s_waitcnt lgkmcnt(0)
	v_mul_f32_e32 v137, v138, v137
	buffer_store_dword v137, off, s[0:3], 0 offset:60
.LBB126_466:
	s_or_b64 exec, exec, s[8:9]
	buffer_load_dword v137, off, s[0:3], 0 offset:56
	v_cmp_lt_u32_e64 s[4:5], 14, v0
	s_waitcnt vmcnt(0)
	ds_write_b32 v128, v137
	s_waitcnt lgkmcnt(0)
	; wave barrier
	s_waitcnt lgkmcnt(0)
	s_and_saveexec_b64 s[8:9], s[4:5]
	s_cbranch_execz .LBB126_476
; %bb.467:
	s_andn2_b64 vcc, exec, s[10:11]
	s_cbranch_vccnz .LBB126_469
; %bb.468:
	buffer_load_dword v137, v129, s[0:3], 0 offen
	ds_read_b32 v138, v128
	s_waitcnt vmcnt(0) lgkmcnt(0)
	v_mul_f32_e32 v137, v137, v138
	s_cbranch_execz .LBB126_470
	s_branch .LBB126_471
.LBB126_469:
                                        ; implicit-def: $vgpr137
.LBB126_470:
	ds_read_b32 v137, v128
.LBB126_471:
	s_and_saveexec_b64 s[12:13], s[6:7]
	s_cbranch_execz .LBB126_475
; %bb.472:
	v_mov_b32_e32 v138, 0
	v_add_u32_e32 v138, 60, v138
	v_add_u32_e32 v139, -15, v0
	s_movk_i32 s14, 0x13c
	s_mov_b64 s[6:7], 0
.LBB126_473:                            ; =>This Inner Loop Header: Depth=1
	buffer_load_dword v140, v138, s[0:3], 0 offen
	v_mov_b32_e32 v141, s14
	ds_read_b32 v141, v141
	v_add_u32_e32 v139, -1, v139
	s_add_i32 s14, s14, 4
	v_cmp_eq_u32_e32 vcc, 0, v139
	v_add_u32_e32 v138, 4, v138
	s_or_b64 s[6:7], vcc, s[6:7]
	s_waitcnt vmcnt(0) lgkmcnt(0)
	v_fmac_f32_e32 v137, v140, v141
	s_andn2_b64 exec, exec, s[6:7]
	s_cbranch_execnz .LBB126_473
; %bb.474:
	s_or_b64 exec, exec, s[6:7]
.LBB126_475:
	s_or_b64 exec, exec, s[12:13]
	v_mov_b32_e32 v138, 0
	ds_read_b32 v138, v138 offset:56
	s_waitcnt lgkmcnt(0)
	v_mul_f32_e32 v137, v137, v138
	buffer_store_dword v137, off, s[0:3], 0 offset:56
.LBB126_476:
	s_or_b64 exec, exec, s[8:9]
	buffer_load_dword v137, off, s[0:3], 0 offset:52
	v_cmp_lt_u32_e64 s[6:7], 13, v0
	s_waitcnt vmcnt(0)
	ds_write_b32 v128, v137
	s_waitcnt lgkmcnt(0)
	; wave barrier
	s_waitcnt lgkmcnt(0)
	s_and_saveexec_b64 s[8:9], s[6:7]
	s_cbranch_execz .LBB126_486
; %bb.477:
	s_andn2_b64 vcc, exec, s[10:11]
	s_cbranch_vccnz .LBB126_479
; %bb.478:
	buffer_load_dword v137, v129, s[0:3], 0 offen
	ds_read_b32 v138, v128
	s_waitcnt vmcnt(0) lgkmcnt(0)
	v_mul_f32_e32 v137, v137, v138
	s_cbranch_execz .LBB126_480
	s_branch .LBB126_481
.LBB126_479:
                                        ; implicit-def: $vgpr137
.LBB126_480:
	ds_read_b32 v137, v128
.LBB126_481:
	s_and_saveexec_b64 s[12:13], s[4:5]
	s_cbranch_execz .LBB126_485
; %bb.482:
	v_add_u32_e32 v138, -14, v0
	s_movk_i32 s14, 0x138
	s_mov_b64 s[4:5], 0
.LBB126_483:                            ; =>This Inner Loop Header: Depth=1
	buffer_load_dword v139, v136, s[0:3], 0 offen
	v_mov_b32_e32 v140, s14
	ds_read_b32 v140, v140
	v_add_u32_e32 v138, -1, v138
	s_add_i32 s14, s14, 4
	v_cmp_eq_u32_e32 vcc, 0, v138
	v_add_u32_e32 v136, 4, v136
	s_or_b64 s[4:5], vcc, s[4:5]
	s_waitcnt vmcnt(0) lgkmcnt(0)
	v_fmac_f32_e32 v137, v139, v140
	s_andn2_b64 exec, exec, s[4:5]
	s_cbranch_execnz .LBB126_483
; %bb.484:
	s_or_b64 exec, exec, s[4:5]
.LBB126_485:
	s_or_b64 exec, exec, s[12:13]
	v_mov_b32_e32 v136, 0
	ds_read_b32 v136, v136 offset:52
	s_waitcnt lgkmcnt(0)
	v_mul_f32_e32 v136, v137, v136
	buffer_store_dword v136, off, s[0:3], 0 offset:52
.LBB126_486:
	s_or_b64 exec, exec, s[8:9]
	buffer_load_dword v136, off, s[0:3], 0 offset:48
	v_cmp_lt_u32_e64 s[4:5], 12, v0
	s_waitcnt vmcnt(0)
	ds_write_b32 v128, v136
	s_waitcnt lgkmcnt(0)
	; wave barrier
	s_waitcnt lgkmcnt(0)
	s_and_saveexec_b64 s[8:9], s[4:5]
	s_cbranch_execz .LBB126_496
; %bb.487:
	s_andn2_b64 vcc, exec, s[10:11]
	s_cbranch_vccnz .LBB126_489
; %bb.488:
	buffer_load_dword v136, v129, s[0:3], 0 offen
	ds_read_b32 v137, v128
	s_waitcnt vmcnt(0) lgkmcnt(0)
	v_mul_f32_e32 v136, v136, v137
	s_cbranch_execz .LBB126_490
	s_branch .LBB126_491
.LBB126_489:
                                        ; implicit-def: $vgpr136
.LBB126_490:
	ds_read_b32 v136, v128
.LBB126_491:
	s_and_saveexec_b64 s[12:13], s[6:7]
	s_cbranch_execz .LBB126_495
; %bb.492:
	v_mov_b32_e32 v137, 0
	v_add_u32_e32 v137, 52, v137
	v_add_u32_e32 v138, -13, v0
	s_movk_i32 s14, 0x134
	s_mov_b64 s[6:7], 0
.LBB126_493:                            ; =>This Inner Loop Header: Depth=1
	buffer_load_dword v139, v137, s[0:3], 0 offen
	v_mov_b32_e32 v140, s14
	ds_read_b32 v140, v140
	v_add_u32_e32 v138, -1, v138
	s_add_i32 s14, s14, 4
	v_cmp_eq_u32_e32 vcc, 0, v138
	v_add_u32_e32 v137, 4, v137
	s_or_b64 s[6:7], vcc, s[6:7]
	s_waitcnt vmcnt(0) lgkmcnt(0)
	v_fmac_f32_e32 v136, v139, v140
	s_andn2_b64 exec, exec, s[6:7]
	s_cbranch_execnz .LBB126_493
; %bb.494:
	s_or_b64 exec, exec, s[6:7]
.LBB126_495:
	s_or_b64 exec, exec, s[12:13]
	v_mov_b32_e32 v137, 0
	ds_read_b32 v137, v137 offset:48
	s_waitcnt lgkmcnt(0)
	v_mul_f32_e32 v136, v136, v137
	buffer_store_dword v136, off, s[0:3], 0 offset:48
.LBB126_496:
	s_or_b64 exec, exec, s[8:9]
	buffer_load_dword v136, off, s[0:3], 0 offset:44
	v_cmp_lt_u32_e64 s[6:7], 11, v0
	s_waitcnt vmcnt(0)
	ds_write_b32 v128, v136
	s_waitcnt lgkmcnt(0)
	; wave barrier
	s_waitcnt lgkmcnt(0)
	s_and_saveexec_b64 s[8:9], s[6:7]
	s_cbranch_execz .LBB126_506
; %bb.497:
	s_andn2_b64 vcc, exec, s[10:11]
	s_cbranch_vccnz .LBB126_499
; %bb.498:
	buffer_load_dword v136, v129, s[0:3], 0 offen
	ds_read_b32 v137, v128
	s_waitcnt vmcnt(0) lgkmcnt(0)
	v_mul_f32_e32 v136, v136, v137
	s_cbranch_execz .LBB126_500
	s_branch .LBB126_501
.LBB126_499:
                                        ; implicit-def: $vgpr136
.LBB126_500:
	ds_read_b32 v136, v128
.LBB126_501:
	s_and_saveexec_b64 s[12:13], s[4:5]
	s_cbranch_execz .LBB126_505
; %bb.502:
	v_add_u32_e32 v137, -12, v0
	s_movk_i32 s14, 0x130
	s_mov_b64 s[4:5], 0
.LBB126_503:                            ; =>This Inner Loop Header: Depth=1
	buffer_load_dword v138, v135, s[0:3], 0 offen
	v_mov_b32_e32 v139, s14
	ds_read_b32 v139, v139
	v_add_u32_e32 v137, -1, v137
	s_add_i32 s14, s14, 4
	v_cmp_eq_u32_e32 vcc, 0, v137
	v_add_u32_e32 v135, 4, v135
	s_or_b64 s[4:5], vcc, s[4:5]
	s_waitcnt vmcnt(0) lgkmcnt(0)
	v_fmac_f32_e32 v136, v138, v139
	s_andn2_b64 exec, exec, s[4:5]
	s_cbranch_execnz .LBB126_503
; %bb.504:
	s_or_b64 exec, exec, s[4:5]
.LBB126_505:
	s_or_b64 exec, exec, s[12:13]
	v_mov_b32_e32 v135, 0
	ds_read_b32 v135, v135 offset:44
	s_waitcnt lgkmcnt(0)
	v_mul_f32_e32 v135, v136, v135
	buffer_store_dword v135, off, s[0:3], 0 offset:44
.LBB126_506:
	s_or_b64 exec, exec, s[8:9]
	buffer_load_dword v135, off, s[0:3], 0 offset:40
	v_cmp_lt_u32_e64 s[4:5], 10, v0
	s_waitcnt vmcnt(0)
	ds_write_b32 v128, v135
	s_waitcnt lgkmcnt(0)
	; wave barrier
	s_waitcnt lgkmcnt(0)
	s_and_saveexec_b64 s[8:9], s[4:5]
	s_cbranch_execz .LBB126_516
; %bb.507:
	s_andn2_b64 vcc, exec, s[10:11]
	s_cbranch_vccnz .LBB126_509
; %bb.508:
	buffer_load_dword v135, v129, s[0:3], 0 offen
	ds_read_b32 v136, v128
	s_waitcnt vmcnt(0) lgkmcnt(0)
	v_mul_f32_e32 v135, v135, v136
	s_cbranch_execz .LBB126_510
	s_branch .LBB126_511
.LBB126_509:
                                        ; implicit-def: $vgpr135
.LBB126_510:
	ds_read_b32 v135, v128
.LBB126_511:
	s_and_saveexec_b64 s[12:13], s[6:7]
	s_cbranch_execz .LBB126_515
; %bb.512:
	v_mov_b32_e32 v136, 0
	v_add_u32_e32 v136, 44, v136
	v_add_u32_e32 v137, -11, v0
	s_movk_i32 s14, 0x12c
	s_mov_b64 s[6:7], 0
.LBB126_513:                            ; =>This Inner Loop Header: Depth=1
	buffer_load_dword v138, v136, s[0:3], 0 offen
	v_mov_b32_e32 v139, s14
	ds_read_b32 v139, v139
	v_add_u32_e32 v137, -1, v137
	s_add_i32 s14, s14, 4
	v_cmp_eq_u32_e32 vcc, 0, v137
	v_add_u32_e32 v136, 4, v136
	s_or_b64 s[6:7], vcc, s[6:7]
	s_waitcnt vmcnt(0) lgkmcnt(0)
	v_fmac_f32_e32 v135, v138, v139
	s_andn2_b64 exec, exec, s[6:7]
	s_cbranch_execnz .LBB126_513
; %bb.514:
	s_or_b64 exec, exec, s[6:7]
.LBB126_515:
	s_or_b64 exec, exec, s[12:13]
	v_mov_b32_e32 v136, 0
	ds_read_b32 v136, v136 offset:40
	s_waitcnt lgkmcnt(0)
	v_mul_f32_e32 v135, v135, v136
	buffer_store_dword v135, off, s[0:3], 0 offset:40
.LBB126_516:
	s_or_b64 exec, exec, s[8:9]
	buffer_load_dword v135, off, s[0:3], 0 offset:36
	v_cmp_lt_u32_e64 s[6:7], 9, v0
	s_waitcnt vmcnt(0)
	ds_write_b32 v128, v135
	s_waitcnt lgkmcnt(0)
	; wave barrier
	s_waitcnt lgkmcnt(0)
	s_and_saveexec_b64 s[8:9], s[6:7]
	s_cbranch_execz .LBB126_526
; %bb.517:
	s_andn2_b64 vcc, exec, s[10:11]
	s_cbranch_vccnz .LBB126_519
; %bb.518:
	buffer_load_dword v135, v129, s[0:3], 0 offen
	ds_read_b32 v136, v128
	s_waitcnt vmcnt(0) lgkmcnt(0)
	v_mul_f32_e32 v135, v135, v136
	s_cbranch_execz .LBB126_520
	s_branch .LBB126_521
.LBB126_519:
                                        ; implicit-def: $vgpr135
.LBB126_520:
	ds_read_b32 v135, v128
.LBB126_521:
	s_and_saveexec_b64 s[12:13], s[4:5]
	s_cbranch_execz .LBB126_525
; %bb.522:
	v_add_u32_e32 v136, -10, v0
	s_movk_i32 s14, 0x128
	s_mov_b64 s[4:5], 0
.LBB126_523:                            ; =>This Inner Loop Header: Depth=1
	buffer_load_dword v137, v134, s[0:3], 0 offen
	v_mov_b32_e32 v138, s14
	ds_read_b32 v138, v138
	v_add_u32_e32 v136, -1, v136
	s_add_i32 s14, s14, 4
	v_cmp_eq_u32_e32 vcc, 0, v136
	v_add_u32_e32 v134, 4, v134
	s_or_b64 s[4:5], vcc, s[4:5]
	s_waitcnt vmcnt(0) lgkmcnt(0)
	v_fmac_f32_e32 v135, v137, v138
	s_andn2_b64 exec, exec, s[4:5]
	s_cbranch_execnz .LBB126_523
; %bb.524:
	s_or_b64 exec, exec, s[4:5]
.LBB126_525:
	s_or_b64 exec, exec, s[12:13]
	v_mov_b32_e32 v134, 0
	ds_read_b32 v134, v134 offset:36
	s_waitcnt lgkmcnt(0)
	v_mul_f32_e32 v134, v135, v134
	buffer_store_dword v134, off, s[0:3], 0 offset:36
.LBB126_526:
	s_or_b64 exec, exec, s[8:9]
	buffer_load_dword v134, off, s[0:3], 0 offset:32
	v_cmp_lt_u32_e64 s[4:5], 8, v0
	s_waitcnt vmcnt(0)
	ds_write_b32 v128, v134
	s_waitcnt lgkmcnt(0)
	; wave barrier
	s_waitcnt lgkmcnt(0)
	s_and_saveexec_b64 s[8:9], s[4:5]
	s_cbranch_execz .LBB126_536
; %bb.527:
	s_andn2_b64 vcc, exec, s[10:11]
	s_cbranch_vccnz .LBB126_529
; %bb.528:
	buffer_load_dword v134, v129, s[0:3], 0 offen
	ds_read_b32 v135, v128
	s_waitcnt vmcnt(0) lgkmcnt(0)
	v_mul_f32_e32 v134, v134, v135
	s_cbranch_execz .LBB126_530
	s_branch .LBB126_531
.LBB126_529:
                                        ; implicit-def: $vgpr134
.LBB126_530:
	ds_read_b32 v134, v128
.LBB126_531:
	s_and_saveexec_b64 s[12:13], s[6:7]
	s_cbranch_execz .LBB126_535
; %bb.532:
	v_mov_b32_e32 v135, 0
	v_add_u32_e32 v135, 36, v135
	v_add_u32_e32 v136, -9, v0
	s_movk_i32 s14, 0x124
	s_mov_b64 s[6:7], 0
.LBB126_533:                            ; =>This Inner Loop Header: Depth=1
	buffer_load_dword v137, v135, s[0:3], 0 offen
	v_mov_b32_e32 v138, s14
	ds_read_b32 v138, v138
	v_add_u32_e32 v136, -1, v136
	s_add_i32 s14, s14, 4
	v_cmp_eq_u32_e32 vcc, 0, v136
	v_add_u32_e32 v135, 4, v135
	s_or_b64 s[6:7], vcc, s[6:7]
	s_waitcnt vmcnt(0) lgkmcnt(0)
	v_fmac_f32_e32 v134, v137, v138
	s_andn2_b64 exec, exec, s[6:7]
	s_cbranch_execnz .LBB126_533
; %bb.534:
	s_or_b64 exec, exec, s[6:7]
.LBB126_535:
	s_or_b64 exec, exec, s[12:13]
	v_mov_b32_e32 v135, 0
	ds_read_b32 v135, v135 offset:32
	s_waitcnt lgkmcnt(0)
	v_mul_f32_e32 v134, v134, v135
	buffer_store_dword v134, off, s[0:3], 0 offset:32
.LBB126_536:
	s_or_b64 exec, exec, s[8:9]
	buffer_load_dword v134, off, s[0:3], 0 offset:28
	v_cmp_lt_u32_e64 s[6:7], 7, v0
	s_waitcnt vmcnt(0)
	ds_write_b32 v128, v134
	s_waitcnt lgkmcnt(0)
	; wave barrier
	s_waitcnt lgkmcnt(0)
	s_and_saveexec_b64 s[8:9], s[6:7]
	s_cbranch_execz .LBB126_546
; %bb.537:
	s_andn2_b64 vcc, exec, s[10:11]
	s_cbranch_vccnz .LBB126_539
; %bb.538:
	buffer_load_dword v134, v129, s[0:3], 0 offen
	ds_read_b32 v135, v128
	s_waitcnt vmcnt(0) lgkmcnt(0)
	v_mul_f32_e32 v134, v134, v135
	s_cbranch_execz .LBB126_540
	s_branch .LBB126_541
.LBB126_539:
                                        ; implicit-def: $vgpr134
.LBB126_540:
	ds_read_b32 v134, v128
.LBB126_541:
	s_and_saveexec_b64 s[12:13], s[4:5]
	s_cbranch_execz .LBB126_545
; %bb.542:
	v_add_u32_e32 v135, -8, v0
	s_movk_i32 s14, 0x120
	s_mov_b64 s[4:5], 0
.LBB126_543:                            ; =>This Inner Loop Header: Depth=1
	buffer_load_dword v136, v133, s[0:3], 0 offen
	v_mov_b32_e32 v137, s14
	ds_read_b32 v137, v137
	v_add_u32_e32 v135, -1, v135
	s_add_i32 s14, s14, 4
	v_cmp_eq_u32_e32 vcc, 0, v135
	v_add_u32_e32 v133, 4, v133
	s_or_b64 s[4:5], vcc, s[4:5]
	s_waitcnt vmcnt(0) lgkmcnt(0)
	v_fmac_f32_e32 v134, v136, v137
	s_andn2_b64 exec, exec, s[4:5]
	s_cbranch_execnz .LBB126_543
; %bb.544:
	s_or_b64 exec, exec, s[4:5]
.LBB126_545:
	s_or_b64 exec, exec, s[12:13]
	v_mov_b32_e32 v133, 0
	ds_read_b32 v133, v133 offset:28
	s_waitcnt lgkmcnt(0)
	v_mul_f32_e32 v133, v134, v133
	buffer_store_dword v133, off, s[0:3], 0 offset:28
.LBB126_546:
	s_or_b64 exec, exec, s[8:9]
	buffer_load_dword v133, off, s[0:3], 0 offset:24
	v_cmp_lt_u32_e64 s[4:5], 6, v0
	s_waitcnt vmcnt(0)
	ds_write_b32 v128, v133
	s_waitcnt lgkmcnt(0)
	; wave barrier
	s_waitcnt lgkmcnt(0)
	s_and_saveexec_b64 s[8:9], s[4:5]
	s_cbranch_execz .LBB126_556
; %bb.547:
	s_andn2_b64 vcc, exec, s[10:11]
	s_cbranch_vccnz .LBB126_549
; %bb.548:
	buffer_load_dword v133, v129, s[0:3], 0 offen
	ds_read_b32 v134, v128
	s_waitcnt vmcnt(0) lgkmcnt(0)
	v_mul_f32_e32 v133, v133, v134
	s_cbranch_execz .LBB126_550
	s_branch .LBB126_551
.LBB126_549:
                                        ; implicit-def: $vgpr133
.LBB126_550:
	ds_read_b32 v133, v128
.LBB126_551:
	s_and_saveexec_b64 s[12:13], s[6:7]
	s_cbranch_execz .LBB126_555
; %bb.552:
	v_mov_b32_e32 v134, 0
	v_add_u32_e32 v134, 28, v134
	v_add_u32_e32 v135, -7, v0
	s_movk_i32 s14, 0x11c
	s_mov_b64 s[6:7], 0
.LBB126_553:                            ; =>This Inner Loop Header: Depth=1
	buffer_load_dword v136, v134, s[0:3], 0 offen
	v_mov_b32_e32 v137, s14
	ds_read_b32 v137, v137
	v_add_u32_e32 v135, -1, v135
	s_add_i32 s14, s14, 4
	v_cmp_eq_u32_e32 vcc, 0, v135
	v_add_u32_e32 v134, 4, v134
	s_or_b64 s[6:7], vcc, s[6:7]
	s_waitcnt vmcnt(0) lgkmcnt(0)
	v_fmac_f32_e32 v133, v136, v137
	s_andn2_b64 exec, exec, s[6:7]
	s_cbranch_execnz .LBB126_553
; %bb.554:
	s_or_b64 exec, exec, s[6:7]
.LBB126_555:
	s_or_b64 exec, exec, s[12:13]
	v_mov_b32_e32 v134, 0
	ds_read_b32 v134, v134 offset:24
	s_waitcnt lgkmcnt(0)
	v_mul_f32_e32 v133, v133, v134
	buffer_store_dword v133, off, s[0:3], 0 offset:24
.LBB126_556:
	s_or_b64 exec, exec, s[8:9]
	buffer_load_dword v133, off, s[0:3], 0 offset:20
	v_cmp_lt_u32_e64 s[6:7], 5, v0
	s_waitcnt vmcnt(0)
	ds_write_b32 v128, v133
	s_waitcnt lgkmcnt(0)
	; wave barrier
	s_waitcnt lgkmcnt(0)
	s_and_saveexec_b64 s[8:9], s[6:7]
	s_cbranch_execz .LBB126_566
; %bb.557:
	s_andn2_b64 vcc, exec, s[10:11]
	s_cbranch_vccnz .LBB126_559
; %bb.558:
	buffer_load_dword v133, v129, s[0:3], 0 offen
	ds_read_b32 v134, v128
	s_waitcnt vmcnt(0) lgkmcnt(0)
	v_mul_f32_e32 v133, v133, v134
	s_cbranch_execz .LBB126_560
	s_branch .LBB126_561
.LBB126_559:
                                        ; implicit-def: $vgpr133
.LBB126_560:
	ds_read_b32 v133, v128
.LBB126_561:
	s_and_saveexec_b64 s[12:13], s[4:5]
	s_cbranch_execz .LBB126_565
; %bb.562:
	v_add_u32_e32 v134, -6, v0
	s_movk_i32 s14, 0x118
	s_mov_b64 s[4:5], 0
.LBB126_563:                            ; =>This Inner Loop Header: Depth=1
	buffer_load_dword v135, v132, s[0:3], 0 offen
	v_mov_b32_e32 v136, s14
	ds_read_b32 v136, v136
	v_add_u32_e32 v134, -1, v134
	s_add_i32 s14, s14, 4
	v_cmp_eq_u32_e32 vcc, 0, v134
	v_add_u32_e32 v132, 4, v132
	s_or_b64 s[4:5], vcc, s[4:5]
	s_waitcnt vmcnt(0) lgkmcnt(0)
	v_fmac_f32_e32 v133, v135, v136
	s_andn2_b64 exec, exec, s[4:5]
	s_cbranch_execnz .LBB126_563
; %bb.564:
	s_or_b64 exec, exec, s[4:5]
.LBB126_565:
	s_or_b64 exec, exec, s[12:13]
	v_mov_b32_e32 v132, 0
	ds_read_b32 v132, v132 offset:20
	s_waitcnt lgkmcnt(0)
	v_mul_f32_e32 v132, v133, v132
	buffer_store_dword v132, off, s[0:3], 0 offset:20
.LBB126_566:
	s_or_b64 exec, exec, s[8:9]
	buffer_load_dword v132, off, s[0:3], 0 offset:16
	v_cmp_lt_u32_e64 s[4:5], 4, v0
	s_waitcnt vmcnt(0)
	ds_write_b32 v128, v132
	s_waitcnt lgkmcnt(0)
	; wave barrier
	s_waitcnt lgkmcnt(0)
	s_and_saveexec_b64 s[8:9], s[4:5]
	s_cbranch_execz .LBB126_576
; %bb.567:
	s_andn2_b64 vcc, exec, s[10:11]
	s_cbranch_vccnz .LBB126_569
; %bb.568:
	buffer_load_dword v132, v129, s[0:3], 0 offen
	ds_read_b32 v133, v128
	s_waitcnt vmcnt(0) lgkmcnt(0)
	v_mul_f32_e32 v132, v132, v133
	s_cbranch_execz .LBB126_570
	s_branch .LBB126_571
.LBB126_569:
                                        ; implicit-def: $vgpr132
.LBB126_570:
	ds_read_b32 v132, v128
.LBB126_571:
	s_and_saveexec_b64 s[12:13], s[6:7]
	s_cbranch_execz .LBB126_575
; %bb.572:
	v_mov_b32_e32 v133, 0
	v_add_u32_e32 v133, 20, v133
	v_add_u32_e32 v134, -5, v0
	s_movk_i32 s14, 0x114
	s_mov_b64 s[6:7], 0
.LBB126_573:                            ; =>This Inner Loop Header: Depth=1
	buffer_load_dword v135, v133, s[0:3], 0 offen
	v_mov_b32_e32 v136, s14
	ds_read_b32 v136, v136
	v_add_u32_e32 v134, -1, v134
	s_add_i32 s14, s14, 4
	v_cmp_eq_u32_e32 vcc, 0, v134
	v_add_u32_e32 v133, 4, v133
	s_or_b64 s[6:7], vcc, s[6:7]
	s_waitcnt vmcnt(0) lgkmcnt(0)
	v_fmac_f32_e32 v132, v135, v136
	s_andn2_b64 exec, exec, s[6:7]
	s_cbranch_execnz .LBB126_573
; %bb.574:
	s_or_b64 exec, exec, s[6:7]
.LBB126_575:
	s_or_b64 exec, exec, s[12:13]
	v_mov_b32_e32 v133, 0
	ds_read_b32 v133, v133 offset:16
	s_waitcnt lgkmcnt(0)
	v_mul_f32_e32 v132, v132, v133
	buffer_store_dword v132, off, s[0:3], 0 offset:16
.LBB126_576:
	s_or_b64 exec, exec, s[8:9]
	buffer_load_dword v132, off, s[0:3], 0 offset:12
	v_cmp_lt_u32_e64 s[6:7], 3, v0
	s_waitcnt vmcnt(0)
	ds_write_b32 v128, v132
	s_waitcnt lgkmcnt(0)
	; wave barrier
	s_waitcnt lgkmcnt(0)
	s_and_saveexec_b64 s[8:9], s[6:7]
	s_cbranch_execz .LBB126_586
; %bb.577:
	s_andn2_b64 vcc, exec, s[10:11]
	s_cbranch_vccnz .LBB126_579
; %bb.578:
	buffer_load_dword v132, v129, s[0:3], 0 offen
	ds_read_b32 v133, v128
	s_waitcnt vmcnt(0) lgkmcnt(0)
	v_mul_f32_e32 v132, v132, v133
	s_cbranch_execz .LBB126_580
	s_branch .LBB126_581
.LBB126_579:
                                        ; implicit-def: $vgpr132
.LBB126_580:
	ds_read_b32 v132, v128
.LBB126_581:
	s_and_saveexec_b64 s[12:13], s[4:5]
	s_cbranch_execz .LBB126_585
; %bb.582:
	v_add_u32_e32 v133, -4, v0
	s_movk_i32 s14, 0x110
	s_mov_b64 s[4:5], 0
.LBB126_583:                            ; =>This Inner Loop Header: Depth=1
	buffer_load_dword v134, v131, s[0:3], 0 offen
	v_mov_b32_e32 v135, s14
	ds_read_b32 v135, v135
	v_add_u32_e32 v133, -1, v133
	s_add_i32 s14, s14, 4
	v_cmp_eq_u32_e32 vcc, 0, v133
	v_add_u32_e32 v131, 4, v131
	s_or_b64 s[4:5], vcc, s[4:5]
	s_waitcnt vmcnt(0) lgkmcnt(0)
	v_fmac_f32_e32 v132, v134, v135
	s_andn2_b64 exec, exec, s[4:5]
	s_cbranch_execnz .LBB126_583
; %bb.584:
	s_or_b64 exec, exec, s[4:5]
.LBB126_585:
	s_or_b64 exec, exec, s[12:13]
	v_mov_b32_e32 v131, 0
	ds_read_b32 v131, v131 offset:12
	s_waitcnt lgkmcnt(0)
	v_mul_f32_e32 v131, v132, v131
	buffer_store_dword v131, off, s[0:3], 0 offset:12
.LBB126_586:
	s_or_b64 exec, exec, s[8:9]
	buffer_load_dword v131, off, s[0:3], 0 offset:8
	v_cmp_lt_u32_e64 s[4:5], 2, v0
	s_waitcnt vmcnt(0)
	ds_write_b32 v128, v131
	s_waitcnt lgkmcnt(0)
	; wave barrier
	s_waitcnt lgkmcnt(0)
	s_and_saveexec_b64 s[8:9], s[4:5]
	s_cbranch_execz .LBB126_596
; %bb.587:
	s_andn2_b64 vcc, exec, s[10:11]
	s_cbranch_vccnz .LBB126_589
; %bb.588:
	buffer_load_dword v131, v129, s[0:3], 0 offen
	ds_read_b32 v132, v128
	s_waitcnt vmcnt(0) lgkmcnt(0)
	v_mul_f32_e32 v131, v131, v132
	s_cbranch_execz .LBB126_590
	s_branch .LBB126_591
.LBB126_589:
                                        ; implicit-def: $vgpr131
.LBB126_590:
	ds_read_b32 v131, v128
.LBB126_591:
	s_and_saveexec_b64 s[12:13], s[6:7]
	s_cbranch_execz .LBB126_595
; %bb.592:
	v_mov_b32_e32 v132, 0
	v_or_b32_e32 v132, 12, v132
	v_add_u32_e32 v133, -3, v0
	s_movk_i32 s14, 0x10c
	s_mov_b64 s[6:7], 0
.LBB126_593:                            ; =>This Inner Loop Header: Depth=1
	buffer_load_dword v134, v132, s[0:3], 0 offen
	v_mov_b32_e32 v135, s14
	ds_read_b32 v135, v135
	v_add_u32_e32 v133, -1, v133
	s_add_i32 s14, s14, 4
	v_cmp_eq_u32_e32 vcc, 0, v133
	v_add_u32_e32 v132, 4, v132
	s_or_b64 s[6:7], vcc, s[6:7]
	s_waitcnt vmcnt(0) lgkmcnt(0)
	v_fmac_f32_e32 v131, v134, v135
	s_andn2_b64 exec, exec, s[6:7]
	s_cbranch_execnz .LBB126_593
; %bb.594:
	s_or_b64 exec, exec, s[6:7]
.LBB126_595:
	s_or_b64 exec, exec, s[12:13]
	v_mov_b32_e32 v132, 0
	ds_read_b32 v132, v132 offset:8
	s_waitcnt lgkmcnt(0)
	v_mul_f32_e32 v131, v131, v132
	buffer_store_dword v131, off, s[0:3], 0 offset:8
.LBB126_596:
	s_or_b64 exec, exec, s[8:9]
	buffer_load_dword v131, off, s[0:3], 0 offset:4
	v_cmp_lt_u32_e64 s[6:7], 1, v0
	s_waitcnt vmcnt(0)
	ds_write_b32 v128, v131
	s_waitcnt lgkmcnt(0)
	; wave barrier
	s_waitcnt lgkmcnt(0)
	s_and_saveexec_b64 s[8:9], s[6:7]
	s_cbranch_execz .LBB126_606
; %bb.597:
	s_andn2_b64 vcc, exec, s[10:11]
	s_cbranch_vccnz .LBB126_599
; %bb.598:
	buffer_load_dword v131, v129, s[0:3], 0 offen
	ds_read_b32 v132, v128
	s_waitcnt vmcnt(0) lgkmcnt(0)
	v_mul_f32_e32 v131, v131, v132
	s_cbranch_execz .LBB126_600
	s_branch .LBB126_601
.LBB126_599:
                                        ; implicit-def: $vgpr131
.LBB126_600:
	ds_read_b32 v131, v128
.LBB126_601:
	s_and_saveexec_b64 s[12:13], s[4:5]
	s_cbranch_execz .LBB126_605
; %bb.602:
	v_add_u32_e32 v132, -2, v0
	s_movk_i32 s14, 0x108
	s_mov_b64 s[4:5], 0
.LBB126_603:                            ; =>This Inner Loop Header: Depth=1
	buffer_load_dword v133, v130, s[0:3], 0 offen
	v_mov_b32_e32 v134, s14
	ds_read_b32 v134, v134
	v_add_u32_e32 v132, -1, v132
	s_add_i32 s14, s14, 4
	v_cmp_eq_u32_e32 vcc, 0, v132
	v_add_u32_e32 v130, 4, v130
	s_or_b64 s[4:5], vcc, s[4:5]
	s_waitcnt vmcnt(0) lgkmcnt(0)
	v_fmac_f32_e32 v131, v133, v134
	s_andn2_b64 exec, exec, s[4:5]
	s_cbranch_execnz .LBB126_603
; %bb.604:
	s_or_b64 exec, exec, s[4:5]
.LBB126_605:
	s_or_b64 exec, exec, s[12:13]
	v_mov_b32_e32 v130, 0
	ds_read_b32 v130, v130 offset:4
	s_waitcnt lgkmcnt(0)
	v_mul_f32_e32 v130, v131, v130
	buffer_store_dword v130, off, s[0:3], 0 offset:4
.LBB126_606:
	s_or_b64 exec, exec, s[8:9]
	buffer_load_dword v130, off, s[0:3], 0
	v_cmp_ne_u32_e32 vcc, 0, v0
	s_waitcnt vmcnt(0)
	ds_write_b32 v128, v130
	s_waitcnt lgkmcnt(0)
	; wave barrier
	s_waitcnt lgkmcnt(0)
	s_and_saveexec_b64 s[4:5], vcc
	s_cbranch_execz .LBB126_616
; %bb.607:
	s_andn2_b64 vcc, exec, s[10:11]
	s_cbranch_vccnz .LBB126_609
; %bb.608:
	buffer_load_dword v130, v129, s[0:3], 0 offen
	ds_read_b32 v131, v128
	s_waitcnt vmcnt(0) lgkmcnt(0)
	v_mul_f32_e32 v130, v130, v131
	s_cbranch_execz .LBB126_610
	s_branch .LBB126_611
.LBB126_609:
                                        ; implicit-def: $vgpr130
.LBB126_610:
	ds_read_b32 v130, v128
.LBB126_611:
	s_and_saveexec_b64 s[8:9], s[6:7]
	s_cbranch_execz .LBB126_615
; %bb.612:
	v_mov_b32_e32 v131, 0
	v_or_b32_e32 v131, 4, v131
	v_add_u32_e32 v132, -1, v0
	s_movk_i32 s12, 0x104
	s_mov_b64 s[6:7], 0
.LBB126_613:                            ; =>This Inner Loop Header: Depth=1
	buffer_load_dword v133, v131, s[0:3], 0 offen
	v_mov_b32_e32 v134, s12
	ds_read_b32 v134, v134
	v_add_u32_e32 v132, -1, v132
	s_add_i32 s12, s12, 4
	v_cmp_eq_u32_e32 vcc, 0, v132
	v_add_u32_e32 v131, 4, v131
	s_or_b64 s[6:7], vcc, s[6:7]
	s_waitcnt vmcnt(0) lgkmcnt(0)
	v_fmac_f32_e32 v130, v133, v134
	s_andn2_b64 exec, exec, s[6:7]
	s_cbranch_execnz .LBB126_613
; %bb.614:
	s_or_b64 exec, exec, s[6:7]
.LBB126_615:
	s_or_b64 exec, exec, s[8:9]
	v_mov_b32_e32 v131, 0
	ds_read_b32 v131, v131
	s_waitcnt lgkmcnt(0)
	v_mul_f32_e32 v130, v130, v131
	buffer_store_dword v130, off, s[0:3], 0
.LBB126_616:
	s_or_b64 exec, exec, s[4:5]
	s_mov_b64 s[4:5], 0
.LBB126_617:
	s_and_b64 vcc, exec, s[4:5]
	s_cbranch_vccz .LBB126_1231
; %bb.618:
	buffer_load_dword v130, off, s[0:3], 0 offset:4
	v_cmp_eq_u32_e64 s[6:7], 0, v0
	s_waitcnt vmcnt(0)
	ds_write_b32 v128, v130
	s_waitcnt lgkmcnt(0)
	; wave barrier
	s_waitcnt lgkmcnt(0)
	s_and_saveexec_b64 s[4:5], s[6:7]
	s_cbranch_execz .LBB126_624
; %bb.619:
	s_and_b64 vcc, exec, s[10:11]
	s_cbranch_vccz .LBB126_621
; %bb.620:
	buffer_load_dword v130, v129, s[0:3], 0 offen
	ds_read_b32 v131, v128
	s_waitcnt vmcnt(0) lgkmcnt(0)
	v_mul_f32_e32 v130, v130, v131
	s_cbranch_execz .LBB126_622
	s_branch .LBB126_623
.LBB126_621:
                                        ; implicit-def: $vgpr130
.LBB126_622:
	ds_read_b32 v130, v128
.LBB126_623:
	v_mov_b32_e32 v131, 0
	ds_read_b32 v131, v131 offset:4
	s_waitcnt lgkmcnt(0)
	v_mul_f32_e32 v130, v130, v131
	buffer_store_dword v130, off, s[0:3], 0 offset:4
.LBB126_624:
	s_or_b64 exec, exec, s[4:5]
	buffer_load_dword v130, off, s[0:3], 0 offset:8
	v_cndmask_b32_e64 v131, 0, 1, s[10:11]
	v_cmp_gt_u32_e32 vcc, 2, v0
	v_cmp_ne_u32_e64 s[4:5], 1, v131
	s_waitcnt vmcnt(0)
	ds_write_b32 v128, v130
	s_waitcnt lgkmcnt(0)
	; wave barrier
	s_waitcnt lgkmcnt(0)
	s_and_saveexec_b64 s[8:9], vcc
	s_cbranch_execz .LBB126_632
; %bb.625:
	s_and_b64 vcc, exec, s[4:5]
	s_cbranch_vccnz .LBB126_627
; %bb.626:
	buffer_load_dword v130, v129, s[0:3], 0 offen
	ds_read_b32 v131, v128
	s_waitcnt vmcnt(0) lgkmcnt(0)
	v_mul_f32_e32 v130, v130, v131
	s_cbranch_execz .LBB126_628
	s_branch .LBB126_629
.LBB126_627:
                                        ; implicit-def: $vgpr130
.LBB126_628:
	ds_read_b32 v130, v128
.LBB126_629:
	s_and_saveexec_b64 s[10:11], s[6:7]
	s_cbranch_execz .LBB126_631
; %bb.630:
	buffer_load_dword v131, v129, s[0:3], 0 offen offset:4
	ds_read_b32 v132, v128 offset:4
	s_waitcnt vmcnt(0) lgkmcnt(0)
	v_fmac_f32_e32 v130, v131, v132
.LBB126_631:
	s_or_b64 exec, exec, s[10:11]
	v_mov_b32_e32 v131, 0
	ds_read_b32 v131, v131 offset:8
	s_waitcnt lgkmcnt(0)
	v_mul_f32_e32 v130, v130, v131
	buffer_store_dword v130, off, s[0:3], 0 offset:8
.LBB126_632:
	s_or_b64 exec, exec, s[8:9]
	buffer_load_dword v130, off, s[0:3], 0 offset:12
	v_cmp_gt_u32_e32 vcc, 3, v0
	s_waitcnt vmcnt(0)
	ds_write_b32 v128, v130
	s_waitcnt lgkmcnt(0)
	; wave barrier
	s_waitcnt lgkmcnt(0)
	s_and_saveexec_b64 s[8:9], vcc
	s_cbranch_execz .LBB126_640
; %bb.633:
	s_and_b64 vcc, exec, s[4:5]
	s_cbranch_vccnz .LBB126_635
; %bb.634:
	buffer_load_dword v130, v129, s[0:3], 0 offen
	ds_read_b32 v131, v128
	s_waitcnt vmcnt(0) lgkmcnt(0)
	v_mul_f32_e32 v130, v130, v131
	s_cbranch_execz .LBB126_636
	s_branch .LBB126_637
.LBB126_635:
                                        ; implicit-def: $vgpr130
.LBB126_636:
	ds_read_b32 v130, v128
.LBB126_637:
	v_cmp_ne_u32_e32 vcc, 2, v0
	s_and_saveexec_b64 s[10:11], vcc
	s_cbranch_execz .LBB126_639
; %bb.638:
	buffer_load_dword v131, v129, s[0:3], 0 offen offset:4
	buffer_load_dword v132, off, s[0:3], 0 offset:8
	v_mov_b32_e32 v133, 0
	ds_read_b32 v134, v128 offset:4
	ds_read_b32 v133, v133 offset:264
	s_waitcnt vmcnt(1) lgkmcnt(1)
	v_fmac_f32_e32 v130, v131, v134
	s_waitcnt vmcnt(0) lgkmcnt(0)
	v_fma_f32 v131, v132, v133, v130
	v_cndmask_b32_e64 v130, v130, v131, s[6:7]
.LBB126_639:
	s_or_b64 exec, exec, s[10:11]
	v_mov_b32_e32 v131, 0
	ds_read_b32 v131, v131 offset:12
	s_waitcnt lgkmcnt(0)
	v_mul_f32_e32 v130, v130, v131
	buffer_store_dword v130, off, s[0:3], 0 offset:12
.LBB126_640:
	s_or_b64 exec, exec, s[8:9]
	buffer_load_dword v130, off, s[0:3], 0 offset:16
	v_cmp_gt_u32_e32 vcc, 4, v0
	s_waitcnt vmcnt(0)
	ds_write_b32 v128, v130
	s_waitcnt lgkmcnt(0)
	; wave barrier
	s_waitcnt lgkmcnt(0)
	s_and_saveexec_b64 s[6:7], vcc
	s_cbranch_execz .LBB126_650
; %bb.641:
	s_and_b64 vcc, exec, s[4:5]
	s_cbranch_vccnz .LBB126_643
; %bb.642:
	buffer_load_dword v130, v129, s[0:3], 0 offen
	ds_read_b32 v131, v128
	s_waitcnt vmcnt(0) lgkmcnt(0)
	v_mul_f32_e32 v130, v130, v131
	s_cbranch_execz .LBB126_644
	s_branch .LBB126_645
.LBB126_643:
                                        ; implicit-def: $vgpr130
.LBB126_644:
	ds_read_b32 v130, v128
.LBB126_645:
	v_cmp_ne_u32_e32 vcc, 3, v0
	s_and_saveexec_b64 s[8:9], vcc
	s_cbranch_execz .LBB126_649
; %bb.646:
	v_mov_b32_e32 v132, 0
	v_add_u32_e32 v131, 0x104, v1
	v_add3_u32 v132, v1, v132, 4
	s_mov_b64 s[10:11], 0
	v_mov_b32_e32 v133, v0
.LBB126_647:                            ; =>This Inner Loop Header: Depth=1
	buffer_load_dword v134, v132, s[0:3], 0 offen
	ds_read_b32 v135, v131
	v_add_u32_e32 v133, 1, v133
	v_cmp_lt_u32_e32 vcc, 2, v133
	v_add_u32_e32 v131, 4, v131
	v_add_u32_e32 v132, 4, v132
	s_or_b64 s[10:11], vcc, s[10:11]
	s_waitcnt vmcnt(0) lgkmcnt(0)
	v_fmac_f32_e32 v130, v134, v135
	s_andn2_b64 exec, exec, s[10:11]
	s_cbranch_execnz .LBB126_647
; %bb.648:
	s_or_b64 exec, exec, s[10:11]
.LBB126_649:
	s_or_b64 exec, exec, s[8:9]
	v_mov_b32_e32 v131, 0
	ds_read_b32 v131, v131 offset:16
	s_waitcnt lgkmcnt(0)
	v_mul_f32_e32 v130, v130, v131
	buffer_store_dword v130, off, s[0:3], 0 offset:16
.LBB126_650:
	s_or_b64 exec, exec, s[6:7]
	buffer_load_dword v130, off, s[0:3], 0 offset:20
	v_cmp_gt_u32_e32 vcc, 5, v0
	s_waitcnt vmcnt(0)
	ds_write_b32 v128, v130
	s_waitcnt lgkmcnt(0)
	; wave barrier
	s_waitcnt lgkmcnt(0)
	s_and_saveexec_b64 s[6:7], vcc
	s_cbranch_execz .LBB126_660
; %bb.651:
	s_and_b64 vcc, exec, s[4:5]
	s_cbranch_vccnz .LBB126_653
; %bb.652:
	buffer_load_dword v130, v129, s[0:3], 0 offen
	ds_read_b32 v131, v128
	s_waitcnt vmcnt(0) lgkmcnt(0)
	v_mul_f32_e32 v130, v130, v131
	s_cbranch_execz .LBB126_654
	s_branch .LBB126_655
.LBB126_653:
                                        ; implicit-def: $vgpr130
.LBB126_654:
	ds_read_b32 v130, v128
.LBB126_655:
	v_cmp_ne_u32_e32 vcc, 4, v0
	s_and_saveexec_b64 s[8:9], vcc
	s_cbranch_execz .LBB126_659
; %bb.656:
	v_mov_b32_e32 v132, 0
	v_add_u32_e32 v131, 0x104, v1
	v_add3_u32 v132, v1, v132, 4
	s_mov_b64 s[10:11], 0
	v_mov_b32_e32 v133, v0
.LBB126_657:                            ; =>This Inner Loop Header: Depth=1
	buffer_load_dword v134, v132, s[0:3], 0 offen
	ds_read_b32 v135, v131
	v_add_u32_e32 v133, 1, v133
	v_cmp_lt_u32_e32 vcc, 3, v133
	v_add_u32_e32 v131, 4, v131
	v_add_u32_e32 v132, 4, v132
	s_or_b64 s[10:11], vcc, s[10:11]
	s_waitcnt vmcnt(0) lgkmcnt(0)
	v_fmac_f32_e32 v130, v134, v135
	s_andn2_b64 exec, exec, s[10:11]
	s_cbranch_execnz .LBB126_657
; %bb.658:
	s_or_b64 exec, exec, s[10:11]
.LBB126_659:
	s_or_b64 exec, exec, s[8:9]
	v_mov_b32_e32 v131, 0
	ds_read_b32 v131, v131 offset:20
	s_waitcnt lgkmcnt(0)
	v_mul_f32_e32 v130, v130, v131
	buffer_store_dword v130, off, s[0:3], 0 offset:20
.LBB126_660:
	;; [unrolled: 56-line block ×36, first 2 shown]
	s_or_b64 exec, exec, s[6:7]
	buffer_load_dword v130, off, s[0:3], 0 offset:160
	v_cmp_gt_u32_e32 vcc, 40, v0
	s_waitcnt vmcnt(0)
	ds_write_b32 v128, v130
	s_waitcnt lgkmcnt(0)
	; wave barrier
	s_waitcnt lgkmcnt(0)
	s_and_saveexec_b64 s[6:7], vcc
	s_cbranch_execz .LBB126_1010
; %bb.1001:
	s_and_b64 vcc, exec, s[4:5]
	s_cbranch_vccnz .LBB126_1003
; %bb.1002:
	buffer_load_dword v130, v129, s[0:3], 0 offen
	ds_read_b32 v131, v128
	s_waitcnt vmcnt(0) lgkmcnt(0)
	v_mul_f32_e32 v130, v130, v131
	s_cbranch_execz .LBB126_1004
	s_branch .LBB126_1005
.LBB126_1003:
                                        ; implicit-def: $vgpr130
.LBB126_1004:
	ds_read_b32 v130, v128
.LBB126_1005:
	v_cmp_ne_u32_e32 vcc, 39, v0
	s_and_saveexec_b64 s[8:9], vcc
	s_cbranch_execz .LBB126_1009
; %bb.1006:
	v_mov_b32_e32 v132, 0
	v_add_u32_e32 v131, 0x104, v1
	v_add3_u32 v132, v1, v132, 4
	s_mov_b64 s[10:11], 0
	v_mov_b32_e32 v133, v0
.LBB126_1007:                           ; =>This Inner Loop Header: Depth=1
	buffer_load_dword v134, v132, s[0:3], 0 offen
	ds_read_b32 v135, v131
	v_add_u32_e32 v133, 1, v133
	v_cmp_lt_u32_e32 vcc, 38, v133
	v_add_u32_e32 v131, 4, v131
	v_add_u32_e32 v132, 4, v132
	s_or_b64 s[10:11], vcc, s[10:11]
	s_waitcnt vmcnt(0) lgkmcnt(0)
	v_fmac_f32_e32 v130, v134, v135
	s_andn2_b64 exec, exec, s[10:11]
	s_cbranch_execnz .LBB126_1007
; %bb.1008:
	s_or_b64 exec, exec, s[10:11]
.LBB126_1009:
	s_or_b64 exec, exec, s[8:9]
	v_mov_b32_e32 v131, 0
	ds_read_b32 v131, v131 offset:160
	s_waitcnt lgkmcnt(0)
	v_mul_f32_e32 v130, v130, v131
	buffer_store_dword v130, off, s[0:3], 0 offset:160
.LBB126_1010:
	s_or_b64 exec, exec, s[6:7]
	buffer_load_dword v130, off, s[0:3], 0 offset:164
	v_cmp_gt_u32_e32 vcc, 41, v0
	s_waitcnt vmcnt(0)
	ds_write_b32 v128, v130
	s_waitcnt lgkmcnt(0)
	; wave barrier
	s_waitcnt lgkmcnt(0)
	s_and_saveexec_b64 s[6:7], vcc
	s_cbranch_execz .LBB126_1020
; %bb.1011:
	s_and_b64 vcc, exec, s[4:5]
	s_cbranch_vccnz .LBB126_1013
; %bb.1012:
	buffer_load_dword v130, v129, s[0:3], 0 offen
	ds_read_b32 v131, v128
	s_waitcnt vmcnt(0) lgkmcnt(0)
	v_mul_f32_e32 v130, v130, v131
	s_cbranch_execz .LBB126_1014
	s_branch .LBB126_1015
.LBB126_1013:
                                        ; implicit-def: $vgpr130
.LBB126_1014:
	ds_read_b32 v130, v128
.LBB126_1015:
	v_cmp_ne_u32_e32 vcc, 40, v0
	s_and_saveexec_b64 s[8:9], vcc
	s_cbranch_execz .LBB126_1019
; %bb.1016:
	v_mov_b32_e32 v132, 0
	v_add_u32_e32 v131, 0x104, v1
	v_add3_u32 v132, v1, v132, 4
	s_mov_b64 s[10:11], 0
	v_mov_b32_e32 v133, v0
.LBB126_1017:                           ; =>This Inner Loop Header: Depth=1
	buffer_load_dword v134, v132, s[0:3], 0 offen
	ds_read_b32 v135, v131
	v_add_u32_e32 v133, 1, v133
	v_cmp_lt_u32_e32 vcc, 39, v133
	v_add_u32_e32 v131, 4, v131
	v_add_u32_e32 v132, 4, v132
	s_or_b64 s[10:11], vcc, s[10:11]
	s_waitcnt vmcnt(0) lgkmcnt(0)
	v_fmac_f32_e32 v130, v134, v135
	s_andn2_b64 exec, exec, s[10:11]
	s_cbranch_execnz .LBB126_1017
; %bb.1018:
	s_or_b64 exec, exec, s[10:11]
.LBB126_1019:
	s_or_b64 exec, exec, s[8:9]
	v_mov_b32_e32 v131, 0
	ds_read_b32 v131, v131 offset:164
	s_waitcnt lgkmcnt(0)
	v_mul_f32_e32 v130, v130, v131
	buffer_store_dword v130, off, s[0:3], 0 offset:164
.LBB126_1020:
	;; [unrolled: 56-line block ×21, first 2 shown]
	s_or_b64 exec, exec, s[6:7]
	buffer_load_dword v130, off, s[0:3], 0 offset:244
	v_cmp_gt_u32_e64 s[6:7], 61, v0
	s_waitcnt vmcnt(0)
	ds_write_b32 v128, v130
	s_waitcnt lgkmcnt(0)
	; wave barrier
	s_waitcnt lgkmcnt(0)
	s_and_saveexec_b64 s[8:9], s[6:7]
	s_cbranch_execz .LBB126_1220
; %bb.1211:
	s_and_b64 vcc, exec, s[4:5]
	s_cbranch_vccnz .LBB126_1213
; %bb.1212:
	buffer_load_dword v130, v129, s[0:3], 0 offen
	ds_read_b32 v131, v128
	s_waitcnt vmcnt(0) lgkmcnt(0)
	v_mul_f32_e32 v130, v130, v131
	s_cbranch_execz .LBB126_1214
	s_branch .LBB126_1215
.LBB126_1213:
                                        ; implicit-def: $vgpr130
.LBB126_1214:
	ds_read_b32 v130, v128
.LBB126_1215:
	v_cmp_ne_u32_e32 vcc, 60, v0
	s_and_saveexec_b64 s[10:11], vcc
	s_cbranch_execz .LBB126_1219
; %bb.1216:
	v_mov_b32_e32 v132, 0
	v_add_u32_e32 v131, 0x104, v1
	v_add3_u32 v132, v1, v132, 4
	s_mov_b64 s[12:13], 0
	v_mov_b32_e32 v133, v0
.LBB126_1217:                           ; =>This Inner Loop Header: Depth=1
	buffer_load_dword v134, v132, s[0:3], 0 offen
	ds_read_b32 v135, v131
	v_add_u32_e32 v133, 1, v133
	v_cmp_lt_u32_e32 vcc, 59, v133
	v_add_u32_e32 v131, 4, v131
	v_add_u32_e32 v132, 4, v132
	s_or_b64 s[12:13], vcc, s[12:13]
	s_waitcnt vmcnt(0) lgkmcnt(0)
	v_fmac_f32_e32 v130, v134, v135
	s_andn2_b64 exec, exec, s[12:13]
	s_cbranch_execnz .LBB126_1217
; %bb.1218:
	s_or_b64 exec, exec, s[12:13]
.LBB126_1219:
	s_or_b64 exec, exec, s[10:11]
	v_mov_b32_e32 v131, 0
	ds_read_b32 v131, v131 offset:244
	s_waitcnt lgkmcnt(0)
	v_mul_f32_e32 v130, v130, v131
	buffer_store_dword v130, off, s[0:3], 0 offset:244
.LBB126_1220:
	s_or_b64 exec, exec, s[8:9]
	buffer_load_dword v130, off, s[0:3], 0 offset:248
	v_cmp_ne_u32_e32 vcc, 62, v0
	s_waitcnt vmcnt(0)
	ds_write_b32 v128, v130
	s_waitcnt lgkmcnt(0)
	; wave barrier
	s_waitcnt lgkmcnt(0)
	s_and_saveexec_b64 s[8:9], vcc
	s_cbranch_execz .LBB126_1230
; %bb.1221:
	s_and_b64 vcc, exec, s[4:5]
	s_cbranch_vccnz .LBB126_1223
; %bb.1222:
	buffer_load_dword v129, v129, s[0:3], 0 offen
	ds_read_b32 v130, v128
	s_waitcnt vmcnt(0) lgkmcnt(0)
	v_mul_f32_e32 v129, v129, v130
	s_cbranch_execz .LBB126_1224
	s_branch .LBB126_1225
.LBB126_1223:
                                        ; implicit-def: $vgpr129
.LBB126_1224:
	ds_read_b32 v129, v128
.LBB126_1225:
	s_and_saveexec_b64 s[4:5], s[6:7]
	s_cbranch_execz .LBB126_1229
; %bb.1226:
	v_mov_b32_e32 v130, 0
	v_add_u32_e32 v128, 0x104, v1
	v_add3_u32 v1, v1, v130, 4
	s_mov_b64 s[6:7], 0
.LBB126_1227:                           ; =>This Inner Loop Header: Depth=1
	buffer_load_dword v130, v1, s[0:3], 0 offen
	ds_read_b32 v131, v128
	v_add_u32_e32 v0, 1, v0
	v_cmp_lt_u32_e32 vcc, 60, v0
	v_add_u32_e32 v128, 4, v128
	v_add_u32_e32 v1, 4, v1
	s_or_b64 s[6:7], vcc, s[6:7]
	s_waitcnt vmcnt(0) lgkmcnt(0)
	v_fmac_f32_e32 v129, v130, v131
	s_andn2_b64 exec, exec, s[6:7]
	s_cbranch_execnz .LBB126_1227
; %bb.1228:
	s_or_b64 exec, exec, s[6:7]
.LBB126_1229:
	s_or_b64 exec, exec, s[4:5]
	v_mov_b32_e32 v0, 0
	ds_read_b32 v0, v0 offset:248
	s_waitcnt lgkmcnt(0)
	v_mul_f32_e32 v0, v129, v0
	buffer_store_dword v0, off, s[0:3], 0 offset:248
.LBB126_1230:
	s_or_b64 exec, exec, s[8:9]
.LBB126_1231:
	buffer_load_dword v0, off, s[0:3], 0
	buffer_load_dword v1, off, s[0:3], 0 offset:4
	buffer_load_dword v128, off, s[0:3], 0 offset:8
	;; [unrolled: 1-line block ×31, first 2 shown]
	s_waitcnt vmcnt(31)
	global_store_dword v[120:121], v0, off
	buffer_load_dword v0, off, s[0:3], 0 offset:128
	s_nop 0
	buffer_load_dword v120, off, s[0:3], 0 offset:132
	buffer_load_dword v121, off, s[0:3], 0 offset:136
	;; [unrolled: 1-line block ×7, first 2 shown]
	s_waitcnt vmcnt(39)
	global_store_dword v[116:117], v1, off
	s_waitcnt vmcnt(39)
	global_store_dword v[2:3], v128, off
	s_waitcnt vmcnt(39)
	global_store_dword v[6:7], v129, off
	buffer_load_dword v1, off, s[0:3], 0 offset:160
	buffer_load_dword v2, off, s[0:3], 0 offset:164
	;; [unrolled: 1-line block ×3, first 2 shown]
	s_nop 0
	buffer_load_dword v6, off, s[0:3], 0 offset:172
	buffer_load_dword v7, off, s[0:3], 0 offset:176
	;; [unrolled: 1-line block ×5, first 2 shown]
	s_waitcnt vmcnt(47)
	global_store_dword v[4:5], v130, off
	s_waitcnt vmcnt(47)
	global_store_dword v[10:11], v131, off
	buffer_load_dword v4, off, s[0:3], 0 offset:192
	buffer_load_dword v5, off, s[0:3], 0 offset:196
	s_nop 0
	buffer_load_dword v10, off, s[0:3], 0 offset:200
	buffer_load_dword v11, off, s[0:3], 0 offset:204
	;; [unrolled: 1-line block ×6, first 2 shown]
	s_waitcnt vmcnt(55)
	global_store_dword v[8:9], v132, off
	s_waitcnt vmcnt(55)
	global_store_dword v[12:13], v133, off
	;; [unrolled: 2-line block ×3, first 2 shown]
	buffer_load_dword v8, off, s[0:3], 0 offset:224
	buffer_load_dword v9, off, s[0:3], 0 offset:228
	buffer_load_dword v12, off, s[0:3], 0 offset:232
	buffer_load_dword v13, off, s[0:3], 0 offset:236
	s_nop 0
	buffer_load_dword v16, off, s[0:3], 0 offset:240
	buffer_load_dword v17, off, s[0:3], 0 offset:244
	;; [unrolled: 1-line block ×3, first 2 shown]
	s_waitcnt vmcnt(62)
	global_store_dword v[14:15], v135, off
	s_waitcnt vmcnt(62)
	global_store_dword v[18:19], v136, off
	;; [unrolled: 2-line block ×54, first 2 shown]
.LBB126_1232:
	s_endpgm
	.section	.rodata,"a",@progbits
	.p2align	6, 0x0
	.amdhsa_kernel _ZN9rocsolver6v33100L18trti2_kernel_smallILi63EfPKPfEEv13rocblas_fill_17rocblas_diagonal_T1_iil
		.amdhsa_group_segment_fixed_size 508
		.amdhsa_private_segment_fixed_size 256
		.amdhsa_kernarg_size 32
		.amdhsa_user_sgpr_count 8
		.amdhsa_user_sgpr_private_segment_buffer 1
		.amdhsa_user_sgpr_dispatch_ptr 0
		.amdhsa_user_sgpr_queue_ptr 0
		.amdhsa_user_sgpr_kernarg_segment_ptr 1
		.amdhsa_user_sgpr_dispatch_id 0
		.amdhsa_user_sgpr_flat_scratch_init 1
		.amdhsa_user_sgpr_kernarg_preload_length 0
		.amdhsa_user_sgpr_kernarg_preload_offset 0
		.amdhsa_user_sgpr_private_segment_size 0
		.amdhsa_uses_dynamic_stack 0
		.amdhsa_system_sgpr_private_segment_wavefront_offset 1
		.amdhsa_system_sgpr_workgroup_id_x 1
		.amdhsa_system_sgpr_workgroup_id_y 0
		.amdhsa_system_sgpr_workgroup_id_z 0
		.amdhsa_system_sgpr_workgroup_info 0
		.amdhsa_system_vgpr_workitem_id 0
		.amdhsa_next_free_vgpr 164
		.amdhsa_next_free_sgpr 16
		.amdhsa_accum_offset 164
		.amdhsa_reserve_vcc 1
		.amdhsa_reserve_flat_scratch 0
		.amdhsa_float_round_mode_32 0
		.amdhsa_float_round_mode_16_64 0
		.amdhsa_float_denorm_mode_32 3
		.amdhsa_float_denorm_mode_16_64 3
		.amdhsa_dx10_clamp 1
		.amdhsa_ieee_mode 1
		.amdhsa_fp16_overflow 0
		.amdhsa_tg_split 0
		.amdhsa_exception_fp_ieee_invalid_op 0
		.amdhsa_exception_fp_denorm_src 0
		.amdhsa_exception_fp_ieee_div_zero 0
		.amdhsa_exception_fp_ieee_overflow 0
		.amdhsa_exception_fp_ieee_underflow 0
		.amdhsa_exception_fp_ieee_inexact 0
		.amdhsa_exception_int_div_zero 0
	.end_amdhsa_kernel
	.section	.text._ZN9rocsolver6v33100L18trti2_kernel_smallILi63EfPKPfEEv13rocblas_fill_17rocblas_diagonal_T1_iil,"axG",@progbits,_ZN9rocsolver6v33100L18trti2_kernel_smallILi63EfPKPfEEv13rocblas_fill_17rocblas_diagonal_T1_iil,comdat
.Lfunc_end126:
	.size	_ZN9rocsolver6v33100L18trti2_kernel_smallILi63EfPKPfEEv13rocblas_fill_17rocblas_diagonal_T1_iil, .Lfunc_end126-_ZN9rocsolver6v33100L18trti2_kernel_smallILi63EfPKPfEEv13rocblas_fill_17rocblas_diagonal_T1_iil
                                        ; -- End function
	.section	.AMDGPU.csdata,"",@progbits
; Kernel info:
; codeLenInByte = 30988
; NumSgprs: 20
; NumVgprs: 164
; NumAgprs: 0
; TotalNumVgprs: 164
; ScratchSize: 256
; MemoryBound: 0
; FloatMode: 240
; IeeeMode: 1
; LDSByteSize: 508 bytes/workgroup (compile time only)
; SGPRBlocks: 2
; VGPRBlocks: 20
; NumSGPRsForWavesPerEU: 20
; NumVGPRsForWavesPerEU: 164
; AccumOffset: 164
; Occupancy: 3
; WaveLimiterHint : 1
; COMPUTE_PGM_RSRC2:SCRATCH_EN: 1
; COMPUTE_PGM_RSRC2:USER_SGPR: 8
; COMPUTE_PGM_RSRC2:TRAP_HANDLER: 0
; COMPUTE_PGM_RSRC2:TGID_X_EN: 1
; COMPUTE_PGM_RSRC2:TGID_Y_EN: 0
; COMPUTE_PGM_RSRC2:TGID_Z_EN: 0
; COMPUTE_PGM_RSRC2:TIDIG_COMP_CNT: 0
; COMPUTE_PGM_RSRC3_GFX90A:ACCUM_OFFSET: 40
; COMPUTE_PGM_RSRC3_GFX90A:TG_SPLIT: 0
	.section	.text._ZN9rocsolver6v33100L18trti2_kernel_smallILi64EfPKPfEEv13rocblas_fill_17rocblas_diagonal_T1_iil,"axG",@progbits,_ZN9rocsolver6v33100L18trti2_kernel_smallILi64EfPKPfEEv13rocblas_fill_17rocblas_diagonal_T1_iil,comdat
	.globl	_ZN9rocsolver6v33100L18trti2_kernel_smallILi64EfPKPfEEv13rocblas_fill_17rocblas_diagonal_T1_iil ; -- Begin function _ZN9rocsolver6v33100L18trti2_kernel_smallILi64EfPKPfEEv13rocblas_fill_17rocblas_diagonal_T1_iil
	.p2align	8
	.type	_ZN9rocsolver6v33100L18trti2_kernel_smallILi64EfPKPfEEv13rocblas_fill_17rocblas_diagonal_T1_iil,@function
_ZN9rocsolver6v33100L18trti2_kernel_smallILi64EfPKPfEEv13rocblas_fill_17rocblas_diagonal_T1_iil: ; @_ZN9rocsolver6v33100L18trti2_kernel_smallILi64EfPKPfEEv13rocblas_fill_17rocblas_diagonal_T1_iil
; %bb.0:
	s_add_u32 s0, s0, s9
	s_addc_u32 s1, s1, 0
	v_cmp_gt_u32_e32 vcc, 64, v0
	s_and_saveexec_b64 s[6:7], vcc
	s_cbranch_execz .LBB127_1252
; %bb.1:
	s_load_dwordx2 s[6:7], s[4:5], 0x10
	s_load_dwordx4 s[12:15], s[4:5], 0x0
	s_ashr_i32 s9, s8, 31
	s_lshl_b64 s[4:5], s[8:9], 3
	s_waitcnt lgkmcnt(0)
	s_ashr_i32 s9, s6, 31
	s_add_u32 s4, s14, s4
	s_addc_u32 s5, s15, s5
	s_load_dwordx2 s[4:5], s[4:5], 0x0
	s_mov_b32 s8, s6
	s_lshl_b64 s[8:9], s[8:9], 2
	s_waitcnt lgkmcnt(0)
	s_add_u32 s4, s4, s8
	s_addc_u32 s5, s5, s9
	s_add_i32 s6, s7, s7
	v_add_u32_e32 v4, s6, v0
	v_ashrrev_i32_e32 v5, 31, v4
	v_lshlrev_b64 v[2:3], 2, v[4:5]
	v_add_u32_e32 v4, s7, v4
	v_mov_b32_e32 v1, s5
	v_add_co_u32_e32 v2, vcc, s4, v2
	v_ashrrev_i32_e32 v5, 31, v4
	v_addc_co_u32_e32 v3, vcc, v1, v3, vcc
	v_lshlrev_b64 v[6:7], 2, v[4:5]
	v_add_u32_e32 v8, s7, v4
	v_add_co_u32_e32 v6, vcc, s4, v6
	v_ashrrev_i32_e32 v9, 31, v8
	v_addc_co_u32_e32 v7, vcc, v1, v7, vcc
	v_lshlrev_b64 v[4:5], 2, v[8:9]
	v_add_u32_e32 v10, s7, v8
	;; [unrolled: 5-line block ×56, first 2 shown]
	v_add_co_u32_e32 v114, vcc, s4, v114
	v_ashrrev_i32_e32 v119, 31, v118
	v_addc_co_u32_e32 v115, vcc, v1, v115, vcc
	v_lshlrev_b64 v[116:117], 2, v[118:119]
	v_add_co_u32_e32 v116, vcc, s4, v116
	v_add_u32_e32 v120, s7, v118
	v_addc_co_u32_e32 v117, vcc, v1, v117, vcc
	v_ashrrev_i32_e32 v121, 31, v120
	v_lshlrev_b32_e32 v1, 2, v0
	v_lshlrev_b64 v[118:119], 2, v[120:121]
	v_mov_b32_e32 v121, s5
	v_add_co_u32_e32 v124, vcc, s4, v1
	s_ashr_i32 s9, s7, 31
	s_mov_b32 s8, s7
	v_addc_co_u32_e32 v125, vcc, 0, v121, vcc
	s_lshl_b64 s[8:9], s[8:9], 2
	v_mov_b32_e32 v121, s9
	v_add_co_u32_e32 v128, vcc, s8, v124
	v_addc_co_u32_e32 v129, vcc, v125, v121, vcc
	v_mov_b32_e32 v122, s5
	v_add_co_u32_e32 v118, vcc, s4, v118
	v_addc_co_u32_e32 v119, vcc, v122, v119, vcc
	v_add_u32_e32 v122, s7, v120
	v_ashrrev_i32_e32 v123, 31, v122
	v_lshlrev_b64 v[120:121], 2, v[122:123]
	v_mov_b32_e32 v126, s5
	v_add_co_u32_e32 v120, vcc, s4, v120
	v_addc_co_u32_e32 v121, vcc, v126, v121, vcc
	v_add_u32_e32 v126, s7, v122
	v_ashrrev_i32_e32 v127, 31, v126
	v_lshlrev_b64 v[122:123], 2, v[126:127]
	v_add_u32_e32 v126, s7, v126
	global_load_dword v130, v1, s[4:5]
	global_load_dword v131, v[128:129], off
	global_load_dword v132, v[2:3], off
	;; [unrolled: 1-line block ×24, first 2 shown]
	v_mov_b32_e32 v157, s5
	v_add_co_u32_e32 v122, vcc, s4, v122
	v_ashrrev_i32_e32 v127, 31, v126
	v_addc_co_u32_e32 v123, vcc, v157, v123, vcc
	v_lshlrev_b64 v[126:127], 2, v[126:127]
	v_add_co_u32_e32 v126, vcc, s4, v126
	global_load_dword v155, v[48:49], off
	global_load_dword v156, v[52:53], off
	v_addc_co_u32_e32 v127, vcc, v157, v127, vcc
	global_load_dword v157, v[62:63], off
	global_load_dword v158, v[58:59], off
	;; [unrolled: 1-line block ×7, first 2 shown]
	s_waitcnt vmcnt(33)
	buffer_store_dword v130, off, s[0:3], 0
	s_waitcnt vmcnt(33)
	buffer_store_dword v131, off, s[0:3], 0 offset:4
	s_waitcnt vmcnt(33)
	buffer_store_dword v132, off, s[0:3], 0 offset:8
	;; [unrolled: 2-line block ×11, first 2 shown]
	buffer_store_dword v140, off, s[0:3], 0 offset:48
	buffer_store_dword v141, off, s[0:3], 0 offset:52
	buffer_store_dword v142, off, s[0:3], 0 offset:56
	buffer_store_dword v143, off, s[0:3], 0 offset:60
	buffer_store_dword v144, off, s[0:3], 0 offset:64
	s_waitcnt vmcnt(33)
	buffer_store_dword v147, off, s[0:3], 0 offset:68
	s_waitcnt vmcnt(33)
	buffer_store_dword v148, off, s[0:3], 0 offset:72
	;; [unrolled: 2-line block ×5, first 2 shown]
	buffer_store_dword v151, off, s[0:3], 0 offset:92
	buffer_store_dword v152, off, s[0:3], 0 offset:88
	s_waitcnt vmcnt(32)
	buffer_store_dword v155, off, s[0:3], 0 offset:100
	buffer_store_dword v150, off, s[0:3], 0 offset:96
	s_waitcnt vmcnt(33)
	buffer_store_dword v156, off, s[0:3], 0 offset:108
	global_load_dword v130, v[64:65], off
	global_load_dword v131, v[78:79], off
	;; [unrolled: 1-line block ×24, first 2 shown]
	s_waitcnt vmcnt(54)
	buffer_store_dword v160, off, s[0:3], 0 offset:104
	s_waitcnt vmcnt(54)
	buffer_store_dword v161, off, s[0:3], 0 offset:116
	buffer_store_dword v159, off, s[0:3], 0 offset:112
	global_load_dword v154, v[112:113], off
	global_load_dword v155, v[122:123], off
	global_load_dword v156, v[118:119], off
	s_nop 0
	global_load_dword v159, v[116:117], off
	global_load_dword v160, v[114:115], off
	;; [unrolled: 1-line block ×3, first 2 shown]
	s_cmpk_lg_i32 s13, 0x84
	s_waitcnt vmcnt(61)
	buffer_store_dword v162, off, s[0:3], 0 offset:124
	buffer_store_dword v158, off, s[0:3], 0 offset:120
	s_waitcnt vmcnt(34)
	buffer_store_dword v130, off, s[0:3], 0 offset:132
	buffer_store_dword v157, off, s[0:3], 0 offset:128
	s_waitcnt vmcnt(30)
	buffer_store_dword v136, off, s[0:3], 0 offset:140
	s_waitcnt vmcnt(30)
	buffer_store_dword v137, off, s[0:3], 0 offset:136
	buffer_store_dword v134, off, s[0:3], 0 offset:148
	buffer_store_dword v135, off, s[0:3], 0 offset:144
	buffer_store_dword v132, off, s[0:3], 0 offset:156
	buffer_store_dword v133, off, s[0:3], 0 offset:152
	s_waitcnt vmcnt(34)
	buffer_store_dword v138, off, s[0:3], 0 offset:164
	buffer_store_dword v131, off, s[0:3], 0 offset:160
	s_waitcnt vmcnt(30)
	buffer_store_dword v144, off, s[0:3], 0 offset:172
	s_waitcnt vmcnt(30)
	buffer_store_dword v145, off, s[0:3], 0 offset:168
	buffer_store_dword v142, off, s[0:3], 0 offset:180
	buffer_store_dword v143, off, s[0:3], 0 offset:176
	;; [unrolled: 11-line block ×3, first 2 shown]
	buffer_store_dword v148, off, s[0:3], 0 offset:220
	buffer_store_dword v149, off, s[0:3], 0 offset:216
	s_waitcnt vmcnt(31)
	buffer_store_dword v154, off, s[0:3], 0 offset:228
	buffer_store_dword v147, off, s[0:3], 0 offset:224
	s_waitcnt vmcnt(30)
	buffer_store_dword v159, off, s[0:3], 0 offset:236
	s_waitcnt vmcnt(30)
	;; [unrolled: 2-line block ×3, first 2 shown]
	buffer_store_dword v161, off, s[0:3], 0 offset:244
	buffer_store_dword v156, off, s[0:3], 0 offset:240
	;; [unrolled: 1-line block ×4, first 2 shown]
	s_cselect_b64 s[8:9], -1, 0
	s_cmpk_eq_i32 s13, 0x84
	v_mov_b32_e32 v161, 0
	v_mov_b32_e32 v130, -1.0
	s_cbranch_scc1 .LBB127_3
; %bb.2:
	v_lshl_add_u32 v130, v0, 2, v161
	buffer_load_dword v131, v130, s[0:3], 0 offen
	s_waitcnt vmcnt(0)
	v_div_scale_f32 v132, s[4:5], v131, v131, 1.0
	v_rcp_f32_e32 v133, v132
	v_div_scale_f32 v134, vcc, 1.0, v131, 1.0
	v_fma_f32 v135, -v132, v133, 1.0
	v_fmac_f32_e32 v133, v135, v133
	v_mul_f32_e32 v135, v134, v133
	v_fma_f32 v136, -v132, v135, v134
	v_fmac_f32_e32 v135, v136, v133
	v_fma_f32 v132, -v132, v135, v134
	v_div_fmas_f32 v132, v132, v133, v135
	v_div_fixup_f32 v131, v132, v131, 1.0
	buffer_store_dword v131, v130, s[0:3], 0 offen
	v_xor_b32_e32 v130, 0x80000000, v131
.LBB127_3:
	ds_write_b32 v1, v130
	s_cmpk_eq_i32 s12, 0x79
	v_or_b32_e32 v130, 0x100, v1
	v_add_u32_e32 v131, 0, v1
	s_mov_b64 s[4:5], -1
	s_cbranch_scc1 .LBB127_627
; %bb.4:
	buffer_load_dword v132, off, s[0:3], 0 offset:248
	v_cmp_eq_u32_e64 s[4:5], 63, v0
	s_waitcnt vmcnt(0)
	ds_write_b32 v130, v132
	s_waitcnt lgkmcnt(0)
	; wave barrier
	s_waitcnt lgkmcnt(0)
	s_and_saveexec_b64 s[6:7], s[4:5]
	s_cbranch_execz .LBB127_10
; %bb.5:
	s_and_b64 vcc, exec, s[8:9]
	s_cbranch_vccz .LBB127_7
; %bb.6:
	buffer_load_dword v132, v131, s[0:3], 0 offen
	ds_read_b32 v133, v130
	s_waitcnt vmcnt(0) lgkmcnt(0)
	v_mul_f32_e32 v132, v132, v133
	s_cbranch_execz .LBB127_8
	s_branch .LBB127_9
.LBB127_7:
                                        ; implicit-def: $vgpr132
.LBB127_8:
	ds_read_b32 v132, v130
.LBB127_9:
	v_mov_b32_e32 v133, 0
	ds_read_b32 v133, v133 offset:248
	s_waitcnt lgkmcnt(0)
	v_mul_f32_e32 v132, v132, v133
	buffer_store_dword v132, off, s[0:3], 0 offset:248
.LBB127_10:
	s_or_b64 exec, exec, s[6:7]
	buffer_load_dword v162, off, s[0:3], 0 offset:244
	v_or_b32_e32 v132, 8, v161
	v_add_u32_e32 v133, 16, v161
	v_add_u32_e32 v134, 24, v161
	;; [unrolled: 1-line block ×29, first 2 shown]
	v_cmp_lt_u32_e64 s[6:7], 61, v0
	s_waitcnt vmcnt(0)
	ds_write_b32 v130, v162
	s_waitcnt lgkmcnt(0)
	; wave barrier
	s_waitcnt lgkmcnt(0)
	s_and_saveexec_b64 s[10:11], s[6:7]
	s_cbranch_execz .LBB127_16
; %bb.11:
	s_andn2_b64 vcc, exec, s[8:9]
	s_cbranch_vccnz .LBB127_13
; %bb.12:
	buffer_load_dword v162, v131, s[0:3], 0 offen
	ds_read_b32 v163, v130
	s_waitcnt vmcnt(0) lgkmcnt(0)
	v_mul_f32_e32 v162, v162, v163
	s_cbranch_execz .LBB127_14
	s_branch .LBB127_15
.LBB127_13:
                                        ; implicit-def: $vgpr162
.LBB127_14:
	ds_read_b32 v162, v130
.LBB127_15:
	buffer_load_dword v163, off, s[0:3], 0 offset:248
	v_mov_b32_e32 v164, 0
	ds_read2_b32 v[164:165], v164 offset0:61 offset1:126
	s_waitcnt vmcnt(0) lgkmcnt(0)
	v_fma_f32 v163, v163, v165, v162
	v_cndmask_b32_e64 v162, v162, v163, s[4:5]
	v_mul_f32_e32 v162, v162, v164
	buffer_store_dword v162, off, s[0:3], 0 offset:244
.LBB127_16:
	s_or_b64 exec, exec, s[10:11]
	buffer_load_dword v162, off, s[0:3], 0 offset:240
	v_cmp_lt_u32_e64 s[4:5], 60, v0
	s_waitcnt vmcnt(0)
	ds_write_b32 v130, v162
	s_waitcnt lgkmcnt(0)
	; wave barrier
	s_waitcnt lgkmcnt(0)
	s_and_saveexec_b64 s[10:11], s[4:5]
	s_cbranch_execz .LBB127_26
; %bb.17:
	s_andn2_b64 vcc, exec, s[8:9]
	s_cbranch_vccnz .LBB127_19
; %bb.18:
	buffer_load_dword v162, v131, s[0:3], 0 offen
	ds_read_b32 v163, v130
	s_waitcnt vmcnt(0) lgkmcnt(0)
	v_mul_f32_e32 v162, v162, v163
	s_cbranch_execz .LBB127_20
	s_branch .LBB127_21
.LBB127_19:
                                        ; implicit-def: $vgpr162
.LBB127_20:
	ds_read_b32 v162, v130
.LBB127_21:
	s_and_saveexec_b64 s[12:13], s[6:7]
	s_cbranch_execz .LBB127_25
; %bb.22:
	v_mov_b32_e32 v163, 0
	v_add_u32_e32 v163, 0xf4, v163
	v_subrev_u32_e32 v164, 61, v0
	s_movk_i32 s14, 0x1f4
	s_mov_b64 s[6:7], 0
.LBB127_23:                             ; =>This Inner Loop Header: Depth=1
	buffer_load_dword v165, v163, s[0:3], 0 offen
	v_mov_b32_e32 v166, s14
	ds_read_b32 v166, v166
	v_add_u32_e32 v164, -1, v164
	s_add_i32 s14, s14, 4
	v_cmp_eq_u32_e32 vcc, 0, v164
	v_add_u32_e32 v163, 4, v163
	s_or_b64 s[6:7], vcc, s[6:7]
	s_waitcnt vmcnt(0) lgkmcnt(0)
	v_fmac_f32_e32 v162, v165, v166
	s_andn2_b64 exec, exec, s[6:7]
	s_cbranch_execnz .LBB127_23
; %bb.24:
	s_or_b64 exec, exec, s[6:7]
.LBB127_25:
	s_or_b64 exec, exec, s[12:13]
	v_mov_b32_e32 v163, 0
	ds_read_b32 v163, v163 offset:240
	s_waitcnt lgkmcnt(0)
	v_mul_f32_e32 v162, v162, v163
	buffer_store_dword v162, off, s[0:3], 0 offset:240
.LBB127_26:
	s_or_b64 exec, exec, s[10:11]
	buffer_load_dword v162, off, s[0:3], 0 offset:236
	v_cmp_lt_u32_e64 s[6:7], 59, v0
	s_waitcnt vmcnt(0)
	ds_write_b32 v130, v162
	s_waitcnt lgkmcnt(0)
	; wave barrier
	s_waitcnt lgkmcnt(0)
	s_and_saveexec_b64 s[10:11], s[6:7]
	s_cbranch_execz .LBB127_36
; %bb.27:
	s_andn2_b64 vcc, exec, s[8:9]
	s_cbranch_vccnz .LBB127_29
; %bb.28:
	buffer_load_dword v162, v131, s[0:3], 0 offen
	ds_read_b32 v163, v130
	s_waitcnt vmcnt(0) lgkmcnt(0)
	v_mul_f32_e32 v162, v162, v163
	s_cbranch_execz .LBB127_30
	s_branch .LBB127_31
.LBB127_29:
                                        ; implicit-def: $vgpr162
.LBB127_30:
	ds_read_b32 v162, v130
.LBB127_31:
	s_and_saveexec_b64 s[12:13], s[4:5]
	s_cbranch_execz .LBB127_35
; %bb.32:
	v_subrev_u32_e32 v163, 60, v0
	s_movk_i32 s14, 0x1f0
	s_mov_b64 s[4:5], 0
.LBB127_33:                             ; =>This Inner Loop Header: Depth=1
	buffer_load_dword v164, v161, s[0:3], 0 offen
	v_mov_b32_e32 v165, s14
	ds_read_b32 v165, v165
	v_add_u32_e32 v163, -1, v163
	s_add_i32 s14, s14, 4
	v_cmp_eq_u32_e32 vcc, 0, v163
	v_add_u32_e32 v161, 4, v161
	s_or_b64 s[4:5], vcc, s[4:5]
	s_waitcnt vmcnt(0) lgkmcnt(0)
	v_fmac_f32_e32 v162, v164, v165
	s_andn2_b64 exec, exec, s[4:5]
	s_cbranch_execnz .LBB127_33
; %bb.34:
	s_or_b64 exec, exec, s[4:5]
.LBB127_35:
	s_or_b64 exec, exec, s[12:13]
	v_mov_b32_e32 v161, 0
	ds_read_b32 v161, v161 offset:236
	s_waitcnt lgkmcnt(0)
	v_mul_f32_e32 v161, v162, v161
	buffer_store_dword v161, off, s[0:3], 0 offset:236
.LBB127_36:
	s_or_b64 exec, exec, s[10:11]
	buffer_load_dword v161, off, s[0:3], 0 offset:232
	v_cmp_lt_u32_e64 s[4:5], 58, v0
	s_waitcnt vmcnt(0)
	ds_write_b32 v130, v161
	s_waitcnt lgkmcnt(0)
	; wave barrier
	s_waitcnt lgkmcnt(0)
	s_and_saveexec_b64 s[10:11], s[4:5]
	s_cbranch_execz .LBB127_46
; %bb.37:
	s_andn2_b64 vcc, exec, s[8:9]
	s_cbranch_vccnz .LBB127_39
; %bb.38:
	buffer_load_dword v161, v131, s[0:3], 0 offen
	ds_read_b32 v162, v130
	s_waitcnt vmcnt(0) lgkmcnt(0)
	v_mul_f32_e32 v161, v161, v162
	s_cbranch_execz .LBB127_40
	s_branch .LBB127_41
.LBB127_39:
                                        ; implicit-def: $vgpr161
.LBB127_40:
	ds_read_b32 v161, v130
.LBB127_41:
	s_and_saveexec_b64 s[12:13], s[6:7]
	s_cbranch_execz .LBB127_45
; %bb.42:
	v_mov_b32_e32 v162, 0
	v_add_u32_e32 v162, 0xec, v162
	v_subrev_u32_e32 v163, 59, v0
	s_movk_i32 s14, 0x1ec
	s_mov_b64 s[6:7], 0
.LBB127_43:                             ; =>This Inner Loop Header: Depth=1
	buffer_load_dword v164, v162, s[0:3], 0 offen
	v_mov_b32_e32 v165, s14
	ds_read_b32 v165, v165
	v_add_u32_e32 v163, -1, v163
	s_add_i32 s14, s14, 4
	v_cmp_eq_u32_e32 vcc, 0, v163
	v_add_u32_e32 v162, 4, v162
	s_or_b64 s[6:7], vcc, s[6:7]
	s_waitcnt vmcnt(0) lgkmcnt(0)
	v_fmac_f32_e32 v161, v164, v165
	s_andn2_b64 exec, exec, s[6:7]
	s_cbranch_execnz .LBB127_43
; %bb.44:
	s_or_b64 exec, exec, s[6:7]
.LBB127_45:
	s_or_b64 exec, exec, s[12:13]
	v_mov_b32_e32 v162, 0
	ds_read_b32 v162, v162 offset:232
	s_waitcnt lgkmcnt(0)
	v_mul_f32_e32 v161, v161, v162
	buffer_store_dword v161, off, s[0:3], 0 offset:232
.LBB127_46:
	s_or_b64 exec, exec, s[10:11]
	buffer_load_dword v161, off, s[0:3], 0 offset:228
	v_cmp_lt_u32_e64 s[6:7], 57, v0
	s_waitcnt vmcnt(0)
	ds_write_b32 v130, v161
	s_waitcnt lgkmcnt(0)
	; wave barrier
	s_waitcnt lgkmcnt(0)
	s_and_saveexec_b64 s[10:11], s[6:7]
	s_cbranch_execz .LBB127_56
; %bb.47:
	s_andn2_b64 vcc, exec, s[8:9]
	s_cbranch_vccnz .LBB127_49
; %bb.48:
	buffer_load_dword v161, v131, s[0:3], 0 offen
	ds_read_b32 v162, v130
	s_waitcnt vmcnt(0) lgkmcnt(0)
	v_mul_f32_e32 v161, v161, v162
	s_cbranch_execz .LBB127_50
	s_branch .LBB127_51
.LBB127_49:
                                        ; implicit-def: $vgpr161
.LBB127_50:
	ds_read_b32 v161, v130
.LBB127_51:
	s_and_saveexec_b64 s[12:13], s[4:5]
	s_cbranch_execz .LBB127_55
; %bb.52:
	v_subrev_u32_e32 v162, 58, v0
	s_movk_i32 s14, 0x1e8
	s_mov_b64 s[4:5], 0
.LBB127_53:                             ; =>This Inner Loop Header: Depth=1
	buffer_load_dword v163, v160, s[0:3], 0 offen
	v_mov_b32_e32 v164, s14
	ds_read_b32 v164, v164
	v_add_u32_e32 v162, -1, v162
	s_add_i32 s14, s14, 4
	v_cmp_eq_u32_e32 vcc, 0, v162
	v_add_u32_e32 v160, 4, v160
	s_or_b64 s[4:5], vcc, s[4:5]
	s_waitcnt vmcnt(0) lgkmcnt(0)
	v_fmac_f32_e32 v161, v163, v164
	s_andn2_b64 exec, exec, s[4:5]
	s_cbranch_execnz .LBB127_53
; %bb.54:
	s_or_b64 exec, exec, s[4:5]
.LBB127_55:
	s_or_b64 exec, exec, s[12:13]
	v_mov_b32_e32 v160, 0
	ds_read_b32 v160, v160 offset:228
	s_waitcnt lgkmcnt(0)
	v_mul_f32_e32 v160, v161, v160
	buffer_store_dword v160, off, s[0:3], 0 offset:228
.LBB127_56:
	s_or_b64 exec, exec, s[10:11]
	buffer_load_dword v160, off, s[0:3], 0 offset:224
	v_cmp_lt_u32_e64 s[4:5], 56, v0
	s_waitcnt vmcnt(0)
	ds_write_b32 v130, v160
	s_waitcnt lgkmcnt(0)
	; wave barrier
	s_waitcnt lgkmcnt(0)
	s_and_saveexec_b64 s[10:11], s[4:5]
	s_cbranch_execz .LBB127_66
; %bb.57:
	s_andn2_b64 vcc, exec, s[8:9]
	s_cbranch_vccnz .LBB127_59
; %bb.58:
	buffer_load_dword v160, v131, s[0:3], 0 offen
	ds_read_b32 v161, v130
	s_waitcnt vmcnt(0) lgkmcnt(0)
	v_mul_f32_e32 v160, v160, v161
	s_cbranch_execz .LBB127_60
	s_branch .LBB127_61
.LBB127_59:
                                        ; implicit-def: $vgpr160
.LBB127_60:
	ds_read_b32 v160, v130
.LBB127_61:
	s_and_saveexec_b64 s[12:13], s[6:7]
	s_cbranch_execz .LBB127_65
; %bb.62:
	v_mov_b32_e32 v161, 0
	v_add_u32_e32 v161, 0xe4, v161
	v_subrev_u32_e32 v162, 57, v0
	s_movk_i32 s14, 0x1e4
	s_mov_b64 s[6:7], 0
.LBB127_63:                             ; =>This Inner Loop Header: Depth=1
	buffer_load_dword v163, v161, s[0:3], 0 offen
	v_mov_b32_e32 v164, s14
	ds_read_b32 v164, v164
	v_add_u32_e32 v162, -1, v162
	s_add_i32 s14, s14, 4
	v_cmp_eq_u32_e32 vcc, 0, v162
	v_add_u32_e32 v161, 4, v161
	s_or_b64 s[6:7], vcc, s[6:7]
	s_waitcnt vmcnt(0) lgkmcnt(0)
	v_fmac_f32_e32 v160, v163, v164
	s_andn2_b64 exec, exec, s[6:7]
	s_cbranch_execnz .LBB127_63
; %bb.64:
	s_or_b64 exec, exec, s[6:7]
.LBB127_65:
	s_or_b64 exec, exec, s[12:13]
	v_mov_b32_e32 v161, 0
	ds_read_b32 v161, v161 offset:224
	s_waitcnt lgkmcnt(0)
	v_mul_f32_e32 v160, v160, v161
	buffer_store_dword v160, off, s[0:3], 0 offset:224
.LBB127_66:
	s_or_b64 exec, exec, s[10:11]
	buffer_load_dword v160, off, s[0:3], 0 offset:220
	v_cmp_lt_u32_e64 s[6:7], 55, v0
	s_waitcnt vmcnt(0)
	ds_write_b32 v130, v160
	s_waitcnt lgkmcnt(0)
	; wave barrier
	s_waitcnt lgkmcnt(0)
	s_and_saveexec_b64 s[10:11], s[6:7]
	s_cbranch_execz .LBB127_76
; %bb.67:
	s_andn2_b64 vcc, exec, s[8:9]
	s_cbranch_vccnz .LBB127_69
; %bb.68:
	buffer_load_dword v160, v131, s[0:3], 0 offen
	ds_read_b32 v161, v130
	s_waitcnt vmcnt(0) lgkmcnt(0)
	v_mul_f32_e32 v160, v160, v161
	s_cbranch_execz .LBB127_70
	s_branch .LBB127_71
.LBB127_69:
                                        ; implicit-def: $vgpr160
.LBB127_70:
	ds_read_b32 v160, v130
.LBB127_71:
	s_and_saveexec_b64 s[12:13], s[4:5]
	s_cbranch_execz .LBB127_75
; %bb.72:
	v_subrev_u32_e32 v161, 56, v0
	s_movk_i32 s14, 0x1e0
	s_mov_b64 s[4:5], 0
.LBB127_73:                             ; =>This Inner Loop Header: Depth=1
	buffer_load_dword v162, v159, s[0:3], 0 offen
	v_mov_b32_e32 v163, s14
	ds_read_b32 v163, v163
	v_add_u32_e32 v161, -1, v161
	s_add_i32 s14, s14, 4
	v_cmp_eq_u32_e32 vcc, 0, v161
	v_add_u32_e32 v159, 4, v159
	s_or_b64 s[4:5], vcc, s[4:5]
	s_waitcnt vmcnt(0) lgkmcnt(0)
	v_fmac_f32_e32 v160, v162, v163
	s_andn2_b64 exec, exec, s[4:5]
	s_cbranch_execnz .LBB127_73
; %bb.74:
	s_or_b64 exec, exec, s[4:5]
.LBB127_75:
	s_or_b64 exec, exec, s[12:13]
	v_mov_b32_e32 v159, 0
	ds_read_b32 v159, v159 offset:220
	s_waitcnt lgkmcnt(0)
	v_mul_f32_e32 v159, v160, v159
	buffer_store_dword v159, off, s[0:3], 0 offset:220
.LBB127_76:
	s_or_b64 exec, exec, s[10:11]
	buffer_load_dword v159, off, s[0:3], 0 offset:216
	v_cmp_lt_u32_e64 s[4:5], 54, v0
	s_waitcnt vmcnt(0)
	ds_write_b32 v130, v159
	s_waitcnt lgkmcnt(0)
	; wave barrier
	s_waitcnt lgkmcnt(0)
	s_and_saveexec_b64 s[10:11], s[4:5]
	s_cbranch_execz .LBB127_86
; %bb.77:
	s_andn2_b64 vcc, exec, s[8:9]
	s_cbranch_vccnz .LBB127_79
; %bb.78:
	buffer_load_dword v159, v131, s[0:3], 0 offen
	ds_read_b32 v160, v130
	s_waitcnt vmcnt(0) lgkmcnt(0)
	v_mul_f32_e32 v159, v159, v160
	s_cbranch_execz .LBB127_80
	s_branch .LBB127_81
.LBB127_79:
                                        ; implicit-def: $vgpr159
.LBB127_80:
	ds_read_b32 v159, v130
.LBB127_81:
	s_and_saveexec_b64 s[12:13], s[6:7]
	s_cbranch_execz .LBB127_85
; %bb.82:
	v_mov_b32_e32 v160, 0
	v_add_u32_e32 v160, 0xdc, v160
	v_subrev_u32_e32 v161, 55, v0
	s_movk_i32 s14, 0x1dc
	s_mov_b64 s[6:7], 0
.LBB127_83:                             ; =>This Inner Loop Header: Depth=1
	buffer_load_dword v162, v160, s[0:3], 0 offen
	v_mov_b32_e32 v163, s14
	ds_read_b32 v163, v163
	v_add_u32_e32 v161, -1, v161
	s_add_i32 s14, s14, 4
	v_cmp_eq_u32_e32 vcc, 0, v161
	v_add_u32_e32 v160, 4, v160
	s_or_b64 s[6:7], vcc, s[6:7]
	s_waitcnt vmcnt(0) lgkmcnt(0)
	v_fmac_f32_e32 v159, v162, v163
	s_andn2_b64 exec, exec, s[6:7]
	s_cbranch_execnz .LBB127_83
; %bb.84:
	s_or_b64 exec, exec, s[6:7]
.LBB127_85:
	s_or_b64 exec, exec, s[12:13]
	v_mov_b32_e32 v160, 0
	ds_read_b32 v160, v160 offset:216
	s_waitcnt lgkmcnt(0)
	v_mul_f32_e32 v159, v159, v160
	buffer_store_dword v159, off, s[0:3], 0 offset:216
.LBB127_86:
	s_or_b64 exec, exec, s[10:11]
	buffer_load_dword v159, off, s[0:3], 0 offset:212
	v_cmp_lt_u32_e64 s[6:7], 53, v0
	s_waitcnt vmcnt(0)
	ds_write_b32 v130, v159
	s_waitcnt lgkmcnt(0)
	; wave barrier
	s_waitcnt lgkmcnt(0)
	s_and_saveexec_b64 s[10:11], s[6:7]
	s_cbranch_execz .LBB127_96
; %bb.87:
	s_andn2_b64 vcc, exec, s[8:9]
	s_cbranch_vccnz .LBB127_89
; %bb.88:
	buffer_load_dword v159, v131, s[0:3], 0 offen
	ds_read_b32 v160, v130
	s_waitcnt vmcnt(0) lgkmcnt(0)
	v_mul_f32_e32 v159, v159, v160
	s_cbranch_execz .LBB127_90
	s_branch .LBB127_91
.LBB127_89:
                                        ; implicit-def: $vgpr159
.LBB127_90:
	ds_read_b32 v159, v130
.LBB127_91:
	s_and_saveexec_b64 s[12:13], s[4:5]
	s_cbranch_execz .LBB127_95
; %bb.92:
	v_subrev_u32_e32 v160, 54, v0
	s_movk_i32 s14, 0x1d8
	s_mov_b64 s[4:5], 0
.LBB127_93:                             ; =>This Inner Loop Header: Depth=1
	buffer_load_dword v161, v158, s[0:3], 0 offen
	v_mov_b32_e32 v162, s14
	ds_read_b32 v162, v162
	v_add_u32_e32 v160, -1, v160
	s_add_i32 s14, s14, 4
	v_cmp_eq_u32_e32 vcc, 0, v160
	v_add_u32_e32 v158, 4, v158
	s_or_b64 s[4:5], vcc, s[4:5]
	s_waitcnt vmcnt(0) lgkmcnt(0)
	v_fmac_f32_e32 v159, v161, v162
	s_andn2_b64 exec, exec, s[4:5]
	s_cbranch_execnz .LBB127_93
; %bb.94:
	s_or_b64 exec, exec, s[4:5]
.LBB127_95:
	s_or_b64 exec, exec, s[12:13]
	v_mov_b32_e32 v158, 0
	ds_read_b32 v158, v158 offset:212
	s_waitcnt lgkmcnt(0)
	v_mul_f32_e32 v158, v159, v158
	buffer_store_dword v158, off, s[0:3], 0 offset:212
.LBB127_96:
	s_or_b64 exec, exec, s[10:11]
	buffer_load_dword v158, off, s[0:3], 0 offset:208
	v_cmp_lt_u32_e64 s[4:5], 52, v0
	s_waitcnt vmcnt(0)
	ds_write_b32 v130, v158
	s_waitcnt lgkmcnt(0)
	; wave barrier
	s_waitcnt lgkmcnt(0)
	s_and_saveexec_b64 s[10:11], s[4:5]
	s_cbranch_execz .LBB127_106
; %bb.97:
	s_andn2_b64 vcc, exec, s[8:9]
	s_cbranch_vccnz .LBB127_99
; %bb.98:
	buffer_load_dword v158, v131, s[0:3], 0 offen
	ds_read_b32 v159, v130
	s_waitcnt vmcnt(0) lgkmcnt(0)
	v_mul_f32_e32 v158, v158, v159
	s_cbranch_execz .LBB127_100
	s_branch .LBB127_101
.LBB127_99:
                                        ; implicit-def: $vgpr158
.LBB127_100:
	ds_read_b32 v158, v130
.LBB127_101:
	s_and_saveexec_b64 s[12:13], s[6:7]
	s_cbranch_execz .LBB127_105
; %bb.102:
	v_mov_b32_e32 v159, 0
	v_add_u32_e32 v159, 0xd4, v159
	v_subrev_u32_e32 v160, 53, v0
	s_movk_i32 s14, 0x1d4
	s_mov_b64 s[6:7], 0
.LBB127_103:                            ; =>This Inner Loop Header: Depth=1
	buffer_load_dword v161, v159, s[0:3], 0 offen
	v_mov_b32_e32 v162, s14
	ds_read_b32 v162, v162
	v_add_u32_e32 v160, -1, v160
	s_add_i32 s14, s14, 4
	v_cmp_eq_u32_e32 vcc, 0, v160
	v_add_u32_e32 v159, 4, v159
	s_or_b64 s[6:7], vcc, s[6:7]
	s_waitcnt vmcnt(0) lgkmcnt(0)
	v_fmac_f32_e32 v158, v161, v162
	s_andn2_b64 exec, exec, s[6:7]
	s_cbranch_execnz .LBB127_103
; %bb.104:
	s_or_b64 exec, exec, s[6:7]
.LBB127_105:
	s_or_b64 exec, exec, s[12:13]
	v_mov_b32_e32 v159, 0
	ds_read_b32 v159, v159 offset:208
	s_waitcnt lgkmcnt(0)
	v_mul_f32_e32 v158, v158, v159
	buffer_store_dword v158, off, s[0:3], 0 offset:208
.LBB127_106:
	s_or_b64 exec, exec, s[10:11]
	buffer_load_dword v158, off, s[0:3], 0 offset:204
	v_cmp_lt_u32_e64 s[6:7], 51, v0
	s_waitcnt vmcnt(0)
	ds_write_b32 v130, v158
	s_waitcnt lgkmcnt(0)
	; wave barrier
	s_waitcnt lgkmcnt(0)
	s_and_saveexec_b64 s[10:11], s[6:7]
	s_cbranch_execz .LBB127_116
; %bb.107:
	s_andn2_b64 vcc, exec, s[8:9]
	s_cbranch_vccnz .LBB127_109
; %bb.108:
	buffer_load_dword v158, v131, s[0:3], 0 offen
	ds_read_b32 v159, v130
	s_waitcnt vmcnt(0) lgkmcnt(0)
	v_mul_f32_e32 v158, v158, v159
	s_cbranch_execz .LBB127_110
	s_branch .LBB127_111
.LBB127_109:
                                        ; implicit-def: $vgpr158
.LBB127_110:
	ds_read_b32 v158, v130
.LBB127_111:
	s_and_saveexec_b64 s[12:13], s[4:5]
	s_cbranch_execz .LBB127_115
; %bb.112:
	v_subrev_u32_e32 v159, 52, v0
	s_movk_i32 s14, 0x1d0
	s_mov_b64 s[4:5], 0
.LBB127_113:                            ; =>This Inner Loop Header: Depth=1
	buffer_load_dword v160, v157, s[0:3], 0 offen
	v_mov_b32_e32 v161, s14
	ds_read_b32 v161, v161
	v_add_u32_e32 v159, -1, v159
	s_add_i32 s14, s14, 4
	v_cmp_eq_u32_e32 vcc, 0, v159
	v_add_u32_e32 v157, 4, v157
	s_or_b64 s[4:5], vcc, s[4:5]
	s_waitcnt vmcnt(0) lgkmcnt(0)
	v_fmac_f32_e32 v158, v160, v161
	s_andn2_b64 exec, exec, s[4:5]
	s_cbranch_execnz .LBB127_113
; %bb.114:
	s_or_b64 exec, exec, s[4:5]
.LBB127_115:
	s_or_b64 exec, exec, s[12:13]
	v_mov_b32_e32 v157, 0
	ds_read_b32 v157, v157 offset:204
	s_waitcnt lgkmcnt(0)
	v_mul_f32_e32 v157, v158, v157
	buffer_store_dword v157, off, s[0:3], 0 offset:204
.LBB127_116:
	s_or_b64 exec, exec, s[10:11]
	buffer_load_dword v157, off, s[0:3], 0 offset:200
	v_cmp_lt_u32_e64 s[4:5], 50, v0
	s_waitcnt vmcnt(0)
	ds_write_b32 v130, v157
	s_waitcnt lgkmcnt(0)
	; wave barrier
	s_waitcnt lgkmcnt(0)
	s_and_saveexec_b64 s[10:11], s[4:5]
	s_cbranch_execz .LBB127_126
; %bb.117:
	s_andn2_b64 vcc, exec, s[8:9]
	s_cbranch_vccnz .LBB127_119
; %bb.118:
	buffer_load_dword v157, v131, s[0:3], 0 offen
	ds_read_b32 v158, v130
	s_waitcnt vmcnt(0) lgkmcnt(0)
	v_mul_f32_e32 v157, v157, v158
	s_cbranch_execz .LBB127_120
	s_branch .LBB127_121
.LBB127_119:
                                        ; implicit-def: $vgpr157
.LBB127_120:
	ds_read_b32 v157, v130
.LBB127_121:
	s_and_saveexec_b64 s[12:13], s[6:7]
	s_cbranch_execz .LBB127_125
; %bb.122:
	v_mov_b32_e32 v158, 0
	v_add_u32_e32 v158, 0xcc, v158
	v_subrev_u32_e32 v159, 51, v0
	s_movk_i32 s14, 0x1cc
	s_mov_b64 s[6:7], 0
.LBB127_123:                            ; =>This Inner Loop Header: Depth=1
	buffer_load_dword v160, v158, s[0:3], 0 offen
	v_mov_b32_e32 v161, s14
	ds_read_b32 v161, v161
	v_add_u32_e32 v159, -1, v159
	s_add_i32 s14, s14, 4
	v_cmp_eq_u32_e32 vcc, 0, v159
	v_add_u32_e32 v158, 4, v158
	s_or_b64 s[6:7], vcc, s[6:7]
	s_waitcnt vmcnt(0) lgkmcnt(0)
	v_fmac_f32_e32 v157, v160, v161
	s_andn2_b64 exec, exec, s[6:7]
	s_cbranch_execnz .LBB127_123
; %bb.124:
	s_or_b64 exec, exec, s[6:7]
.LBB127_125:
	s_or_b64 exec, exec, s[12:13]
	v_mov_b32_e32 v158, 0
	ds_read_b32 v158, v158 offset:200
	s_waitcnt lgkmcnt(0)
	v_mul_f32_e32 v157, v157, v158
	buffer_store_dword v157, off, s[0:3], 0 offset:200
.LBB127_126:
	s_or_b64 exec, exec, s[10:11]
	buffer_load_dword v157, off, s[0:3], 0 offset:196
	v_cmp_lt_u32_e64 s[6:7], 49, v0
	s_waitcnt vmcnt(0)
	ds_write_b32 v130, v157
	s_waitcnt lgkmcnt(0)
	; wave barrier
	s_waitcnt lgkmcnt(0)
	s_and_saveexec_b64 s[10:11], s[6:7]
	s_cbranch_execz .LBB127_136
; %bb.127:
	s_andn2_b64 vcc, exec, s[8:9]
	s_cbranch_vccnz .LBB127_129
; %bb.128:
	buffer_load_dword v157, v131, s[0:3], 0 offen
	ds_read_b32 v158, v130
	s_waitcnt vmcnt(0) lgkmcnt(0)
	v_mul_f32_e32 v157, v157, v158
	s_cbranch_execz .LBB127_130
	s_branch .LBB127_131
.LBB127_129:
                                        ; implicit-def: $vgpr157
.LBB127_130:
	ds_read_b32 v157, v130
.LBB127_131:
	s_and_saveexec_b64 s[12:13], s[4:5]
	s_cbranch_execz .LBB127_135
; %bb.132:
	v_subrev_u32_e32 v158, 50, v0
	s_movk_i32 s14, 0x1c8
	s_mov_b64 s[4:5], 0
.LBB127_133:                            ; =>This Inner Loop Header: Depth=1
	buffer_load_dword v159, v156, s[0:3], 0 offen
	v_mov_b32_e32 v160, s14
	ds_read_b32 v160, v160
	v_add_u32_e32 v158, -1, v158
	s_add_i32 s14, s14, 4
	v_cmp_eq_u32_e32 vcc, 0, v158
	v_add_u32_e32 v156, 4, v156
	s_or_b64 s[4:5], vcc, s[4:5]
	s_waitcnt vmcnt(0) lgkmcnt(0)
	v_fmac_f32_e32 v157, v159, v160
	s_andn2_b64 exec, exec, s[4:5]
	s_cbranch_execnz .LBB127_133
; %bb.134:
	s_or_b64 exec, exec, s[4:5]
.LBB127_135:
	s_or_b64 exec, exec, s[12:13]
	v_mov_b32_e32 v156, 0
	ds_read_b32 v156, v156 offset:196
	s_waitcnt lgkmcnt(0)
	v_mul_f32_e32 v156, v157, v156
	buffer_store_dword v156, off, s[0:3], 0 offset:196
.LBB127_136:
	s_or_b64 exec, exec, s[10:11]
	buffer_load_dword v156, off, s[0:3], 0 offset:192
	v_cmp_lt_u32_e64 s[4:5], 48, v0
	s_waitcnt vmcnt(0)
	ds_write_b32 v130, v156
	s_waitcnt lgkmcnt(0)
	; wave barrier
	s_waitcnt lgkmcnt(0)
	s_and_saveexec_b64 s[10:11], s[4:5]
	s_cbranch_execz .LBB127_146
; %bb.137:
	s_andn2_b64 vcc, exec, s[8:9]
	s_cbranch_vccnz .LBB127_139
; %bb.138:
	buffer_load_dword v156, v131, s[0:3], 0 offen
	ds_read_b32 v157, v130
	s_waitcnt vmcnt(0) lgkmcnt(0)
	v_mul_f32_e32 v156, v156, v157
	s_cbranch_execz .LBB127_140
	s_branch .LBB127_141
.LBB127_139:
                                        ; implicit-def: $vgpr156
.LBB127_140:
	ds_read_b32 v156, v130
.LBB127_141:
	s_and_saveexec_b64 s[12:13], s[6:7]
	s_cbranch_execz .LBB127_145
; %bb.142:
	v_mov_b32_e32 v157, 0
	v_add_u32_e32 v157, 0xc4, v157
	v_subrev_u32_e32 v158, 49, v0
	s_movk_i32 s14, 0x1c4
	s_mov_b64 s[6:7], 0
.LBB127_143:                            ; =>This Inner Loop Header: Depth=1
	buffer_load_dword v159, v157, s[0:3], 0 offen
	v_mov_b32_e32 v160, s14
	ds_read_b32 v160, v160
	v_add_u32_e32 v158, -1, v158
	s_add_i32 s14, s14, 4
	v_cmp_eq_u32_e32 vcc, 0, v158
	v_add_u32_e32 v157, 4, v157
	s_or_b64 s[6:7], vcc, s[6:7]
	s_waitcnt vmcnt(0) lgkmcnt(0)
	v_fmac_f32_e32 v156, v159, v160
	s_andn2_b64 exec, exec, s[6:7]
	s_cbranch_execnz .LBB127_143
; %bb.144:
	s_or_b64 exec, exec, s[6:7]
.LBB127_145:
	s_or_b64 exec, exec, s[12:13]
	v_mov_b32_e32 v157, 0
	ds_read_b32 v157, v157 offset:192
	s_waitcnt lgkmcnt(0)
	v_mul_f32_e32 v156, v156, v157
	buffer_store_dword v156, off, s[0:3], 0 offset:192
.LBB127_146:
	s_or_b64 exec, exec, s[10:11]
	buffer_load_dword v156, off, s[0:3], 0 offset:188
	v_cmp_lt_u32_e64 s[6:7], 47, v0
	s_waitcnt vmcnt(0)
	ds_write_b32 v130, v156
	s_waitcnt lgkmcnt(0)
	; wave barrier
	s_waitcnt lgkmcnt(0)
	s_and_saveexec_b64 s[10:11], s[6:7]
	s_cbranch_execz .LBB127_156
; %bb.147:
	s_andn2_b64 vcc, exec, s[8:9]
	s_cbranch_vccnz .LBB127_149
; %bb.148:
	buffer_load_dword v156, v131, s[0:3], 0 offen
	ds_read_b32 v157, v130
	s_waitcnt vmcnt(0) lgkmcnt(0)
	v_mul_f32_e32 v156, v156, v157
	s_cbranch_execz .LBB127_150
	s_branch .LBB127_151
.LBB127_149:
                                        ; implicit-def: $vgpr156
.LBB127_150:
	ds_read_b32 v156, v130
.LBB127_151:
	s_and_saveexec_b64 s[12:13], s[4:5]
	s_cbranch_execz .LBB127_155
; %bb.152:
	v_subrev_u32_e32 v157, 48, v0
	s_movk_i32 s14, 0x1c0
	s_mov_b64 s[4:5], 0
.LBB127_153:                            ; =>This Inner Loop Header: Depth=1
	buffer_load_dword v158, v155, s[0:3], 0 offen
	v_mov_b32_e32 v159, s14
	ds_read_b32 v159, v159
	v_add_u32_e32 v157, -1, v157
	s_add_i32 s14, s14, 4
	v_cmp_eq_u32_e32 vcc, 0, v157
	v_add_u32_e32 v155, 4, v155
	s_or_b64 s[4:5], vcc, s[4:5]
	s_waitcnt vmcnt(0) lgkmcnt(0)
	v_fmac_f32_e32 v156, v158, v159
	s_andn2_b64 exec, exec, s[4:5]
	s_cbranch_execnz .LBB127_153
; %bb.154:
	s_or_b64 exec, exec, s[4:5]
.LBB127_155:
	s_or_b64 exec, exec, s[12:13]
	v_mov_b32_e32 v155, 0
	ds_read_b32 v155, v155 offset:188
	s_waitcnt lgkmcnt(0)
	v_mul_f32_e32 v155, v156, v155
	buffer_store_dword v155, off, s[0:3], 0 offset:188
.LBB127_156:
	s_or_b64 exec, exec, s[10:11]
	buffer_load_dword v155, off, s[0:3], 0 offset:184
	v_cmp_lt_u32_e64 s[4:5], 46, v0
	s_waitcnt vmcnt(0)
	ds_write_b32 v130, v155
	s_waitcnt lgkmcnt(0)
	; wave barrier
	s_waitcnt lgkmcnt(0)
	s_and_saveexec_b64 s[10:11], s[4:5]
	s_cbranch_execz .LBB127_166
; %bb.157:
	s_andn2_b64 vcc, exec, s[8:9]
	s_cbranch_vccnz .LBB127_159
; %bb.158:
	buffer_load_dword v155, v131, s[0:3], 0 offen
	ds_read_b32 v156, v130
	s_waitcnt vmcnt(0) lgkmcnt(0)
	v_mul_f32_e32 v155, v155, v156
	s_cbranch_execz .LBB127_160
	s_branch .LBB127_161
.LBB127_159:
                                        ; implicit-def: $vgpr155
.LBB127_160:
	ds_read_b32 v155, v130
.LBB127_161:
	s_and_saveexec_b64 s[12:13], s[6:7]
	s_cbranch_execz .LBB127_165
; %bb.162:
	v_mov_b32_e32 v156, 0
	v_add_u32_e32 v156, 0xbc, v156
	v_subrev_u32_e32 v157, 47, v0
	s_movk_i32 s14, 0x1bc
	s_mov_b64 s[6:7], 0
.LBB127_163:                            ; =>This Inner Loop Header: Depth=1
	buffer_load_dword v158, v156, s[0:3], 0 offen
	v_mov_b32_e32 v159, s14
	ds_read_b32 v159, v159
	v_add_u32_e32 v157, -1, v157
	s_add_i32 s14, s14, 4
	v_cmp_eq_u32_e32 vcc, 0, v157
	v_add_u32_e32 v156, 4, v156
	s_or_b64 s[6:7], vcc, s[6:7]
	s_waitcnt vmcnt(0) lgkmcnt(0)
	v_fmac_f32_e32 v155, v158, v159
	s_andn2_b64 exec, exec, s[6:7]
	s_cbranch_execnz .LBB127_163
; %bb.164:
	s_or_b64 exec, exec, s[6:7]
.LBB127_165:
	s_or_b64 exec, exec, s[12:13]
	v_mov_b32_e32 v156, 0
	ds_read_b32 v156, v156 offset:184
	s_waitcnt lgkmcnt(0)
	v_mul_f32_e32 v155, v155, v156
	buffer_store_dword v155, off, s[0:3], 0 offset:184
.LBB127_166:
	s_or_b64 exec, exec, s[10:11]
	buffer_load_dword v155, off, s[0:3], 0 offset:180
	v_cmp_lt_u32_e64 s[6:7], 45, v0
	s_waitcnt vmcnt(0)
	ds_write_b32 v130, v155
	s_waitcnt lgkmcnt(0)
	; wave barrier
	s_waitcnt lgkmcnt(0)
	s_and_saveexec_b64 s[10:11], s[6:7]
	s_cbranch_execz .LBB127_176
; %bb.167:
	s_andn2_b64 vcc, exec, s[8:9]
	s_cbranch_vccnz .LBB127_169
; %bb.168:
	buffer_load_dword v155, v131, s[0:3], 0 offen
	ds_read_b32 v156, v130
	s_waitcnt vmcnt(0) lgkmcnt(0)
	v_mul_f32_e32 v155, v155, v156
	s_cbranch_execz .LBB127_170
	s_branch .LBB127_171
.LBB127_169:
                                        ; implicit-def: $vgpr155
.LBB127_170:
	ds_read_b32 v155, v130
.LBB127_171:
	s_and_saveexec_b64 s[12:13], s[4:5]
	s_cbranch_execz .LBB127_175
; %bb.172:
	v_subrev_u32_e32 v156, 46, v0
	s_movk_i32 s14, 0x1b8
	s_mov_b64 s[4:5], 0
.LBB127_173:                            ; =>This Inner Loop Header: Depth=1
	buffer_load_dword v157, v154, s[0:3], 0 offen
	v_mov_b32_e32 v158, s14
	ds_read_b32 v158, v158
	v_add_u32_e32 v156, -1, v156
	s_add_i32 s14, s14, 4
	v_cmp_eq_u32_e32 vcc, 0, v156
	v_add_u32_e32 v154, 4, v154
	s_or_b64 s[4:5], vcc, s[4:5]
	s_waitcnt vmcnt(0) lgkmcnt(0)
	v_fmac_f32_e32 v155, v157, v158
	s_andn2_b64 exec, exec, s[4:5]
	s_cbranch_execnz .LBB127_173
; %bb.174:
	s_or_b64 exec, exec, s[4:5]
.LBB127_175:
	s_or_b64 exec, exec, s[12:13]
	v_mov_b32_e32 v154, 0
	ds_read_b32 v154, v154 offset:180
	s_waitcnt lgkmcnt(0)
	v_mul_f32_e32 v154, v155, v154
	buffer_store_dword v154, off, s[0:3], 0 offset:180
.LBB127_176:
	s_or_b64 exec, exec, s[10:11]
	buffer_load_dword v154, off, s[0:3], 0 offset:176
	v_cmp_lt_u32_e64 s[4:5], 44, v0
	s_waitcnt vmcnt(0)
	ds_write_b32 v130, v154
	s_waitcnt lgkmcnt(0)
	; wave barrier
	s_waitcnt lgkmcnt(0)
	s_and_saveexec_b64 s[10:11], s[4:5]
	s_cbranch_execz .LBB127_186
; %bb.177:
	s_andn2_b64 vcc, exec, s[8:9]
	s_cbranch_vccnz .LBB127_179
; %bb.178:
	buffer_load_dword v154, v131, s[0:3], 0 offen
	ds_read_b32 v155, v130
	s_waitcnt vmcnt(0) lgkmcnt(0)
	v_mul_f32_e32 v154, v154, v155
	s_cbranch_execz .LBB127_180
	s_branch .LBB127_181
.LBB127_179:
                                        ; implicit-def: $vgpr154
.LBB127_180:
	ds_read_b32 v154, v130
.LBB127_181:
	s_and_saveexec_b64 s[12:13], s[6:7]
	s_cbranch_execz .LBB127_185
; %bb.182:
	v_mov_b32_e32 v155, 0
	v_add_u32_e32 v155, 0xb4, v155
	v_subrev_u32_e32 v156, 45, v0
	s_movk_i32 s14, 0x1b4
	s_mov_b64 s[6:7], 0
.LBB127_183:                            ; =>This Inner Loop Header: Depth=1
	buffer_load_dword v157, v155, s[0:3], 0 offen
	v_mov_b32_e32 v158, s14
	ds_read_b32 v158, v158
	v_add_u32_e32 v156, -1, v156
	s_add_i32 s14, s14, 4
	v_cmp_eq_u32_e32 vcc, 0, v156
	v_add_u32_e32 v155, 4, v155
	s_or_b64 s[6:7], vcc, s[6:7]
	s_waitcnt vmcnt(0) lgkmcnt(0)
	v_fmac_f32_e32 v154, v157, v158
	s_andn2_b64 exec, exec, s[6:7]
	s_cbranch_execnz .LBB127_183
; %bb.184:
	s_or_b64 exec, exec, s[6:7]
.LBB127_185:
	s_or_b64 exec, exec, s[12:13]
	v_mov_b32_e32 v155, 0
	ds_read_b32 v155, v155 offset:176
	s_waitcnt lgkmcnt(0)
	v_mul_f32_e32 v154, v154, v155
	buffer_store_dword v154, off, s[0:3], 0 offset:176
.LBB127_186:
	s_or_b64 exec, exec, s[10:11]
	buffer_load_dword v154, off, s[0:3], 0 offset:172
	v_cmp_lt_u32_e64 s[6:7], 43, v0
	s_waitcnt vmcnt(0)
	ds_write_b32 v130, v154
	s_waitcnt lgkmcnt(0)
	; wave barrier
	s_waitcnt lgkmcnt(0)
	s_and_saveexec_b64 s[10:11], s[6:7]
	s_cbranch_execz .LBB127_196
; %bb.187:
	s_andn2_b64 vcc, exec, s[8:9]
	s_cbranch_vccnz .LBB127_189
; %bb.188:
	buffer_load_dword v154, v131, s[0:3], 0 offen
	ds_read_b32 v155, v130
	s_waitcnt vmcnt(0) lgkmcnt(0)
	v_mul_f32_e32 v154, v154, v155
	s_cbranch_execz .LBB127_190
	s_branch .LBB127_191
.LBB127_189:
                                        ; implicit-def: $vgpr154
.LBB127_190:
	ds_read_b32 v154, v130
.LBB127_191:
	s_and_saveexec_b64 s[12:13], s[4:5]
	s_cbranch_execz .LBB127_195
; %bb.192:
	v_subrev_u32_e32 v155, 44, v0
	s_movk_i32 s14, 0x1b0
	s_mov_b64 s[4:5], 0
.LBB127_193:                            ; =>This Inner Loop Header: Depth=1
	buffer_load_dword v156, v153, s[0:3], 0 offen
	v_mov_b32_e32 v157, s14
	ds_read_b32 v157, v157
	v_add_u32_e32 v155, -1, v155
	s_add_i32 s14, s14, 4
	v_cmp_eq_u32_e32 vcc, 0, v155
	v_add_u32_e32 v153, 4, v153
	s_or_b64 s[4:5], vcc, s[4:5]
	s_waitcnt vmcnt(0) lgkmcnt(0)
	v_fmac_f32_e32 v154, v156, v157
	s_andn2_b64 exec, exec, s[4:5]
	s_cbranch_execnz .LBB127_193
; %bb.194:
	s_or_b64 exec, exec, s[4:5]
.LBB127_195:
	s_or_b64 exec, exec, s[12:13]
	v_mov_b32_e32 v153, 0
	ds_read_b32 v153, v153 offset:172
	s_waitcnt lgkmcnt(0)
	v_mul_f32_e32 v153, v154, v153
	buffer_store_dword v153, off, s[0:3], 0 offset:172
.LBB127_196:
	s_or_b64 exec, exec, s[10:11]
	buffer_load_dword v153, off, s[0:3], 0 offset:168
	v_cmp_lt_u32_e64 s[4:5], 42, v0
	s_waitcnt vmcnt(0)
	ds_write_b32 v130, v153
	s_waitcnt lgkmcnt(0)
	; wave barrier
	s_waitcnt lgkmcnt(0)
	s_and_saveexec_b64 s[10:11], s[4:5]
	s_cbranch_execz .LBB127_206
; %bb.197:
	s_andn2_b64 vcc, exec, s[8:9]
	s_cbranch_vccnz .LBB127_199
; %bb.198:
	buffer_load_dword v153, v131, s[0:3], 0 offen
	ds_read_b32 v154, v130
	s_waitcnt vmcnt(0) lgkmcnt(0)
	v_mul_f32_e32 v153, v153, v154
	s_cbranch_execz .LBB127_200
	s_branch .LBB127_201
.LBB127_199:
                                        ; implicit-def: $vgpr153
.LBB127_200:
	ds_read_b32 v153, v130
.LBB127_201:
	s_and_saveexec_b64 s[12:13], s[6:7]
	s_cbranch_execz .LBB127_205
; %bb.202:
	v_mov_b32_e32 v154, 0
	v_add_u32_e32 v154, 0xac, v154
	v_subrev_u32_e32 v155, 43, v0
	s_movk_i32 s14, 0x1ac
	s_mov_b64 s[6:7], 0
.LBB127_203:                            ; =>This Inner Loop Header: Depth=1
	buffer_load_dword v156, v154, s[0:3], 0 offen
	v_mov_b32_e32 v157, s14
	ds_read_b32 v157, v157
	v_add_u32_e32 v155, -1, v155
	s_add_i32 s14, s14, 4
	v_cmp_eq_u32_e32 vcc, 0, v155
	v_add_u32_e32 v154, 4, v154
	s_or_b64 s[6:7], vcc, s[6:7]
	s_waitcnt vmcnt(0) lgkmcnt(0)
	v_fmac_f32_e32 v153, v156, v157
	s_andn2_b64 exec, exec, s[6:7]
	s_cbranch_execnz .LBB127_203
; %bb.204:
	s_or_b64 exec, exec, s[6:7]
.LBB127_205:
	s_or_b64 exec, exec, s[12:13]
	v_mov_b32_e32 v154, 0
	ds_read_b32 v154, v154 offset:168
	s_waitcnt lgkmcnt(0)
	v_mul_f32_e32 v153, v153, v154
	buffer_store_dword v153, off, s[0:3], 0 offset:168
.LBB127_206:
	s_or_b64 exec, exec, s[10:11]
	buffer_load_dword v153, off, s[0:3], 0 offset:164
	v_cmp_lt_u32_e64 s[6:7], 41, v0
	s_waitcnt vmcnt(0)
	ds_write_b32 v130, v153
	s_waitcnt lgkmcnt(0)
	; wave barrier
	s_waitcnt lgkmcnt(0)
	s_and_saveexec_b64 s[10:11], s[6:7]
	s_cbranch_execz .LBB127_216
; %bb.207:
	s_andn2_b64 vcc, exec, s[8:9]
	s_cbranch_vccnz .LBB127_209
; %bb.208:
	buffer_load_dword v153, v131, s[0:3], 0 offen
	ds_read_b32 v154, v130
	s_waitcnt vmcnt(0) lgkmcnt(0)
	v_mul_f32_e32 v153, v153, v154
	s_cbranch_execz .LBB127_210
	s_branch .LBB127_211
.LBB127_209:
                                        ; implicit-def: $vgpr153
.LBB127_210:
	ds_read_b32 v153, v130
.LBB127_211:
	s_and_saveexec_b64 s[12:13], s[4:5]
	s_cbranch_execz .LBB127_215
; %bb.212:
	v_subrev_u32_e32 v154, 42, v0
	s_movk_i32 s14, 0x1a8
	s_mov_b64 s[4:5], 0
.LBB127_213:                            ; =>This Inner Loop Header: Depth=1
	buffer_load_dword v155, v152, s[0:3], 0 offen
	v_mov_b32_e32 v156, s14
	ds_read_b32 v156, v156
	v_add_u32_e32 v154, -1, v154
	s_add_i32 s14, s14, 4
	v_cmp_eq_u32_e32 vcc, 0, v154
	v_add_u32_e32 v152, 4, v152
	s_or_b64 s[4:5], vcc, s[4:5]
	s_waitcnt vmcnt(0) lgkmcnt(0)
	v_fmac_f32_e32 v153, v155, v156
	s_andn2_b64 exec, exec, s[4:5]
	s_cbranch_execnz .LBB127_213
; %bb.214:
	s_or_b64 exec, exec, s[4:5]
.LBB127_215:
	s_or_b64 exec, exec, s[12:13]
	v_mov_b32_e32 v152, 0
	ds_read_b32 v152, v152 offset:164
	s_waitcnt lgkmcnt(0)
	v_mul_f32_e32 v152, v153, v152
	buffer_store_dword v152, off, s[0:3], 0 offset:164
.LBB127_216:
	s_or_b64 exec, exec, s[10:11]
	buffer_load_dword v152, off, s[0:3], 0 offset:160
	v_cmp_lt_u32_e64 s[4:5], 40, v0
	s_waitcnt vmcnt(0)
	ds_write_b32 v130, v152
	s_waitcnt lgkmcnt(0)
	; wave barrier
	s_waitcnt lgkmcnt(0)
	s_and_saveexec_b64 s[10:11], s[4:5]
	s_cbranch_execz .LBB127_226
; %bb.217:
	s_andn2_b64 vcc, exec, s[8:9]
	s_cbranch_vccnz .LBB127_219
; %bb.218:
	buffer_load_dword v152, v131, s[0:3], 0 offen
	ds_read_b32 v153, v130
	s_waitcnt vmcnt(0) lgkmcnt(0)
	v_mul_f32_e32 v152, v152, v153
	s_cbranch_execz .LBB127_220
	s_branch .LBB127_221
.LBB127_219:
                                        ; implicit-def: $vgpr152
.LBB127_220:
	ds_read_b32 v152, v130
.LBB127_221:
	s_and_saveexec_b64 s[12:13], s[6:7]
	s_cbranch_execz .LBB127_225
; %bb.222:
	v_mov_b32_e32 v153, 0
	v_add_u32_e32 v153, 0xa4, v153
	v_subrev_u32_e32 v154, 41, v0
	s_movk_i32 s14, 0x1a4
	s_mov_b64 s[6:7], 0
.LBB127_223:                            ; =>This Inner Loop Header: Depth=1
	buffer_load_dword v155, v153, s[0:3], 0 offen
	v_mov_b32_e32 v156, s14
	ds_read_b32 v156, v156
	v_add_u32_e32 v154, -1, v154
	s_add_i32 s14, s14, 4
	v_cmp_eq_u32_e32 vcc, 0, v154
	v_add_u32_e32 v153, 4, v153
	s_or_b64 s[6:7], vcc, s[6:7]
	s_waitcnt vmcnt(0) lgkmcnt(0)
	v_fmac_f32_e32 v152, v155, v156
	s_andn2_b64 exec, exec, s[6:7]
	s_cbranch_execnz .LBB127_223
; %bb.224:
	s_or_b64 exec, exec, s[6:7]
.LBB127_225:
	s_or_b64 exec, exec, s[12:13]
	v_mov_b32_e32 v153, 0
	ds_read_b32 v153, v153 offset:160
	s_waitcnt lgkmcnt(0)
	v_mul_f32_e32 v152, v152, v153
	buffer_store_dword v152, off, s[0:3], 0 offset:160
.LBB127_226:
	s_or_b64 exec, exec, s[10:11]
	buffer_load_dword v152, off, s[0:3], 0 offset:156
	v_cmp_lt_u32_e64 s[6:7], 39, v0
	s_waitcnt vmcnt(0)
	ds_write_b32 v130, v152
	s_waitcnt lgkmcnt(0)
	; wave barrier
	s_waitcnt lgkmcnt(0)
	s_and_saveexec_b64 s[10:11], s[6:7]
	s_cbranch_execz .LBB127_236
; %bb.227:
	s_andn2_b64 vcc, exec, s[8:9]
	s_cbranch_vccnz .LBB127_229
; %bb.228:
	buffer_load_dword v152, v131, s[0:3], 0 offen
	ds_read_b32 v153, v130
	s_waitcnt vmcnt(0) lgkmcnt(0)
	v_mul_f32_e32 v152, v152, v153
	s_cbranch_execz .LBB127_230
	s_branch .LBB127_231
.LBB127_229:
                                        ; implicit-def: $vgpr152
.LBB127_230:
	ds_read_b32 v152, v130
.LBB127_231:
	s_and_saveexec_b64 s[12:13], s[4:5]
	s_cbranch_execz .LBB127_235
; %bb.232:
	v_subrev_u32_e32 v153, 40, v0
	s_movk_i32 s14, 0x1a0
	s_mov_b64 s[4:5], 0
.LBB127_233:                            ; =>This Inner Loop Header: Depth=1
	buffer_load_dword v154, v151, s[0:3], 0 offen
	v_mov_b32_e32 v155, s14
	ds_read_b32 v155, v155
	v_add_u32_e32 v153, -1, v153
	s_add_i32 s14, s14, 4
	v_cmp_eq_u32_e32 vcc, 0, v153
	v_add_u32_e32 v151, 4, v151
	s_or_b64 s[4:5], vcc, s[4:5]
	s_waitcnt vmcnt(0) lgkmcnt(0)
	v_fmac_f32_e32 v152, v154, v155
	s_andn2_b64 exec, exec, s[4:5]
	s_cbranch_execnz .LBB127_233
; %bb.234:
	s_or_b64 exec, exec, s[4:5]
.LBB127_235:
	s_or_b64 exec, exec, s[12:13]
	v_mov_b32_e32 v151, 0
	ds_read_b32 v151, v151 offset:156
	s_waitcnt lgkmcnt(0)
	v_mul_f32_e32 v151, v152, v151
	buffer_store_dword v151, off, s[0:3], 0 offset:156
.LBB127_236:
	s_or_b64 exec, exec, s[10:11]
	buffer_load_dword v151, off, s[0:3], 0 offset:152
	v_cmp_lt_u32_e64 s[4:5], 38, v0
	s_waitcnt vmcnt(0)
	ds_write_b32 v130, v151
	s_waitcnt lgkmcnt(0)
	; wave barrier
	s_waitcnt lgkmcnt(0)
	s_and_saveexec_b64 s[10:11], s[4:5]
	s_cbranch_execz .LBB127_246
; %bb.237:
	s_andn2_b64 vcc, exec, s[8:9]
	s_cbranch_vccnz .LBB127_239
; %bb.238:
	buffer_load_dword v151, v131, s[0:3], 0 offen
	ds_read_b32 v152, v130
	s_waitcnt vmcnt(0) lgkmcnt(0)
	v_mul_f32_e32 v151, v151, v152
	s_cbranch_execz .LBB127_240
	s_branch .LBB127_241
.LBB127_239:
                                        ; implicit-def: $vgpr151
.LBB127_240:
	ds_read_b32 v151, v130
.LBB127_241:
	s_and_saveexec_b64 s[12:13], s[6:7]
	s_cbranch_execz .LBB127_245
; %bb.242:
	v_mov_b32_e32 v152, 0
	v_add_u32_e32 v152, 0x9c, v152
	v_subrev_u32_e32 v153, 39, v0
	s_movk_i32 s14, 0x19c
	s_mov_b64 s[6:7], 0
.LBB127_243:                            ; =>This Inner Loop Header: Depth=1
	buffer_load_dword v154, v152, s[0:3], 0 offen
	v_mov_b32_e32 v155, s14
	ds_read_b32 v155, v155
	v_add_u32_e32 v153, -1, v153
	s_add_i32 s14, s14, 4
	v_cmp_eq_u32_e32 vcc, 0, v153
	v_add_u32_e32 v152, 4, v152
	s_or_b64 s[6:7], vcc, s[6:7]
	s_waitcnt vmcnt(0) lgkmcnt(0)
	v_fmac_f32_e32 v151, v154, v155
	s_andn2_b64 exec, exec, s[6:7]
	s_cbranch_execnz .LBB127_243
; %bb.244:
	s_or_b64 exec, exec, s[6:7]
.LBB127_245:
	s_or_b64 exec, exec, s[12:13]
	v_mov_b32_e32 v152, 0
	ds_read_b32 v152, v152 offset:152
	s_waitcnt lgkmcnt(0)
	v_mul_f32_e32 v151, v151, v152
	buffer_store_dword v151, off, s[0:3], 0 offset:152
.LBB127_246:
	s_or_b64 exec, exec, s[10:11]
	buffer_load_dword v151, off, s[0:3], 0 offset:148
	v_cmp_lt_u32_e64 s[6:7], 37, v0
	s_waitcnt vmcnt(0)
	ds_write_b32 v130, v151
	s_waitcnt lgkmcnt(0)
	; wave barrier
	s_waitcnt lgkmcnt(0)
	s_and_saveexec_b64 s[10:11], s[6:7]
	s_cbranch_execz .LBB127_256
; %bb.247:
	s_andn2_b64 vcc, exec, s[8:9]
	s_cbranch_vccnz .LBB127_249
; %bb.248:
	buffer_load_dword v151, v131, s[0:3], 0 offen
	ds_read_b32 v152, v130
	s_waitcnt vmcnt(0) lgkmcnt(0)
	v_mul_f32_e32 v151, v151, v152
	s_cbranch_execz .LBB127_250
	s_branch .LBB127_251
.LBB127_249:
                                        ; implicit-def: $vgpr151
.LBB127_250:
	ds_read_b32 v151, v130
.LBB127_251:
	s_and_saveexec_b64 s[12:13], s[4:5]
	s_cbranch_execz .LBB127_255
; %bb.252:
	v_subrev_u32_e32 v152, 38, v0
	s_movk_i32 s14, 0x198
	s_mov_b64 s[4:5], 0
.LBB127_253:                            ; =>This Inner Loop Header: Depth=1
	buffer_load_dword v153, v150, s[0:3], 0 offen
	v_mov_b32_e32 v154, s14
	ds_read_b32 v154, v154
	v_add_u32_e32 v152, -1, v152
	s_add_i32 s14, s14, 4
	v_cmp_eq_u32_e32 vcc, 0, v152
	v_add_u32_e32 v150, 4, v150
	s_or_b64 s[4:5], vcc, s[4:5]
	s_waitcnt vmcnt(0) lgkmcnt(0)
	v_fmac_f32_e32 v151, v153, v154
	s_andn2_b64 exec, exec, s[4:5]
	s_cbranch_execnz .LBB127_253
; %bb.254:
	s_or_b64 exec, exec, s[4:5]
.LBB127_255:
	s_or_b64 exec, exec, s[12:13]
	v_mov_b32_e32 v150, 0
	ds_read_b32 v150, v150 offset:148
	s_waitcnt lgkmcnt(0)
	v_mul_f32_e32 v150, v151, v150
	buffer_store_dword v150, off, s[0:3], 0 offset:148
.LBB127_256:
	s_or_b64 exec, exec, s[10:11]
	buffer_load_dword v150, off, s[0:3], 0 offset:144
	v_cmp_lt_u32_e64 s[4:5], 36, v0
	s_waitcnt vmcnt(0)
	ds_write_b32 v130, v150
	s_waitcnt lgkmcnt(0)
	; wave barrier
	s_waitcnt lgkmcnt(0)
	s_and_saveexec_b64 s[10:11], s[4:5]
	s_cbranch_execz .LBB127_266
; %bb.257:
	s_andn2_b64 vcc, exec, s[8:9]
	s_cbranch_vccnz .LBB127_259
; %bb.258:
	buffer_load_dword v150, v131, s[0:3], 0 offen
	ds_read_b32 v151, v130
	s_waitcnt vmcnt(0) lgkmcnt(0)
	v_mul_f32_e32 v150, v150, v151
	s_cbranch_execz .LBB127_260
	s_branch .LBB127_261
.LBB127_259:
                                        ; implicit-def: $vgpr150
.LBB127_260:
	ds_read_b32 v150, v130
.LBB127_261:
	s_and_saveexec_b64 s[12:13], s[6:7]
	s_cbranch_execz .LBB127_265
; %bb.262:
	v_mov_b32_e32 v151, 0
	v_add_u32_e32 v151, 0x94, v151
	v_subrev_u32_e32 v152, 37, v0
	s_movk_i32 s14, 0x194
	s_mov_b64 s[6:7], 0
.LBB127_263:                            ; =>This Inner Loop Header: Depth=1
	buffer_load_dword v153, v151, s[0:3], 0 offen
	v_mov_b32_e32 v154, s14
	ds_read_b32 v154, v154
	v_add_u32_e32 v152, -1, v152
	s_add_i32 s14, s14, 4
	v_cmp_eq_u32_e32 vcc, 0, v152
	v_add_u32_e32 v151, 4, v151
	s_or_b64 s[6:7], vcc, s[6:7]
	s_waitcnt vmcnt(0) lgkmcnt(0)
	v_fmac_f32_e32 v150, v153, v154
	s_andn2_b64 exec, exec, s[6:7]
	s_cbranch_execnz .LBB127_263
; %bb.264:
	s_or_b64 exec, exec, s[6:7]
.LBB127_265:
	s_or_b64 exec, exec, s[12:13]
	v_mov_b32_e32 v151, 0
	ds_read_b32 v151, v151 offset:144
	s_waitcnt lgkmcnt(0)
	v_mul_f32_e32 v150, v150, v151
	buffer_store_dword v150, off, s[0:3], 0 offset:144
.LBB127_266:
	s_or_b64 exec, exec, s[10:11]
	buffer_load_dword v150, off, s[0:3], 0 offset:140
	v_cmp_lt_u32_e64 s[6:7], 35, v0
	s_waitcnt vmcnt(0)
	ds_write_b32 v130, v150
	s_waitcnt lgkmcnt(0)
	; wave barrier
	s_waitcnt lgkmcnt(0)
	s_and_saveexec_b64 s[10:11], s[6:7]
	s_cbranch_execz .LBB127_276
; %bb.267:
	s_andn2_b64 vcc, exec, s[8:9]
	s_cbranch_vccnz .LBB127_269
; %bb.268:
	buffer_load_dword v150, v131, s[0:3], 0 offen
	ds_read_b32 v151, v130
	s_waitcnt vmcnt(0) lgkmcnt(0)
	v_mul_f32_e32 v150, v150, v151
	s_cbranch_execz .LBB127_270
	s_branch .LBB127_271
.LBB127_269:
                                        ; implicit-def: $vgpr150
.LBB127_270:
	ds_read_b32 v150, v130
.LBB127_271:
	s_and_saveexec_b64 s[12:13], s[4:5]
	s_cbranch_execz .LBB127_275
; %bb.272:
	v_subrev_u32_e32 v151, 36, v0
	s_movk_i32 s14, 0x190
	s_mov_b64 s[4:5], 0
.LBB127_273:                            ; =>This Inner Loop Header: Depth=1
	buffer_load_dword v152, v149, s[0:3], 0 offen
	v_mov_b32_e32 v153, s14
	ds_read_b32 v153, v153
	v_add_u32_e32 v151, -1, v151
	s_add_i32 s14, s14, 4
	v_cmp_eq_u32_e32 vcc, 0, v151
	v_add_u32_e32 v149, 4, v149
	s_or_b64 s[4:5], vcc, s[4:5]
	s_waitcnt vmcnt(0) lgkmcnt(0)
	v_fmac_f32_e32 v150, v152, v153
	s_andn2_b64 exec, exec, s[4:5]
	s_cbranch_execnz .LBB127_273
; %bb.274:
	s_or_b64 exec, exec, s[4:5]
.LBB127_275:
	s_or_b64 exec, exec, s[12:13]
	v_mov_b32_e32 v149, 0
	ds_read_b32 v149, v149 offset:140
	s_waitcnt lgkmcnt(0)
	v_mul_f32_e32 v149, v150, v149
	buffer_store_dword v149, off, s[0:3], 0 offset:140
.LBB127_276:
	s_or_b64 exec, exec, s[10:11]
	buffer_load_dword v149, off, s[0:3], 0 offset:136
	v_cmp_lt_u32_e64 s[4:5], 34, v0
	s_waitcnt vmcnt(0)
	ds_write_b32 v130, v149
	s_waitcnt lgkmcnt(0)
	; wave barrier
	s_waitcnt lgkmcnt(0)
	s_and_saveexec_b64 s[10:11], s[4:5]
	s_cbranch_execz .LBB127_286
; %bb.277:
	s_andn2_b64 vcc, exec, s[8:9]
	s_cbranch_vccnz .LBB127_279
; %bb.278:
	buffer_load_dword v149, v131, s[0:3], 0 offen
	ds_read_b32 v150, v130
	s_waitcnt vmcnt(0) lgkmcnt(0)
	v_mul_f32_e32 v149, v149, v150
	s_cbranch_execz .LBB127_280
	s_branch .LBB127_281
.LBB127_279:
                                        ; implicit-def: $vgpr149
.LBB127_280:
	ds_read_b32 v149, v130
.LBB127_281:
	s_and_saveexec_b64 s[12:13], s[6:7]
	s_cbranch_execz .LBB127_285
; %bb.282:
	v_mov_b32_e32 v150, 0
	v_add_u32_e32 v150, 0x8c, v150
	v_subrev_u32_e32 v151, 35, v0
	s_movk_i32 s14, 0x18c
	s_mov_b64 s[6:7], 0
.LBB127_283:                            ; =>This Inner Loop Header: Depth=1
	buffer_load_dword v152, v150, s[0:3], 0 offen
	v_mov_b32_e32 v153, s14
	ds_read_b32 v153, v153
	v_add_u32_e32 v151, -1, v151
	s_add_i32 s14, s14, 4
	v_cmp_eq_u32_e32 vcc, 0, v151
	v_add_u32_e32 v150, 4, v150
	s_or_b64 s[6:7], vcc, s[6:7]
	s_waitcnt vmcnt(0) lgkmcnt(0)
	v_fmac_f32_e32 v149, v152, v153
	s_andn2_b64 exec, exec, s[6:7]
	s_cbranch_execnz .LBB127_283
; %bb.284:
	s_or_b64 exec, exec, s[6:7]
.LBB127_285:
	s_or_b64 exec, exec, s[12:13]
	v_mov_b32_e32 v150, 0
	ds_read_b32 v150, v150 offset:136
	s_waitcnt lgkmcnt(0)
	v_mul_f32_e32 v149, v149, v150
	buffer_store_dword v149, off, s[0:3], 0 offset:136
.LBB127_286:
	s_or_b64 exec, exec, s[10:11]
	buffer_load_dword v149, off, s[0:3], 0 offset:132
	v_cmp_lt_u32_e64 s[6:7], 33, v0
	s_waitcnt vmcnt(0)
	ds_write_b32 v130, v149
	s_waitcnt lgkmcnt(0)
	; wave barrier
	s_waitcnt lgkmcnt(0)
	s_and_saveexec_b64 s[10:11], s[6:7]
	s_cbranch_execz .LBB127_296
; %bb.287:
	s_andn2_b64 vcc, exec, s[8:9]
	s_cbranch_vccnz .LBB127_289
; %bb.288:
	buffer_load_dword v149, v131, s[0:3], 0 offen
	ds_read_b32 v150, v130
	s_waitcnt vmcnt(0) lgkmcnt(0)
	v_mul_f32_e32 v149, v149, v150
	s_cbranch_execz .LBB127_290
	s_branch .LBB127_291
.LBB127_289:
                                        ; implicit-def: $vgpr149
.LBB127_290:
	ds_read_b32 v149, v130
.LBB127_291:
	s_and_saveexec_b64 s[12:13], s[4:5]
	s_cbranch_execz .LBB127_295
; %bb.292:
	v_subrev_u32_e32 v150, 34, v0
	s_movk_i32 s14, 0x188
	s_mov_b64 s[4:5], 0
.LBB127_293:                            ; =>This Inner Loop Header: Depth=1
	buffer_load_dword v151, v148, s[0:3], 0 offen
	v_mov_b32_e32 v152, s14
	ds_read_b32 v152, v152
	v_add_u32_e32 v150, -1, v150
	s_add_i32 s14, s14, 4
	v_cmp_eq_u32_e32 vcc, 0, v150
	v_add_u32_e32 v148, 4, v148
	s_or_b64 s[4:5], vcc, s[4:5]
	s_waitcnt vmcnt(0) lgkmcnt(0)
	v_fmac_f32_e32 v149, v151, v152
	s_andn2_b64 exec, exec, s[4:5]
	s_cbranch_execnz .LBB127_293
; %bb.294:
	s_or_b64 exec, exec, s[4:5]
.LBB127_295:
	s_or_b64 exec, exec, s[12:13]
	v_mov_b32_e32 v148, 0
	ds_read_b32 v148, v148 offset:132
	s_waitcnt lgkmcnt(0)
	v_mul_f32_e32 v148, v149, v148
	buffer_store_dword v148, off, s[0:3], 0 offset:132
.LBB127_296:
	s_or_b64 exec, exec, s[10:11]
	buffer_load_dword v148, off, s[0:3], 0 offset:128
	v_cmp_lt_u32_e64 s[4:5], 32, v0
	s_waitcnt vmcnt(0)
	ds_write_b32 v130, v148
	s_waitcnt lgkmcnt(0)
	; wave barrier
	s_waitcnt lgkmcnt(0)
	s_and_saveexec_b64 s[10:11], s[4:5]
	s_cbranch_execz .LBB127_306
; %bb.297:
	s_andn2_b64 vcc, exec, s[8:9]
	s_cbranch_vccnz .LBB127_299
; %bb.298:
	buffer_load_dword v148, v131, s[0:3], 0 offen
	ds_read_b32 v149, v130
	s_waitcnt vmcnt(0) lgkmcnt(0)
	v_mul_f32_e32 v148, v148, v149
	s_cbranch_execz .LBB127_300
	s_branch .LBB127_301
.LBB127_299:
                                        ; implicit-def: $vgpr148
.LBB127_300:
	ds_read_b32 v148, v130
.LBB127_301:
	s_and_saveexec_b64 s[12:13], s[6:7]
	s_cbranch_execz .LBB127_305
; %bb.302:
	v_mov_b32_e32 v149, 0
	v_add_u32_e32 v149, 0x84, v149
	v_subrev_u32_e32 v150, 33, v0
	s_movk_i32 s14, 0x184
	s_mov_b64 s[6:7], 0
.LBB127_303:                            ; =>This Inner Loop Header: Depth=1
	buffer_load_dword v151, v149, s[0:3], 0 offen
	v_mov_b32_e32 v152, s14
	ds_read_b32 v152, v152
	v_add_u32_e32 v150, -1, v150
	s_add_i32 s14, s14, 4
	v_cmp_eq_u32_e32 vcc, 0, v150
	v_add_u32_e32 v149, 4, v149
	s_or_b64 s[6:7], vcc, s[6:7]
	s_waitcnt vmcnt(0) lgkmcnt(0)
	v_fmac_f32_e32 v148, v151, v152
	s_andn2_b64 exec, exec, s[6:7]
	s_cbranch_execnz .LBB127_303
; %bb.304:
	s_or_b64 exec, exec, s[6:7]
.LBB127_305:
	s_or_b64 exec, exec, s[12:13]
	v_mov_b32_e32 v149, 0
	ds_read_b32 v149, v149 offset:128
	s_waitcnt lgkmcnt(0)
	v_mul_f32_e32 v148, v148, v149
	buffer_store_dword v148, off, s[0:3], 0 offset:128
.LBB127_306:
	s_or_b64 exec, exec, s[10:11]
	buffer_load_dword v148, off, s[0:3], 0 offset:124
	v_cmp_lt_u32_e64 s[6:7], 31, v0
	s_waitcnt vmcnt(0)
	ds_write_b32 v130, v148
	s_waitcnt lgkmcnt(0)
	; wave barrier
	s_waitcnt lgkmcnt(0)
	s_and_saveexec_b64 s[10:11], s[6:7]
	s_cbranch_execz .LBB127_316
; %bb.307:
	s_andn2_b64 vcc, exec, s[8:9]
	s_cbranch_vccnz .LBB127_309
; %bb.308:
	buffer_load_dword v148, v131, s[0:3], 0 offen
	ds_read_b32 v149, v130
	s_waitcnt vmcnt(0) lgkmcnt(0)
	v_mul_f32_e32 v148, v148, v149
	s_cbranch_execz .LBB127_310
	s_branch .LBB127_311
.LBB127_309:
                                        ; implicit-def: $vgpr148
.LBB127_310:
	ds_read_b32 v148, v130
.LBB127_311:
	s_and_saveexec_b64 s[12:13], s[4:5]
	s_cbranch_execz .LBB127_315
; %bb.312:
	v_subrev_u32_e32 v149, 32, v0
	s_movk_i32 s14, 0x180
	s_mov_b64 s[4:5], 0
.LBB127_313:                            ; =>This Inner Loop Header: Depth=1
	buffer_load_dword v150, v147, s[0:3], 0 offen
	v_mov_b32_e32 v151, s14
	ds_read_b32 v151, v151
	v_add_u32_e32 v149, -1, v149
	s_add_i32 s14, s14, 4
	v_cmp_eq_u32_e32 vcc, 0, v149
	v_add_u32_e32 v147, 4, v147
	s_or_b64 s[4:5], vcc, s[4:5]
	s_waitcnt vmcnt(0) lgkmcnt(0)
	v_fmac_f32_e32 v148, v150, v151
	s_andn2_b64 exec, exec, s[4:5]
	s_cbranch_execnz .LBB127_313
; %bb.314:
	s_or_b64 exec, exec, s[4:5]
.LBB127_315:
	s_or_b64 exec, exec, s[12:13]
	v_mov_b32_e32 v147, 0
	ds_read_b32 v147, v147 offset:124
	s_waitcnt lgkmcnt(0)
	v_mul_f32_e32 v147, v148, v147
	buffer_store_dword v147, off, s[0:3], 0 offset:124
.LBB127_316:
	s_or_b64 exec, exec, s[10:11]
	buffer_load_dword v147, off, s[0:3], 0 offset:120
	v_cmp_lt_u32_e64 s[4:5], 30, v0
	s_waitcnt vmcnt(0)
	ds_write_b32 v130, v147
	s_waitcnt lgkmcnt(0)
	; wave barrier
	s_waitcnt lgkmcnt(0)
	s_and_saveexec_b64 s[10:11], s[4:5]
	s_cbranch_execz .LBB127_326
; %bb.317:
	s_andn2_b64 vcc, exec, s[8:9]
	s_cbranch_vccnz .LBB127_319
; %bb.318:
	buffer_load_dword v147, v131, s[0:3], 0 offen
	ds_read_b32 v148, v130
	s_waitcnt vmcnt(0) lgkmcnt(0)
	v_mul_f32_e32 v147, v147, v148
	s_cbranch_execz .LBB127_320
	s_branch .LBB127_321
.LBB127_319:
                                        ; implicit-def: $vgpr147
.LBB127_320:
	ds_read_b32 v147, v130
.LBB127_321:
	s_and_saveexec_b64 s[12:13], s[6:7]
	s_cbranch_execz .LBB127_325
; %bb.322:
	v_mov_b32_e32 v148, 0
	v_add_u32_e32 v148, 0x7c, v148
	v_subrev_u32_e32 v149, 31, v0
	s_movk_i32 s14, 0x17c
	s_mov_b64 s[6:7], 0
.LBB127_323:                            ; =>This Inner Loop Header: Depth=1
	buffer_load_dword v150, v148, s[0:3], 0 offen
	v_mov_b32_e32 v151, s14
	ds_read_b32 v151, v151
	v_add_u32_e32 v149, -1, v149
	s_add_i32 s14, s14, 4
	v_cmp_eq_u32_e32 vcc, 0, v149
	v_add_u32_e32 v148, 4, v148
	s_or_b64 s[6:7], vcc, s[6:7]
	s_waitcnt vmcnt(0) lgkmcnt(0)
	v_fmac_f32_e32 v147, v150, v151
	s_andn2_b64 exec, exec, s[6:7]
	s_cbranch_execnz .LBB127_323
; %bb.324:
	s_or_b64 exec, exec, s[6:7]
.LBB127_325:
	s_or_b64 exec, exec, s[12:13]
	v_mov_b32_e32 v148, 0
	ds_read_b32 v148, v148 offset:120
	s_waitcnt lgkmcnt(0)
	v_mul_f32_e32 v147, v147, v148
	buffer_store_dword v147, off, s[0:3], 0 offset:120
.LBB127_326:
	s_or_b64 exec, exec, s[10:11]
	buffer_load_dword v147, off, s[0:3], 0 offset:116
	v_cmp_lt_u32_e64 s[6:7], 29, v0
	s_waitcnt vmcnt(0)
	ds_write_b32 v130, v147
	s_waitcnt lgkmcnt(0)
	; wave barrier
	s_waitcnt lgkmcnt(0)
	s_and_saveexec_b64 s[10:11], s[6:7]
	s_cbranch_execz .LBB127_336
; %bb.327:
	s_andn2_b64 vcc, exec, s[8:9]
	s_cbranch_vccnz .LBB127_329
; %bb.328:
	buffer_load_dword v147, v131, s[0:3], 0 offen
	ds_read_b32 v148, v130
	s_waitcnt vmcnt(0) lgkmcnt(0)
	v_mul_f32_e32 v147, v147, v148
	s_cbranch_execz .LBB127_330
	s_branch .LBB127_331
.LBB127_329:
                                        ; implicit-def: $vgpr147
.LBB127_330:
	ds_read_b32 v147, v130
.LBB127_331:
	s_and_saveexec_b64 s[12:13], s[4:5]
	s_cbranch_execz .LBB127_335
; %bb.332:
	v_subrev_u32_e32 v148, 30, v0
	s_movk_i32 s14, 0x178
	s_mov_b64 s[4:5], 0
.LBB127_333:                            ; =>This Inner Loop Header: Depth=1
	buffer_load_dword v149, v146, s[0:3], 0 offen
	v_mov_b32_e32 v150, s14
	ds_read_b32 v150, v150
	v_add_u32_e32 v148, -1, v148
	s_add_i32 s14, s14, 4
	v_cmp_eq_u32_e32 vcc, 0, v148
	v_add_u32_e32 v146, 4, v146
	s_or_b64 s[4:5], vcc, s[4:5]
	s_waitcnt vmcnt(0) lgkmcnt(0)
	v_fmac_f32_e32 v147, v149, v150
	s_andn2_b64 exec, exec, s[4:5]
	s_cbranch_execnz .LBB127_333
; %bb.334:
	s_or_b64 exec, exec, s[4:5]
.LBB127_335:
	s_or_b64 exec, exec, s[12:13]
	v_mov_b32_e32 v146, 0
	ds_read_b32 v146, v146 offset:116
	s_waitcnt lgkmcnt(0)
	v_mul_f32_e32 v146, v147, v146
	buffer_store_dword v146, off, s[0:3], 0 offset:116
.LBB127_336:
	s_or_b64 exec, exec, s[10:11]
	buffer_load_dword v146, off, s[0:3], 0 offset:112
	v_cmp_lt_u32_e64 s[4:5], 28, v0
	s_waitcnt vmcnt(0)
	ds_write_b32 v130, v146
	s_waitcnt lgkmcnt(0)
	; wave barrier
	s_waitcnt lgkmcnt(0)
	s_and_saveexec_b64 s[10:11], s[4:5]
	s_cbranch_execz .LBB127_346
; %bb.337:
	s_andn2_b64 vcc, exec, s[8:9]
	s_cbranch_vccnz .LBB127_339
; %bb.338:
	buffer_load_dword v146, v131, s[0:3], 0 offen
	ds_read_b32 v147, v130
	s_waitcnt vmcnt(0) lgkmcnt(0)
	v_mul_f32_e32 v146, v146, v147
	s_cbranch_execz .LBB127_340
	s_branch .LBB127_341
.LBB127_339:
                                        ; implicit-def: $vgpr146
.LBB127_340:
	ds_read_b32 v146, v130
.LBB127_341:
	s_and_saveexec_b64 s[12:13], s[6:7]
	s_cbranch_execz .LBB127_345
; %bb.342:
	v_mov_b32_e32 v147, 0
	v_add_u32_e32 v147, 0x74, v147
	v_subrev_u32_e32 v148, 29, v0
	s_movk_i32 s14, 0x174
	s_mov_b64 s[6:7], 0
.LBB127_343:                            ; =>This Inner Loop Header: Depth=1
	buffer_load_dword v149, v147, s[0:3], 0 offen
	v_mov_b32_e32 v150, s14
	ds_read_b32 v150, v150
	v_add_u32_e32 v148, -1, v148
	s_add_i32 s14, s14, 4
	v_cmp_eq_u32_e32 vcc, 0, v148
	v_add_u32_e32 v147, 4, v147
	s_or_b64 s[6:7], vcc, s[6:7]
	s_waitcnt vmcnt(0) lgkmcnt(0)
	v_fmac_f32_e32 v146, v149, v150
	s_andn2_b64 exec, exec, s[6:7]
	s_cbranch_execnz .LBB127_343
; %bb.344:
	s_or_b64 exec, exec, s[6:7]
.LBB127_345:
	s_or_b64 exec, exec, s[12:13]
	v_mov_b32_e32 v147, 0
	ds_read_b32 v147, v147 offset:112
	s_waitcnt lgkmcnt(0)
	v_mul_f32_e32 v146, v146, v147
	buffer_store_dword v146, off, s[0:3], 0 offset:112
.LBB127_346:
	s_or_b64 exec, exec, s[10:11]
	buffer_load_dword v146, off, s[0:3], 0 offset:108
	v_cmp_lt_u32_e64 s[6:7], 27, v0
	s_waitcnt vmcnt(0)
	ds_write_b32 v130, v146
	s_waitcnt lgkmcnt(0)
	; wave barrier
	s_waitcnt lgkmcnt(0)
	s_and_saveexec_b64 s[10:11], s[6:7]
	s_cbranch_execz .LBB127_356
; %bb.347:
	s_andn2_b64 vcc, exec, s[8:9]
	s_cbranch_vccnz .LBB127_349
; %bb.348:
	buffer_load_dword v146, v131, s[0:3], 0 offen
	ds_read_b32 v147, v130
	s_waitcnt vmcnt(0) lgkmcnt(0)
	v_mul_f32_e32 v146, v146, v147
	s_cbranch_execz .LBB127_350
	s_branch .LBB127_351
.LBB127_349:
                                        ; implicit-def: $vgpr146
.LBB127_350:
	ds_read_b32 v146, v130
.LBB127_351:
	s_and_saveexec_b64 s[12:13], s[4:5]
	s_cbranch_execz .LBB127_355
; %bb.352:
	v_subrev_u32_e32 v147, 28, v0
	s_movk_i32 s14, 0x170
	s_mov_b64 s[4:5], 0
.LBB127_353:                            ; =>This Inner Loop Header: Depth=1
	buffer_load_dword v148, v145, s[0:3], 0 offen
	v_mov_b32_e32 v149, s14
	ds_read_b32 v149, v149
	v_add_u32_e32 v147, -1, v147
	s_add_i32 s14, s14, 4
	v_cmp_eq_u32_e32 vcc, 0, v147
	v_add_u32_e32 v145, 4, v145
	s_or_b64 s[4:5], vcc, s[4:5]
	s_waitcnt vmcnt(0) lgkmcnt(0)
	v_fmac_f32_e32 v146, v148, v149
	s_andn2_b64 exec, exec, s[4:5]
	s_cbranch_execnz .LBB127_353
; %bb.354:
	s_or_b64 exec, exec, s[4:5]
.LBB127_355:
	s_or_b64 exec, exec, s[12:13]
	v_mov_b32_e32 v145, 0
	ds_read_b32 v145, v145 offset:108
	s_waitcnt lgkmcnt(0)
	v_mul_f32_e32 v145, v146, v145
	buffer_store_dword v145, off, s[0:3], 0 offset:108
.LBB127_356:
	s_or_b64 exec, exec, s[10:11]
	buffer_load_dword v145, off, s[0:3], 0 offset:104
	v_cmp_lt_u32_e64 s[4:5], 26, v0
	s_waitcnt vmcnt(0)
	ds_write_b32 v130, v145
	s_waitcnt lgkmcnt(0)
	; wave barrier
	s_waitcnt lgkmcnt(0)
	s_and_saveexec_b64 s[10:11], s[4:5]
	s_cbranch_execz .LBB127_366
; %bb.357:
	s_andn2_b64 vcc, exec, s[8:9]
	s_cbranch_vccnz .LBB127_359
; %bb.358:
	buffer_load_dword v145, v131, s[0:3], 0 offen
	ds_read_b32 v146, v130
	s_waitcnt vmcnt(0) lgkmcnt(0)
	v_mul_f32_e32 v145, v145, v146
	s_cbranch_execz .LBB127_360
	s_branch .LBB127_361
.LBB127_359:
                                        ; implicit-def: $vgpr145
.LBB127_360:
	ds_read_b32 v145, v130
.LBB127_361:
	s_and_saveexec_b64 s[12:13], s[6:7]
	s_cbranch_execz .LBB127_365
; %bb.362:
	v_mov_b32_e32 v146, 0
	v_add_u32_e32 v146, 0x6c, v146
	v_subrev_u32_e32 v147, 27, v0
	s_movk_i32 s14, 0x16c
	s_mov_b64 s[6:7], 0
.LBB127_363:                            ; =>This Inner Loop Header: Depth=1
	buffer_load_dword v148, v146, s[0:3], 0 offen
	v_mov_b32_e32 v149, s14
	ds_read_b32 v149, v149
	v_add_u32_e32 v147, -1, v147
	s_add_i32 s14, s14, 4
	v_cmp_eq_u32_e32 vcc, 0, v147
	v_add_u32_e32 v146, 4, v146
	s_or_b64 s[6:7], vcc, s[6:7]
	s_waitcnt vmcnt(0) lgkmcnt(0)
	v_fmac_f32_e32 v145, v148, v149
	s_andn2_b64 exec, exec, s[6:7]
	s_cbranch_execnz .LBB127_363
; %bb.364:
	s_or_b64 exec, exec, s[6:7]
.LBB127_365:
	s_or_b64 exec, exec, s[12:13]
	v_mov_b32_e32 v146, 0
	ds_read_b32 v146, v146 offset:104
	s_waitcnt lgkmcnt(0)
	v_mul_f32_e32 v145, v145, v146
	buffer_store_dword v145, off, s[0:3], 0 offset:104
.LBB127_366:
	s_or_b64 exec, exec, s[10:11]
	buffer_load_dword v145, off, s[0:3], 0 offset:100
	v_cmp_lt_u32_e64 s[6:7], 25, v0
	s_waitcnt vmcnt(0)
	ds_write_b32 v130, v145
	s_waitcnt lgkmcnt(0)
	; wave barrier
	s_waitcnt lgkmcnt(0)
	s_and_saveexec_b64 s[10:11], s[6:7]
	s_cbranch_execz .LBB127_376
; %bb.367:
	s_andn2_b64 vcc, exec, s[8:9]
	s_cbranch_vccnz .LBB127_369
; %bb.368:
	buffer_load_dword v145, v131, s[0:3], 0 offen
	ds_read_b32 v146, v130
	s_waitcnt vmcnt(0) lgkmcnt(0)
	v_mul_f32_e32 v145, v145, v146
	s_cbranch_execz .LBB127_370
	s_branch .LBB127_371
.LBB127_369:
                                        ; implicit-def: $vgpr145
.LBB127_370:
	ds_read_b32 v145, v130
.LBB127_371:
	s_and_saveexec_b64 s[12:13], s[4:5]
	s_cbranch_execz .LBB127_375
; %bb.372:
	v_subrev_u32_e32 v146, 26, v0
	s_movk_i32 s14, 0x168
	s_mov_b64 s[4:5], 0
.LBB127_373:                            ; =>This Inner Loop Header: Depth=1
	buffer_load_dword v147, v144, s[0:3], 0 offen
	v_mov_b32_e32 v148, s14
	ds_read_b32 v148, v148
	v_add_u32_e32 v146, -1, v146
	s_add_i32 s14, s14, 4
	v_cmp_eq_u32_e32 vcc, 0, v146
	v_add_u32_e32 v144, 4, v144
	s_or_b64 s[4:5], vcc, s[4:5]
	s_waitcnt vmcnt(0) lgkmcnt(0)
	v_fmac_f32_e32 v145, v147, v148
	s_andn2_b64 exec, exec, s[4:5]
	s_cbranch_execnz .LBB127_373
; %bb.374:
	s_or_b64 exec, exec, s[4:5]
.LBB127_375:
	s_or_b64 exec, exec, s[12:13]
	v_mov_b32_e32 v144, 0
	ds_read_b32 v144, v144 offset:100
	s_waitcnt lgkmcnt(0)
	v_mul_f32_e32 v144, v145, v144
	buffer_store_dword v144, off, s[0:3], 0 offset:100
.LBB127_376:
	s_or_b64 exec, exec, s[10:11]
	buffer_load_dword v144, off, s[0:3], 0 offset:96
	v_cmp_lt_u32_e64 s[4:5], 24, v0
	s_waitcnt vmcnt(0)
	ds_write_b32 v130, v144
	s_waitcnt lgkmcnt(0)
	; wave barrier
	s_waitcnt lgkmcnt(0)
	s_and_saveexec_b64 s[10:11], s[4:5]
	s_cbranch_execz .LBB127_386
; %bb.377:
	s_andn2_b64 vcc, exec, s[8:9]
	s_cbranch_vccnz .LBB127_379
; %bb.378:
	buffer_load_dword v144, v131, s[0:3], 0 offen
	ds_read_b32 v145, v130
	s_waitcnt vmcnt(0) lgkmcnt(0)
	v_mul_f32_e32 v144, v144, v145
	s_cbranch_execz .LBB127_380
	s_branch .LBB127_381
.LBB127_379:
                                        ; implicit-def: $vgpr144
.LBB127_380:
	ds_read_b32 v144, v130
.LBB127_381:
	s_and_saveexec_b64 s[12:13], s[6:7]
	s_cbranch_execz .LBB127_385
; %bb.382:
	v_mov_b32_e32 v145, 0
	v_add_u32_e32 v145, 0x64, v145
	v_subrev_u32_e32 v146, 25, v0
	s_movk_i32 s14, 0x164
	s_mov_b64 s[6:7], 0
.LBB127_383:                            ; =>This Inner Loop Header: Depth=1
	buffer_load_dword v147, v145, s[0:3], 0 offen
	v_mov_b32_e32 v148, s14
	ds_read_b32 v148, v148
	v_add_u32_e32 v146, -1, v146
	s_add_i32 s14, s14, 4
	v_cmp_eq_u32_e32 vcc, 0, v146
	v_add_u32_e32 v145, 4, v145
	s_or_b64 s[6:7], vcc, s[6:7]
	s_waitcnt vmcnt(0) lgkmcnt(0)
	v_fmac_f32_e32 v144, v147, v148
	s_andn2_b64 exec, exec, s[6:7]
	s_cbranch_execnz .LBB127_383
; %bb.384:
	s_or_b64 exec, exec, s[6:7]
.LBB127_385:
	s_or_b64 exec, exec, s[12:13]
	v_mov_b32_e32 v145, 0
	ds_read_b32 v145, v145 offset:96
	s_waitcnt lgkmcnt(0)
	v_mul_f32_e32 v144, v144, v145
	buffer_store_dword v144, off, s[0:3], 0 offset:96
.LBB127_386:
	s_or_b64 exec, exec, s[10:11]
	buffer_load_dword v144, off, s[0:3], 0 offset:92
	v_cmp_lt_u32_e64 s[6:7], 23, v0
	s_waitcnt vmcnt(0)
	ds_write_b32 v130, v144
	s_waitcnt lgkmcnt(0)
	; wave barrier
	s_waitcnt lgkmcnt(0)
	s_and_saveexec_b64 s[10:11], s[6:7]
	s_cbranch_execz .LBB127_396
; %bb.387:
	s_andn2_b64 vcc, exec, s[8:9]
	s_cbranch_vccnz .LBB127_389
; %bb.388:
	buffer_load_dword v144, v131, s[0:3], 0 offen
	ds_read_b32 v145, v130
	s_waitcnt vmcnt(0) lgkmcnt(0)
	v_mul_f32_e32 v144, v144, v145
	s_cbranch_execz .LBB127_390
	s_branch .LBB127_391
.LBB127_389:
                                        ; implicit-def: $vgpr144
.LBB127_390:
	ds_read_b32 v144, v130
.LBB127_391:
	s_and_saveexec_b64 s[12:13], s[4:5]
	s_cbranch_execz .LBB127_395
; %bb.392:
	v_subrev_u32_e32 v145, 24, v0
	s_movk_i32 s14, 0x160
	s_mov_b64 s[4:5], 0
.LBB127_393:                            ; =>This Inner Loop Header: Depth=1
	buffer_load_dword v146, v143, s[0:3], 0 offen
	v_mov_b32_e32 v147, s14
	ds_read_b32 v147, v147
	v_add_u32_e32 v145, -1, v145
	s_add_i32 s14, s14, 4
	v_cmp_eq_u32_e32 vcc, 0, v145
	v_add_u32_e32 v143, 4, v143
	s_or_b64 s[4:5], vcc, s[4:5]
	s_waitcnt vmcnt(0) lgkmcnt(0)
	v_fmac_f32_e32 v144, v146, v147
	s_andn2_b64 exec, exec, s[4:5]
	s_cbranch_execnz .LBB127_393
; %bb.394:
	s_or_b64 exec, exec, s[4:5]
.LBB127_395:
	s_or_b64 exec, exec, s[12:13]
	v_mov_b32_e32 v143, 0
	ds_read_b32 v143, v143 offset:92
	s_waitcnt lgkmcnt(0)
	v_mul_f32_e32 v143, v144, v143
	buffer_store_dword v143, off, s[0:3], 0 offset:92
.LBB127_396:
	s_or_b64 exec, exec, s[10:11]
	buffer_load_dword v143, off, s[0:3], 0 offset:88
	v_cmp_lt_u32_e64 s[4:5], 22, v0
	s_waitcnt vmcnt(0)
	ds_write_b32 v130, v143
	s_waitcnt lgkmcnt(0)
	; wave barrier
	s_waitcnt lgkmcnt(0)
	s_and_saveexec_b64 s[10:11], s[4:5]
	s_cbranch_execz .LBB127_406
; %bb.397:
	s_andn2_b64 vcc, exec, s[8:9]
	s_cbranch_vccnz .LBB127_399
; %bb.398:
	buffer_load_dword v143, v131, s[0:3], 0 offen
	ds_read_b32 v144, v130
	s_waitcnt vmcnt(0) lgkmcnt(0)
	v_mul_f32_e32 v143, v143, v144
	s_cbranch_execz .LBB127_400
	s_branch .LBB127_401
.LBB127_399:
                                        ; implicit-def: $vgpr143
.LBB127_400:
	ds_read_b32 v143, v130
.LBB127_401:
	s_and_saveexec_b64 s[12:13], s[6:7]
	s_cbranch_execz .LBB127_405
; %bb.402:
	v_mov_b32_e32 v144, 0
	v_add_u32_e32 v144, 0x5c, v144
	v_subrev_u32_e32 v145, 23, v0
	s_movk_i32 s14, 0x15c
	s_mov_b64 s[6:7], 0
.LBB127_403:                            ; =>This Inner Loop Header: Depth=1
	buffer_load_dword v146, v144, s[0:3], 0 offen
	v_mov_b32_e32 v147, s14
	ds_read_b32 v147, v147
	v_add_u32_e32 v145, -1, v145
	s_add_i32 s14, s14, 4
	v_cmp_eq_u32_e32 vcc, 0, v145
	v_add_u32_e32 v144, 4, v144
	s_or_b64 s[6:7], vcc, s[6:7]
	s_waitcnt vmcnt(0) lgkmcnt(0)
	v_fmac_f32_e32 v143, v146, v147
	s_andn2_b64 exec, exec, s[6:7]
	s_cbranch_execnz .LBB127_403
; %bb.404:
	s_or_b64 exec, exec, s[6:7]
.LBB127_405:
	s_or_b64 exec, exec, s[12:13]
	v_mov_b32_e32 v144, 0
	ds_read_b32 v144, v144 offset:88
	s_waitcnt lgkmcnt(0)
	v_mul_f32_e32 v143, v143, v144
	buffer_store_dword v143, off, s[0:3], 0 offset:88
.LBB127_406:
	s_or_b64 exec, exec, s[10:11]
	buffer_load_dword v143, off, s[0:3], 0 offset:84
	v_cmp_lt_u32_e64 s[6:7], 21, v0
	s_waitcnt vmcnt(0)
	ds_write_b32 v130, v143
	s_waitcnt lgkmcnt(0)
	; wave barrier
	s_waitcnt lgkmcnt(0)
	s_and_saveexec_b64 s[10:11], s[6:7]
	s_cbranch_execz .LBB127_416
; %bb.407:
	s_andn2_b64 vcc, exec, s[8:9]
	s_cbranch_vccnz .LBB127_409
; %bb.408:
	buffer_load_dword v143, v131, s[0:3], 0 offen
	ds_read_b32 v144, v130
	s_waitcnt vmcnt(0) lgkmcnt(0)
	v_mul_f32_e32 v143, v143, v144
	s_cbranch_execz .LBB127_410
	s_branch .LBB127_411
.LBB127_409:
                                        ; implicit-def: $vgpr143
.LBB127_410:
	ds_read_b32 v143, v130
.LBB127_411:
	s_and_saveexec_b64 s[12:13], s[4:5]
	s_cbranch_execz .LBB127_415
; %bb.412:
	v_subrev_u32_e32 v144, 22, v0
	s_movk_i32 s14, 0x158
	s_mov_b64 s[4:5], 0
.LBB127_413:                            ; =>This Inner Loop Header: Depth=1
	buffer_load_dword v145, v142, s[0:3], 0 offen
	v_mov_b32_e32 v146, s14
	ds_read_b32 v146, v146
	v_add_u32_e32 v144, -1, v144
	s_add_i32 s14, s14, 4
	v_cmp_eq_u32_e32 vcc, 0, v144
	v_add_u32_e32 v142, 4, v142
	s_or_b64 s[4:5], vcc, s[4:5]
	s_waitcnt vmcnt(0) lgkmcnt(0)
	v_fmac_f32_e32 v143, v145, v146
	s_andn2_b64 exec, exec, s[4:5]
	s_cbranch_execnz .LBB127_413
; %bb.414:
	s_or_b64 exec, exec, s[4:5]
.LBB127_415:
	s_or_b64 exec, exec, s[12:13]
	v_mov_b32_e32 v142, 0
	ds_read_b32 v142, v142 offset:84
	s_waitcnt lgkmcnt(0)
	v_mul_f32_e32 v142, v143, v142
	buffer_store_dword v142, off, s[0:3], 0 offset:84
.LBB127_416:
	s_or_b64 exec, exec, s[10:11]
	buffer_load_dword v142, off, s[0:3], 0 offset:80
	v_cmp_lt_u32_e64 s[4:5], 20, v0
	s_waitcnt vmcnt(0)
	ds_write_b32 v130, v142
	s_waitcnt lgkmcnt(0)
	; wave barrier
	s_waitcnt lgkmcnt(0)
	s_and_saveexec_b64 s[10:11], s[4:5]
	s_cbranch_execz .LBB127_426
; %bb.417:
	s_andn2_b64 vcc, exec, s[8:9]
	s_cbranch_vccnz .LBB127_419
; %bb.418:
	buffer_load_dword v142, v131, s[0:3], 0 offen
	ds_read_b32 v143, v130
	s_waitcnt vmcnt(0) lgkmcnt(0)
	v_mul_f32_e32 v142, v142, v143
	s_cbranch_execz .LBB127_420
	s_branch .LBB127_421
.LBB127_419:
                                        ; implicit-def: $vgpr142
.LBB127_420:
	ds_read_b32 v142, v130
.LBB127_421:
	s_and_saveexec_b64 s[12:13], s[6:7]
	s_cbranch_execz .LBB127_425
; %bb.422:
	v_mov_b32_e32 v143, 0
	v_add_u32_e32 v143, 0x54, v143
	v_subrev_u32_e32 v144, 21, v0
	s_movk_i32 s14, 0x154
	s_mov_b64 s[6:7], 0
.LBB127_423:                            ; =>This Inner Loop Header: Depth=1
	buffer_load_dword v145, v143, s[0:3], 0 offen
	v_mov_b32_e32 v146, s14
	ds_read_b32 v146, v146
	v_add_u32_e32 v144, -1, v144
	s_add_i32 s14, s14, 4
	v_cmp_eq_u32_e32 vcc, 0, v144
	v_add_u32_e32 v143, 4, v143
	s_or_b64 s[6:7], vcc, s[6:7]
	s_waitcnt vmcnt(0) lgkmcnt(0)
	v_fmac_f32_e32 v142, v145, v146
	s_andn2_b64 exec, exec, s[6:7]
	s_cbranch_execnz .LBB127_423
; %bb.424:
	s_or_b64 exec, exec, s[6:7]
.LBB127_425:
	s_or_b64 exec, exec, s[12:13]
	v_mov_b32_e32 v143, 0
	ds_read_b32 v143, v143 offset:80
	s_waitcnt lgkmcnt(0)
	v_mul_f32_e32 v142, v142, v143
	buffer_store_dword v142, off, s[0:3], 0 offset:80
.LBB127_426:
	s_or_b64 exec, exec, s[10:11]
	buffer_load_dword v142, off, s[0:3], 0 offset:76
	v_cmp_lt_u32_e64 s[6:7], 19, v0
	s_waitcnt vmcnt(0)
	ds_write_b32 v130, v142
	s_waitcnt lgkmcnt(0)
	; wave barrier
	s_waitcnt lgkmcnt(0)
	s_and_saveexec_b64 s[10:11], s[6:7]
	s_cbranch_execz .LBB127_436
; %bb.427:
	s_andn2_b64 vcc, exec, s[8:9]
	s_cbranch_vccnz .LBB127_429
; %bb.428:
	buffer_load_dword v142, v131, s[0:3], 0 offen
	ds_read_b32 v143, v130
	s_waitcnt vmcnt(0) lgkmcnt(0)
	v_mul_f32_e32 v142, v142, v143
	s_cbranch_execz .LBB127_430
	s_branch .LBB127_431
.LBB127_429:
                                        ; implicit-def: $vgpr142
.LBB127_430:
	ds_read_b32 v142, v130
.LBB127_431:
	s_and_saveexec_b64 s[12:13], s[4:5]
	s_cbranch_execz .LBB127_435
; %bb.432:
	v_subrev_u32_e32 v143, 20, v0
	s_movk_i32 s14, 0x150
	s_mov_b64 s[4:5], 0
.LBB127_433:                            ; =>This Inner Loop Header: Depth=1
	buffer_load_dword v144, v141, s[0:3], 0 offen
	v_mov_b32_e32 v145, s14
	ds_read_b32 v145, v145
	v_add_u32_e32 v143, -1, v143
	s_add_i32 s14, s14, 4
	v_cmp_eq_u32_e32 vcc, 0, v143
	v_add_u32_e32 v141, 4, v141
	s_or_b64 s[4:5], vcc, s[4:5]
	s_waitcnt vmcnt(0) lgkmcnt(0)
	v_fmac_f32_e32 v142, v144, v145
	s_andn2_b64 exec, exec, s[4:5]
	s_cbranch_execnz .LBB127_433
; %bb.434:
	s_or_b64 exec, exec, s[4:5]
.LBB127_435:
	s_or_b64 exec, exec, s[12:13]
	v_mov_b32_e32 v141, 0
	ds_read_b32 v141, v141 offset:76
	s_waitcnt lgkmcnt(0)
	v_mul_f32_e32 v141, v142, v141
	buffer_store_dword v141, off, s[0:3], 0 offset:76
.LBB127_436:
	s_or_b64 exec, exec, s[10:11]
	buffer_load_dword v141, off, s[0:3], 0 offset:72
	v_cmp_lt_u32_e64 s[4:5], 18, v0
	s_waitcnt vmcnt(0)
	ds_write_b32 v130, v141
	s_waitcnt lgkmcnt(0)
	; wave barrier
	s_waitcnt lgkmcnt(0)
	s_and_saveexec_b64 s[10:11], s[4:5]
	s_cbranch_execz .LBB127_446
; %bb.437:
	s_andn2_b64 vcc, exec, s[8:9]
	s_cbranch_vccnz .LBB127_439
; %bb.438:
	buffer_load_dword v141, v131, s[0:3], 0 offen
	ds_read_b32 v142, v130
	s_waitcnt vmcnt(0) lgkmcnt(0)
	v_mul_f32_e32 v141, v141, v142
	s_cbranch_execz .LBB127_440
	s_branch .LBB127_441
.LBB127_439:
                                        ; implicit-def: $vgpr141
.LBB127_440:
	ds_read_b32 v141, v130
.LBB127_441:
	s_and_saveexec_b64 s[12:13], s[6:7]
	s_cbranch_execz .LBB127_445
; %bb.442:
	v_mov_b32_e32 v142, 0
	v_add_u32_e32 v142, 0x4c, v142
	v_subrev_u32_e32 v143, 19, v0
	s_movk_i32 s14, 0x14c
	s_mov_b64 s[6:7], 0
.LBB127_443:                            ; =>This Inner Loop Header: Depth=1
	buffer_load_dword v144, v142, s[0:3], 0 offen
	v_mov_b32_e32 v145, s14
	ds_read_b32 v145, v145
	v_add_u32_e32 v143, -1, v143
	s_add_i32 s14, s14, 4
	v_cmp_eq_u32_e32 vcc, 0, v143
	v_add_u32_e32 v142, 4, v142
	s_or_b64 s[6:7], vcc, s[6:7]
	s_waitcnt vmcnt(0) lgkmcnt(0)
	v_fmac_f32_e32 v141, v144, v145
	s_andn2_b64 exec, exec, s[6:7]
	s_cbranch_execnz .LBB127_443
; %bb.444:
	s_or_b64 exec, exec, s[6:7]
.LBB127_445:
	s_or_b64 exec, exec, s[12:13]
	v_mov_b32_e32 v142, 0
	ds_read_b32 v142, v142 offset:72
	s_waitcnt lgkmcnt(0)
	v_mul_f32_e32 v141, v141, v142
	buffer_store_dword v141, off, s[0:3], 0 offset:72
.LBB127_446:
	s_or_b64 exec, exec, s[10:11]
	buffer_load_dword v141, off, s[0:3], 0 offset:68
	v_cmp_lt_u32_e64 s[6:7], 17, v0
	s_waitcnt vmcnt(0)
	ds_write_b32 v130, v141
	s_waitcnt lgkmcnt(0)
	; wave barrier
	s_waitcnt lgkmcnt(0)
	s_and_saveexec_b64 s[10:11], s[6:7]
	s_cbranch_execz .LBB127_456
; %bb.447:
	s_andn2_b64 vcc, exec, s[8:9]
	s_cbranch_vccnz .LBB127_449
; %bb.448:
	buffer_load_dword v141, v131, s[0:3], 0 offen
	ds_read_b32 v142, v130
	s_waitcnt vmcnt(0) lgkmcnt(0)
	v_mul_f32_e32 v141, v141, v142
	s_cbranch_execz .LBB127_450
	s_branch .LBB127_451
.LBB127_449:
                                        ; implicit-def: $vgpr141
.LBB127_450:
	ds_read_b32 v141, v130
.LBB127_451:
	s_and_saveexec_b64 s[12:13], s[4:5]
	s_cbranch_execz .LBB127_455
; %bb.452:
	v_subrev_u32_e32 v142, 18, v0
	s_movk_i32 s14, 0x148
	s_mov_b64 s[4:5], 0
.LBB127_453:                            ; =>This Inner Loop Header: Depth=1
	buffer_load_dword v143, v140, s[0:3], 0 offen
	v_mov_b32_e32 v144, s14
	ds_read_b32 v144, v144
	v_add_u32_e32 v142, -1, v142
	s_add_i32 s14, s14, 4
	v_cmp_eq_u32_e32 vcc, 0, v142
	v_add_u32_e32 v140, 4, v140
	s_or_b64 s[4:5], vcc, s[4:5]
	s_waitcnt vmcnt(0) lgkmcnt(0)
	v_fmac_f32_e32 v141, v143, v144
	s_andn2_b64 exec, exec, s[4:5]
	s_cbranch_execnz .LBB127_453
; %bb.454:
	s_or_b64 exec, exec, s[4:5]
.LBB127_455:
	s_or_b64 exec, exec, s[12:13]
	v_mov_b32_e32 v140, 0
	ds_read_b32 v140, v140 offset:68
	s_waitcnt lgkmcnt(0)
	v_mul_f32_e32 v140, v141, v140
	buffer_store_dword v140, off, s[0:3], 0 offset:68
.LBB127_456:
	s_or_b64 exec, exec, s[10:11]
	buffer_load_dword v140, off, s[0:3], 0 offset:64
	v_cmp_lt_u32_e64 s[4:5], 16, v0
	s_waitcnt vmcnt(0)
	ds_write_b32 v130, v140
	s_waitcnt lgkmcnt(0)
	; wave barrier
	s_waitcnt lgkmcnt(0)
	s_and_saveexec_b64 s[10:11], s[4:5]
	s_cbranch_execz .LBB127_466
; %bb.457:
	s_andn2_b64 vcc, exec, s[8:9]
	s_cbranch_vccnz .LBB127_459
; %bb.458:
	buffer_load_dword v140, v131, s[0:3], 0 offen
	ds_read_b32 v141, v130
	s_waitcnt vmcnt(0) lgkmcnt(0)
	v_mul_f32_e32 v140, v140, v141
	s_cbranch_execz .LBB127_460
	s_branch .LBB127_461
.LBB127_459:
                                        ; implicit-def: $vgpr140
.LBB127_460:
	ds_read_b32 v140, v130
.LBB127_461:
	s_and_saveexec_b64 s[12:13], s[6:7]
	s_cbranch_execz .LBB127_465
; %bb.462:
	v_mov_b32_e32 v141, 0
	v_add_u32_e32 v141, 0x44, v141
	v_subrev_u32_e32 v142, 17, v0
	s_movk_i32 s14, 0x144
	s_mov_b64 s[6:7], 0
.LBB127_463:                            ; =>This Inner Loop Header: Depth=1
	buffer_load_dword v143, v141, s[0:3], 0 offen
	v_mov_b32_e32 v144, s14
	ds_read_b32 v144, v144
	v_add_u32_e32 v142, -1, v142
	s_add_i32 s14, s14, 4
	v_cmp_eq_u32_e32 vcc, 0, v142
	v_add_u32_e32 v141, 4, v141
	s_or_b64 s[6:7], vcc, s[6:7]
	s_waitcnt vmcnt(0) lgkmcnt(0)
	v_fmac_f32_e32 v140, v143, v144
	s_andn2_b64 exec, exec, s[6:7]
	s_cbranch_execnz .LBB127_463
; %bb.464:
	s_or_b64 exec, exec, s[6:7]
.LBB127_465:
	s_or_b64 exec, exec, s[12:13]
	v_mov_b32_e32 v141, 0
	ds_read_b32 v141, v141 offset:64
	s_waitcnt lgkmcnt(0)
	v_mul_f32_e32 v140, v140, v141
	buffer_store_dword v140, off, s[0:3], 0 offset:64
.LBB127_466:
	s_or_b64 exec, exec, s[10:11]
	buffer_load_dword v140, off, s[0:3], 0 offset:60
	v_cmp_lt_u32_e64 s[6:7], 15, v0
	s_waitcnt vmcnt(0)
	ds_write_b32 v130, v140
	s_waitcnt lgkmcnt(0)
	; wave barrier
	s_waitcnt lgkmcnt(0)
	s_and_saveexec_b64 s[10:11], s[6:7]
	s_cbranch_execz .LBB127_476
; %bb.467:
	s_andn2_b64 vcc, exec, s[8:9]
	s_cbranch_vccnz .LBB127_469
; %bb.468:
	buffer_load_dword v140, v131, s[0:3], 0 offen
	ds_read_b32 v141, v130
	s_waitcnt vmcnt(0) lgkmcnt(0)
	v_mul_f32_e32 v140, v140, v141
	s_cbranch_execz .LBB127_470
	s_branch .LBB127_471
.LBB127_469:
                                        ; implicit-def: $vgpr140
.LBB127_470:
	ds_read_b32 v140, v130
.LBB127_471:
	s_and_saveexec_b64 s[12:13], s[4:5]
	s_cbranch_execz .LBB127_475
; %bb.472:
	v_add_u32_e32 v141, -16, v0
	s_movk_i32 s14, 0x140
	s_mov_b64 s[4:5], 0
.LBB127_473:                            ; =>This Inner Loop Header: Depth=1
	buffer_load_dword v142, v139, s[0:3], 0 offen
	v_mov_b32_e32 v143, s14
	ds_read_b32 v143, v143
	v_add_u32_e32 v141, -1, v141
	s_add_i32 s14, s14, 4
	v_cmp_eq_u32_e32 vcc, 0, v141
	v_add_u32_e32 v139, 4, v139
	s_or_b64 s[4:5], vcc, s[4:5]
	s_waitcnt vmcnt(0) lgkmcnt(0)
	v_fmac_f32_e32 v140, v142, v143
	s_andn2_b64 exec, exec, s[4:5]
	s_cbranch_execnz .LBB127_473
; %bb.474:
	s_or_b64 exec, exec, s[4:5]
.LBB127_475:
	s_or_b64 exec, exec, s[12:13]
	v_mov_b32_e32 v139, 0
	ds_read_b32 v139, v139 offset:60
	s_waitcnt lgkmcnt(0)
	v_mul_f32_e32 v139, v140, v139
	buffer_store_dword v139, off, s[0:3], 0 offset:60
.LBB127_476:
	s_or_b64 exec, exec, s[10:11]
	buffer_load_dword v139, off, s[0:3], 0 offset:56
	v_cmp_lt_u32_e64 s[4:5], 14, v0
	s_waitcnt vmcnt(0)
	ds_write_b32 v130, v139
	s_waitcnt lgkmcnt(0)
	; wave barrier
	s_waitcnt lgkmcnt(0)
	s_and_saveexec_b64 s[10:11], s[4:5]
	s_cbranch_execz .LBB127_486
; %bb.477:
	s_andn2_b64 vcc, exec, s[8:9]
	s_cbranch_vccnz .LBB127_479
; %bb.478:
	buffer_load_dword v139, v131, s[0:3], 0 offen
	ds_read_b32 v140, v130
	s_waitcnt vmcnt(0) lgkmcnt(0)
	v_mul_f32_e32 v139, v139, v140
	s_cbranch_execz .LBB127_480
	s_branch .LBB127_481
.LBB127_479:
                                        ; implicit-def: $vgpr139
.LBB127_480:
	ds_read_b32 v139, v130
.LBB127_481:
	s_and_saveexec_b64 s[12:13], s[6:7]
	s_cbranch_execz .LBB127_485
; %bb.482:
	v_mov_b32_e32 v140, 0
	v_add_u32_e32 v140, 60, v140
	v_add_u32_e32 v141, -15, v0
	s_movk_i32 s14, 0x13c
	s_mov_b64 s[6:7], 0
.LBB127_483:                            ; =>This Inner Loop Header: Depth=1
	buffer_load_dword v142, v140, s[0:3], 0 offen
	v_mov_b32_e32 v143, s14
	ds_read_b32 v143, v143
	v_add_u32_e32 v141, -1, v141
	s_add_i32 s14, s14, 4
	v_cmp_eq_u32_e32 vcc, 0, v141
	v_add_u32_e32 v140, 4, v140
	s_or_b64 s[6:7], vcc, s[6:7]
	s_waitcnt vmcnt(0) lgkmcnt(0)
	v_fmac_f32_e32 v139, v142, v143
	s_andn2_b64 exec, exec, s[6:7]
	s_cbranch_execnz .LBB127_483
; %bb.484:
	s_or_b64 exec, exec, s[6:7]
.LBB127_485:
	s_or_b64 exec, exec, s[12:13]
	v_mov_b32_e32 v140, 0
	ds_read_b32 v140, v140 offset:56
	s_waitcnt lgkmcnt(0)
	v_mul_f32_e32 v139, v139, v140
	buffer_store_dword v139, off, s[0:3], 0 offset:56
.LBB127_486:
	s_or_b64 exec, exec, s[10:11]
	buffer_load_dword v139, off, s[0:3], 0 offset:52
	v_cmp_lt_u32_e64 s[6:7], 13, v0
	s_waitcnt vmcnt(0)
	ds_write_b32 v130, v139
	s_waitcnt lgkmcnt(0)
	; wave barrier
	s_waitcnt lgkmcnt(0)
	s_and_saveexec_b64 s[10:11], s[6:7]
	s_cbranch_execz .LBB127_496
; %bb.487:
	s_andn2_b64 vcc, exec, s[8:9]
	s_cbranch_vccnz .LBB127_489
; %bb.488:
	buffer_load_dword v139, v131, s[0:3], 0 offen
	ds_read_b32 v140, v130
	s_waitcnt vmcnt(0) lgkmcnt(0)
	v_mul_f32_e32 v139, v139, v140
	s_cbranch_execz .LBB127_490
	s_branch .LBB127_491
.LBB127_489:
                                        ; implicit-def: $vgpr139
.LBB127_490:
	ds_read_b32 v139, v130
.LBB127_491:
	s_and_saveexec_b64 s[12:13], s[4:5]
	s_cbranch_execz .LBB127_495
; %bb.492:
	v_add_u32_e32 v140, -14, v0
	s_movk_i32 s14, 0x138
	s_mov_b64 s[4:5], 0
.LBB127_493:                            ; =>This Inner Loop Header: Depth=1
	buffer_load_dword v141, v138, s[0:3], 0 offen
	v_mov_b32_e32 v142, s14
	ds_read_b32 v142, v142
	v_add_u32_e32 v140, -1, v140
	s_add_i32 s14, s14, 4
	v_cmp_eq_u32_e32 vcc, 0, v140
	v_add_u32_e32 v138, 4, v138
	s_or_b64 s[4:5], vcc, s[4:5]
	s_waitcnt vmcnt(0) lgkmcnt(0)
	v_fmac_f32_e32 v139, v141, v142
	s_andn2_b64 exec, exec, s[4:5]
	s_cbranch_execnz .LBB127_493
; %bb.494:
	s_or_b64 exec, exec, s[4:5]
.LBB127_495:
	s_or_b64 exec, exec, s[12:13]
	v_mov_b32_e32 v138, 0
	ds_read_b32 v138, v138 offset:52
	s_waitcnt lgkmcnt(0)
	v_mul_f32_e32 v138, v139, v138
	buffer_store_dword v138, off, s[0:3], 0 offset:52
.LBB127_496:
	s_or_b64 exec, exec, s[10:11]
	buffer_load_dword v138, off, s[0:3], 0 offset:48
	v_cmp_lt_u32_e64 s[4:5], 12, v0
	s_waitcnt vmcnt(0)
	ds_write_b32 v130, v138
	s_waitcnt lgkmcnt(0)
	; wave barrier
	s_waitcnt lgkmcnt(0)
	s_and_saveexec_b64 s[10:11], s[4:5]
	s_cbranch_execz .LBB127_506
; %bb.497:
	s_andn2_b64 vcc, exec, s[8:9]
	s_cbranch_vccnz .LBB127_499
; %bb.498:
	buffer_load_dword v138, v131, s[0:3], 0 offen
	ds_read_b32 v139, v130
	s_waitcnt vmcnt(0) lgkmcnt(0)
	v_mul_f32_e32 v138, v138, v139
	s_cbranch_execz .LBB127_500
	s_branch .LBB127_501
.LBB127_499:
                                        ; implicit-def: $vgpr138
.LBB127_500:
	ds_read_b32 v138, v130
.LBB127_501:
	s_and_saveexec_b64 s[12:13], s[6:7]
	s_cbranch_execz .LBB127_505
; %bb.502:
	v_mov_b32_e32 v139, 0
	v_add_u32_e32 v139, 52, v139
	v_add_u32_e32 v140, -13, v0
	s_movk_i32 s14, 0x134
	s_mov_b64 s[6:7], 0
.LBB127_503:                            ; =>This Inner Loop Header: Depth=1
	buffer_load_dword v141, v139, s[0:3], 0 offen
	v_mov_b32_e32 v142, s14
	ds_read_b32 v142, v142
	v_add_u32_e32 v140, -1, v140
	s_add_i32 s14, s14, 4
	v_cmp_eq_u32_e32 vcc, 0, v140
	v_add_u32_e32 v139, 4, v139
	s_or_b64 s[6:7], vcc, s[6:7]
	s_waitcnt vmcnt(0) lgkmcnt(0)
	v_fmac_f32_e32 v138, v141, v142
	s_andn2_b64 exec, exec, s[6:7]
	s_cbranch_execnz .LBB127_503
; %bb.504:
	s_or_b64 exec, exec, s[6:7]
.LBB127_505:
	s_or_b64 exec, exec, s[12:13]
	v_mov_b32_e32 v139, 0
	ds_read_b32 v139, v139 offset:48
	s_waitcnt lgkmcnt(0)
	v_mul_f32_e32 v138, v138, v139
	buffer_store_dword v138, off, s[0:3], 0 offset:48
.LBB127_506:
	s_or_b64 exec, exec, s[10:11]
	buffer_load_dword v138, off, s[0:3], 0 offset:44
	v_cmp_lt_u32_e64 s[6:7], 11, v0
	s_waitcnt vmcnt(0)
	ds_write_b32 v130, v138
	s_waitcnt lgkmcnt(0)
	; wave barrier
	s_waitcnt lgkmcnt(0)
	s_and_saveexec_b64 s[10:11], s[6:7]
	s_cbranch_execz .LBB127_516
; %bb.507:
	s_andn2_b64 vcc, exec, s[8:9]
	s_cbranch_vccnz .LBB127_509
; %bb.508:
	buffer_load_dword v138, v131, s[0:3], 0 offen
	ds_read_b32 v139, v130
	s_waitcnt vmcnt(0) lgkmcnt(0)
	v_mul_f32_e32 v138, v138, v139
	s_cbranch_execz .LBB127_510
	s_branch .LBB127_511
.LBB127_509:
                                        ; implicit-def: $vgpr138
.LBB127_510:
	ds_read_b32 v138, v130
.LBB127_511:
	s_and_saveexec_b64 s[12:13], s[4:5]
	s_cbranch_execz .LBB127_515
; %bb.512:
	v_add_u32_e32 v139, -12, v0
	s_movk_i32 s14, 0x130
	s_mov_b64 s[4:5], 0
.LBB127_513:                            ; =>This Inner Loop Header: Depth=1
	buffer_load_dword v140, v137, s[0:3], 0 offen
	v_mov_b32_e32 v141, s14
	ds_read_b32 v141, v141
	v_add_u32_e32 v139, -1, v139
	s_add_i32 s14, s14, 4
	v_cmp_eq_u32_e32 vcc, 0, v139
	v_add_u32_e32 v137, 4, v137
	s_or_b64 s[4:5], vcc, s[4:5]
	s_waitcnt vmcnt(0) lgkmcnt(0)
	v_fmac_f32_e32 v138, v140, v141
	s_andn2_b64 exec, exec, s[4:5]
	s_cbranch_execnz .LBB127_513
; %bb.514:
	s_or_b64 exec, exec, s[4:5]
.LBB127_515:
	s_or_b64 exec, exec, s[12:13]
	v_mov_b32_e32 v137, 0
	ds_read_b32 v137, v137 offset:44
	s_waitcnt lgkmcnt(0)
	v_mul_f32_e32 v137, v138, v137
	buffer_store_dword v137, off, s[0:3], 0 offset:44
.LBB127_516:
	s_or_b64 exec, exec, s[10:11]
	buffer_load_dword v137, off, s[0:3], 0 offset:40
	v_cmp_lt_u32_e64 s[4:5], 10, v0
	s_waitcnt vmcnt(0)
	ds_write_b32 v130, v137
	s_waitcnt lgkmcnt(0)
	; wave barrier
	s_waitcnt lgkmcnt(0)
	s_and_saveexec_b64 s[10:11], s[4:5]
	s_cbranch_execz .LBB127_526
; %bb.517:
	s_andn2_b64 vcc, exec, s[8:9]
	s_cbranch_vccnz .LBB127_519
; %bb.518:
	buffer_load_dword v137, v131, s[0:3], 0 offen
	ds_read_b32 v138, v130
	s_waitcnt vmcnt(0) lgkmcnt(0)
	v_mul_f32_e32 v137, v137, v138
	s_cbranch_execz .LBB127_520
	s_branch .LBB127_521
.LBB127_519:
                                        ; implicit-def: $vgpr137
.LBB127_520:
	ds_read_b32 v137, v130
.LBB127_521:
	s_and_saveexec_b64 s[12:13], s[6:7]
	s_cbranch_execz .LBB127_525
; %bb.522:
	v_mov_b32_e32 v138, 0
	v_add_u32_e32 v138, 44, v138
	v_add_u32_e32 v139, -11, v0
	s_movk_i32 s14, 0x12c
	s_mov_b64 s[6:7], 0
.LBB127_523:                            ; =>This Inner Loop Header: Depth=1
	buffer_load_dword v140, v138, s[0:3], 0 offen
	v_mov_b32_e32 v141, s14
	ds_read_b32 v141, v141
	v_add_u32_e32 v139, -1, v139
	s_add_i32 s14, s14, 4
	v_cmp_eq_u32_e32 vcc, 0, v139
	v_add_u32_e32 v138, 4, v138
	s_or_b64 s[6:7], vcc, s[6:7]
	s_waitcnt vmcnt(0) lgkmcnt(0)
	v_fmac_f32_e32 v137, v140, v141
	s_andn2_b64 exec, exec, s[6:7]
	s_cbranch_execnz .LBB127_523
; %bb.524:
	s_or_b64 exec, exec, s[6:7]
.LBB127_525:
	s_or_b64 exec, exec, s[12:13]
	v_mov_b32_e32 v138, 0
	ds_read_b32 v138, v138 offset:40
	s_waitcnt lgkmcnt(0)
	v_mul_f32_e32 v137, v137, v138
	buffer_store_dword v137, off, s[0:3], 0 offset:40
.LBB127_526:
	s_or_b64 exec, exec, s[10:11]
	buffer_load_dword v137, off, s[0:3], 0 offset:36
	v_cmp_lt_u32_e64 s[6:7], 9, v0
	s_waitcnt vmcnt(0)
	ds_write_b32 v130, v137
	s_waitcnt lgkmcnt(0)
	; wave barrier
	s_waitcnt lgkmcnt(0)
	s_and_saveexec_b64 s[10:11], s[6:7]
	s_cbranch_execz .LBB127_536
; %bb.527:
	s_andn2_b64 vcc, exec, s[8:9]
	s_cbranch_vccnz .LBB127_529
; %bb.528:
	buffer_load_dword v137, v131, s[0:3], 0 offen
	ds_read_b32 v138, v130
	s_waitcnt vmcnt(0) lgkmcnt(0)
	v_mul_f32_e32 v137, v137, v138
	s_cbranch_execz .LBB127_530
	s_branch .LBB127_531
.LBB127_529:
                                        ; implicit-def: $vgpr137
.LBB127_530:
	ds_read_b32 v137, v130
.LBB127_531:
	s_and_saveexec_b64 s[12:13], s[4:5]
	s_cbranch_execz .LBB127_535
; %bb.532:
	v_add_u32_e32 v138, -10, v0
	s_movk_i32 s14, 0x128
	s_mov_b64 s[4:5], 0
.LBB127_533:                            ; =>This Inner Loop Header: Depth=1
	buffer_load_dword v139, v136, s[0:3], 0 offen
	v_mov_b32_e32 v140, s14
	ds_read_b32 v140, v140
	v_add_u32_e32 v138, -1, v138
	s_add_i32 s14, s14, 4
	v_cmp_eq_u32_e32 vcc, 0, v138
	v_add_u32_e32 v136, 4, v136
	s_or_b64 s[4:5], vcc, s[4:5]
	s_waitcnt vmcnt(0) lgkmcnt(0)
	v_fmac_f32_e32 v137, v139, v140
	s_andn2_b64 exec, exec, s[4:5]
	s_cbranch_execnz .LBB127_533
; %bb.534:
	s_or_b64 exec, exec, s[4:5]
.LBB127_535:
	s_or_b64 exec, exec, s[12:13]
	v_mov_b32_e32 v136, 0
	ds_read_b32 v136, v136 offset:36
	s_waitcnt lgkmcnt(0)
	v_mul_f32_e32 v136, v137, v136
	buffer_store_dword v136, off, s[0:3], 0 offset:36
.LBB127_536:
	s_or_b64 exec, exec, s[10:11]
	buffer_load_dword v136, off, s[0:3], 0 offset:32
	v_cmp_lt_u32_e64 s[4:5], 8, v0
	s_waitcnt vmcnt(0)
	ds_write_b32 v130, v136
	s_waitcnt lgkmcnt(0)
	; wave barrier
	s_waitcnt lgkmcnt(0)
	s_and_saveexec_b64 s[10:11], s[4:5]
	s_cbranch_execz .LBB127_546
; %bb.537:
	s_andn2_b64 vcc, exec, s[8:9]
	s_cbranch_vccnz .LBB127_539
; %bb.538:
	buffer_load_dword v136, v131, s[0:3], 0 offen
	ds_read_b32 v137, v130
	s_waitcnt vmcnt(0) lgkmcnt(0)
	v_mul_f32_e32 v136, v136, v137
	s_cbranch_execz .LBB127_540
	s_branch .LBB127_541
.LBB127_539:
                                        ; implicit-def: $vgpr136
.LBB127_540:
	ds_read_b32 v136, v130
.LBB127_541:
	s_and_saveexec_b64 s[12:13], s[6:7]
	s_cbranch_execz .LBB127_545
; %bb.542:
	v_mov_b32_e32 v137, 0
	v_add_u32_e32 v137, 36, v137
	v_add_u32_e32 v138, -9, v0
	s_movk_i32 s14, 0x124
	s_mov_b64 s[6:7], 0
.LBB127_543:                            ; =>This Inner Loop Header: Depth=1
	buffer_load_dword v139, v137, s[0:3], 0 offen
	v_mov_b32_e32 v140, s14
	ds_read_b32 v140, v140
	v_add_u32_e32 v138, -1, v138
	s_add_i32 s14, s14, 4
	v_cmp_eq_u32_e32 vcc, 0, v138
	v_add_u32_e32 v137, 4, v137
	s_or_b64 s[6:7], vcc, s[6:7]
	s_waitcnt vmcnt(0) lgkmcnt(0)
	v_fmac_f32_e32 v136, v139, v140
	s_andn2_b64 exec, exec, s[6:7]
	s_cbranch_execnz .LBB127_543
; %bb.544:
	s_or_b64 exec, exec, s[6:7]
.LBB127_545:
	s_or_b64 exec, exec, s[12:13]
	v_mov_b32_e32 v137, 0
	ds_read_b32 v137, v137 offset:32
	s_waitcnt lgkmcnt(0)
	v_mul_f32_e32 v136, v136, v137
	buffer_store_dword v136, off, s[0:3], 0 offset:32
.LBB127_546:
	s_or_b64 exec, exec, s[10:11]
	buffer_load_dword v136, off, s[0:3], 0 offset:28
	v_cmp_lt_u32_e64 s[6:7], 7, v0
	s_waitcnt vmcnt(0)
	ds_write_b32 v130, v136
	s_waitcnt lgkmcnt(0)
	; wave barrier
	s_waitcnt lgkmcnt(0)
	s_and_saveexec_b64 s[10:11], s[6:7]
	s_cbranch_execz .LBB127_556
; %bb.547:
	s_andn2_b64 vcc, exec, s[8:9]
	s_cbranch_vccnz .LBB127_549
; %bb.548:
	buffer_load_dword v136, v131, s[0:3], 0 offen
	ds_read_b32 v137, v130
	s_waitcnt vmcnt(0) lgkmcnt(0)
	v_mul_f32_e32 v136, v136, v137
	s_cbranch_execz .LBB127_550
	s_branch .LBB127_551
.LBB127_549:
                                        ; implicit-def: $vgpr136
.LBB127_550:
	ds_read_b32 v136, v130
.LBB127_551:
	s_and_saveexec_b64 s[12:13], s[4:5]
	s_cbranch_execz .LBB127_555
; %bb.552:
	v_add_u32_e32 v137, -8, v0
	s_movk_i32 s14, 0x120
	s_mov_b64 s[4:5], 0
.LBB127_553:                            ; =>This Inner Loop Header: Depth=1
	buffer_load_dword v138, v135, s[0:3], 0 offen
	v_mov_b32_e32 v139, s14
	ds_read_b32 v139, v139
	v_add_u32_e32 v137, -1, v137
	s_add_i32 s14, s14, 4
	v_cmp_eq_u32_e32 vcc, 0, v137
	v_add_u32_e32 v135, 4, v135
	s_or_b64 s[4:5], vcc, s[4:5]
	s_waitcnt vmcnt(0) lgkmcnt(0)
	v_fmac_f32_e32 v136, v138, v139
	s_andn2_b64 exec, exec, s[4:5]
	s_cbranch_execnz .LBB127_553
; %bb.554:
	s_or_b64 exec, exec, s[4:5]
.LBB127_555:
	s_or_b64 exec, exec, s[12:13]
	v_mov_b32_e32 v135, 0
	ds_read_b32 v135, v135 offset:28
	s_waitcnt lgkmcnt(0)
	v_mul_f32_e32 v135, v136, v135
	buffer_store_dword v135, off, s[0:3], 0 offset:28
.LBB127_556:
	s_or_b64 exec, exec, s[10:11]
	buffer_load_dword v135, off, s[0:3], 0 offset:24
	v_cmp_lt_u32_e64 s[4:5], 6, v0
	s_waitcnt vmcnt(0)
	ds_write_b32 v130, v135
	s_waitcnt lgkmcnt(0)
	; wave barrier
	s_waitcnt lgkmcnt(0)
	s_and_saveexec_b64 s[10:11], s[4:5]
	s_cbranch_execz .LBB127_566
; %bb.557:
	s_andn2_b64 vcc, exec, s[8:9]
	s_cbranch_vccnz .LBB127_559
; %bb.558:
	buffer_load_dword v135, v131, s[0:3], 0 offen
	ds_read_b32 v136, v130
	s_waitcnt vmcnt(0) lgkmcnt(0)
	v_mul_f32_e32 v135, v135, v136
	s_cbranch_execz .LBB127_560
	s_branch .LBB127_561
.LBB127_559:
                                        ; implicit-def: $vgpr135
.LBB127_560:
	ds_read_b32 v135, v130
.LBB127_561:
	s_and_saveexec_b64 s[12:13], s[6:7]
	s_cbranch_execz .LBB127_565
; %bb.562:
	v_mov_b32_e32 v136, 0
	v_add_u32_e32 v136, 28, v136
	v_add_u32_e32 v137, -7, v0
	s_movk_i32 s14, 0x11c
	s_mov_b64 s[6:7], 0
.LBB127_563:                            ; =>This Inner Loop Header: Depth=1
	buffer_load_dword v138, v136, s[0:3], 0 offen
	v_mov_b32_e32 v139, s14
	ds_read_b32 v139, v139
	v_add_u32_e32 v137, -1, v137
	s_add_i32 s14, s14, 4
	v_cmp_eq_u32_e32 vcc, 0, v137
	v_add_u32_e32 v136, 4, v136
	s_or_b64 s[6:7], vcc, s[6:7]
	s_waitcnt vmcnt(0) lgkmcnt(0)
	v_fmac_f32_e32 v135, v138, v139
	s_andn2_b64 exec, exec, s[6:7]
	s_cbranch_execnz .LBB127_563
; %bb.564:
	s_or_b64 exec, exec, s[6:7]
.LBB127_565:
	s_or_b64 exec, exec, s[12:13]
	v_mov_b32_e32 v136, 0
	ds_read_b32 v136, v136 offset:24
	s_waitcnt lgkmcnt(0)
	v_mul_f32_e32 v135, v135, v136
	buffer_store_dword v135, off, s[0:3], 0 offset:24
.LBB127_566:
	s_or_b64 exec, exec, s[10:11]
	buffer_load_dword v135, off, s[0:3], 0 offset:20
	v_cmp_lt_u32_e64 s[6:7], 5, v0
	s_waitcnt vmcnt(0)
	ds_write_b32 v130, v135
	s_waitcnt lgkmcnt(0)
	; wave barrier
	s_waitcnt lgkmcnt(0)
	s_and_saveexec_b64 s[10:11], s[6:7]
	s_cbranch_execz .LBB127_576
; %bb.567:
	s_andn2_b64 vcc, exec, s[8:9]
	s_cbranch_vccnz .LBB127_569
; %bb.568:
	buffer_load_dword v135, v131, s[0:3], 0 offen
	ds_read_b32 v136, v130
	s_waitcnt vmcnt(0) lgkmcnt(0)
	v_mul_f32_e32 v135, v135, v136
	s_cbranch_execz .LBB127_570
	s_branch .LBB127_571
.LBB127_569:
                                        ; implicit-def: $vgpr135
.LBB127_570:
	ds_read_b32 v135, v130
.LBB127_571:
	s_and_saveexec_b64 s[12:13], s[4:5]
	s_cbranch_execz .LBB127_575
; %bb.572:
	v_add_u32_e32 v136, -6, v0
	s_movk_i32 s14, 0x118
	s_mov_b64 s[4:5], 0
.LBB127_573:                            ; =>This Inner Loop Header: Depth=1
	buffer_load_dword v137, v134, s[0:3], 0 offen
	v_mov_b32_e32 v138, s14
	ds_read_b32 v138, v138
	v_add_u32_e32 v136, -1, v136
	s_add_i32 s14, s14, 4
	v_cmp_eq_u32_e32 vcc, 0, v136
	v_add_u32_e32 v134, 4, v134
	s_or_b64 s[4:5], vcc, s[4:5]
	s_waitcnt vmcnt(0) lgkmcnt(0)
	v_fmac_f32_e32 v135, v137, v138
	s_andn2_b64 exec, exec, s[4:5]
	s_cbranch_execnz .LBB127_573
; %bb.574:
	s_or_b64 exec, exec, s[4:5]
.LBB127_575:
	s_or_b64 exec, exec, s[12:13]
	v_mov_b32_e32 v134, 0
	ds_read_b32 v134, v134 offset:20
	s_waitcnt lgkmcnt(0)
	v_mul_f32_e32 v134, v135, v134
	buffer_store_dword v134, off, s[0:3], 0 offset:20
.LBB127_576:
	s_or_b64 exec, exec, s[10:11]
	buffer_load_dword v134, off, s[0:3], 0 offset:16
	v_cmp_lt_u32_e64 s[4:5], 4, v0
	s_waitcnt vmcnt(0)
	ds_write_b32 v130, v134
	s_waitcnt lgkmcnt(0)
	; wave barrier
	s_waitcnt lgkmcnt(0)
	s_and_saveexec_b64 s[10:11], s[4:5]
	s_cbranch_execz .LBB127_586
; %bb.577:
	s_andn2_b64 vcc, exec, s[8:9]
	s_cbranch_vccnz .LBB127_579
; %bb.578:
	buffer_load_dword v134, v131, s[0:3], 0 offen
	ds_read_b32 v135, v130
	s_waitcnt vmcnt(0) lgkmcnt(0)
	v_mul_f32_e32 v134, v134, v135
	s_cbranch_execz .LBB127_580
	s_branch .LBB127_581
.LBB127_579:
                                        ; implicit-def: $vgpr134
.LBB127_580:
	ds_read_b32 v134, v130
.LBB127_581:
	s_and_saveexec_b64 s[12:13], s[6:7]
	s_cbranch_execz .LBB127_585
; %bb.582:
	v_mov_b32_e32 v135, 0
	v_add_u32_e32 v135, 20, v135
	v_add_u32_e32 v136, -5, v0
	s_movk_i32 s14, 0x114
	s_mov_b64 s[6:7], 0
.LBB127_583:                            ; =>This Inner Loop Header: Depth=1
	buffer_load_dword v137, v135, s[0:3], 0 offen
	v_mov_b32_e32 v138, s14
	ds_read_b32 v138, v138
	v_add_u32_e32 v136, -1, v136
	s_add_i32 s14, s14, 4
	v_cmp_eq_u32_e32 vcc, 0, v136
	v_add_u32_e32 v135, 4, v135
	s_or_b64 s[6:7], vcc, s[6:7]
	s_waitcnt vmcnt(0) lgkmcnt(0)
	v_fmac_f32_e32 v134, v137, v138
	s_andn2_b64 exec, exec, s[6:7]
	s_cbranch_execnz .LBB127_583
; %bb.584:
	s_or_b64 exec, exec, s[6:7]
.LBB127_585:
	s_or_b64 exec, exec, s[12:13]
	v_mov_b32_e32 v135, 0
	ds_read_b32 v135, v135 offset:16
	s_waitcnt lgkmcnt(0)
	v_mul_f32_e32 v134, v134, v135
	buffer_store_dword v134, off, s[0:3], 0 offset:16
.LBB127_586:
	s_or_b64 exec, exec, s[10:11]
	buffer_load_dword v134, off, s[0:3], 0 offset:12
	v_cmp_lt_u32_e64 s[6:7], 3, v0
	s_waitcnt vmcnt(0)
	ds_write_b32 v130, v134
	s_waitcnt lgkmcnt(0)
	; wave barrier
	s_waitcnt lgkmcnt(0)
	s_and_saveexec_b64 s[10:11], s[6:7]
	s_cbranch_execz .LBB127_596
; %bb.587:
	s_andn2_b64 vcc, exec, s[8:9]
	s_cbranch_vccnz .LBB127_589
; %bb.588:
	buffer_load_dword v134, v131, s[0:3], 0 offen
	ds_read_b32 v135, v130
	s_waitcnt vmcnt(0) lgkmcnt(0)
	v_mul_f32_e32 v134, v134, v135
	s_cbranch_execz .LBB127_590
	s_branch .LBB127_591
.LBB127_589:
                                        ; implicit-def: $vgpr134
.LBB127_590:
	ds_read_b32 v134, v130
.LBB127_591:
	s_and_saveexec_b64 s[12:13], s[4:5]
	s_cbranch_execz .LBB127_595
; %bb.592:
	v_add_u32_e32 v135, -4, v0
	s_movk_i32 s14, 0x110
	s_mov_b64 s[4:5], 0
.LBB127_593:                            ; =>This Inner Loop Header: Depth=1
	buffer_load_dword v136, v133, s[0:3], 0 offen
	v_mov_b32_e32 v137, s14
	ds_read_b32 v137, v137
	v_add_u32_e32 v135, -1, v135
	s_add_i32 s14, s14, 4
	v_cmp_eq_u32_e32 vcc, 0, v135
	v_add_u32_e32 v133, 4, v133
	s_or_b64 s[4:5], vcc, s[4:5]
	s_waitcnt vmcnt(0) lgkmcnt(0)
	v_fmac_f32_e32 v134, v136, v137
	s_andn2_b64 exec, exec, s[4:5]
	s_cbranch_execnz .LBB127_593
; %bb.594:
	s_or_b64 exec, exec, s[4:5]
.LBB127_595:
	s_or_b64 exec, exec, s[12:13]
	v_mov_b32_e32 v133, 0
	ds_read_b32 v133, v133 offset:12
	s_waitcnt lgkmcnt(0)
	v_mul_f32_e32 v133, v134, v133
	buffer_store_dword v133, off, s[0:3], 0 offset:12
.LBB127_596:
	s_or_b64 exec, exec, s[10:11]
	buffer_load_dword v133, off, s[0:3], 0 offset:8
	v_cmp_lt_u32_e64 s[4:5], 2, v0
	s_waitcnt vmcnt(0)
	ds_write_b32 v130, v133
	s_waitcnt lgkmcnt(0)
	; wave barrier
	s_waitcnt lgkmcnt(0)
	s_and_saveexec_b64 s[10:11], s[4:5]
	s_cbranch_execz .LBB127_606
; %bb.597:
	s_andn2_b64 vcc, exec, s[8:9]
	s_cbranch_vccnz .LBB127_599
; %bb.598:
	buffer_load_dword v133, v131, s[0:3], 0 offen
	ds_read_b32 v134, v130
	s_waitcnt vmcnt(0) lgkmcnt(0)
	v_mul_f32_e32 v133, v133, v134
	s_cbranch_execz .LBB127_600
	s_branch .LBB127_601
.LBB127_599:
                                        ; implicit-def: $vgpr133
.LBB127_600:
	ds_read_b32 v133, v130
.LBB127_601:
	s_and_saveexec_b64 s[12:13], s[6:7]
	s_cbranch_execz .LBB127_605
; %bb.602:
	v_mov_b32_e32 v134, 0
	v_or_b32_e32 v134, 12, v134
	v_add_u32_e32 v135, -3, v0
	s_movk_i32 s14, 0x10c
	s_mov_b64 s[6:7], 0
.LBB127_603:                            ; =>This Inner Loop Header: Depth=1
	buffer_load_dword v136, v134, s[0:3], 0 offen
	v_mov_b32_e32 v137, s14
	ds_read_b32 v137, v137
	v_add_u32_e32 v135, -1, v135
	s_add_i32 s14, s14, 4
	v_cmp_eq_u32_e32 vcc, 0, v135
	v_add_u32_e32 v134, 4, v134
	s_or_b64 s[6:7], vcc, s[6:7]
	s_waitcnt vmcnt(0) lgkmcnt(0)
	v_fmac_f32_e32 v133, v136, v137
	s_andn2_b64 exec, exec, s[6:7]
	s_cbranch_execnz .LBB127_603
; %bb.604:
	s_or_b64 exec, exec, s[6:7]
.LBB127_605:
	s_or_b64 exec, exec, s[12:13]
	v_mov_b32_e32 v134, 0
	ds_read_b32 v134, v134 offset:8
	s_waitcnt lgkmcnt(0)
	v_mul_f32_e32 v133, v133, v134
	buffer_store_dword v133, off, s[0:3], 0 offset:8
.LBB127_606:
	s_or_b64 exec, exec, s[10:11]
	buffer_load_dword v133, off, s[0:3], 0 offset:4
	v_cmp_lt_u32_e64 s[6:7], 1, v0
	s_waitcnt vmcnt(0)
	ds_write_b32 v130, v133
	s_waitcnt lgkmcnt(0)
	; wave barrier
	s_waitcnt lgkmcnt(0)
	s_and_saveexec_b64 s[10:11], s[6:7]
	s_cbranch_execz .LBB127_616
; %bb.607:
	s_andn2_b64 vcc, exec, s[8:9]
	s_cbranch_vccnz .LBB127_609
; %bb.608:
	buffer_load_dword v133, v131, s[0:3], 0 offen
	ds_read_b32 v134, v130
	s_waitcnt vmcnt(0) lgkmcnt(0)
	v_mul_f32_e32 v133, v133, v134
	s_cbranch_execz .LBB127_610
	s_branch .LBB127_611
.LBB127_609:
                                        ; implicit-def: $vgpr133
.LBB127_610:
	ds_read_b32 v133, v130
.LBB127_611:
	s_and_saveexec_b64 s[12:13], s[4:5]
	s_cbranch_execz .LBB127_615
; %bb.612:
	v_add_u32_e32 v134, -2, v0
	s_movk_i32 s14, 0x108
	s_mov_b64 s[4:5], 0
.LBB127_613:                            ; =>This Inner Loop Header: Depth=1
	buffer_load_dword v135, v132, s[0:3], 0 offen
	v_mov_b32_e32 v136, s14
	ds_read_b32 v136, v136
	v_add_u32_e32 v134, -1, v134
	s_add_i32 s14, s14, 4
	v_cmp_eq_u32_e32 vcc, 0, v134
	v_add_u32_e32 v132, 4, v132
	s_or_b64 s[4:5], vcc, s[4:5]
	s_waitcnt vmcnt(0) lgkmcnt(0)
	v_fmac_f32_e32 v133, v135, v136
	s_andn2_b64 exec, exec, s[4:5]
	s_cbranch_execnz .LBB127_613
; %bb.614:
	s_or_b64 exec, exec, s[4:5]
.LBB127_615:
	s_or_b64 exec, exec, s[12:13]
	v_mov_b32_e32 v132, 0
	ds_read_b32 v132, v132 offset:4
	s_waitcnt lgkmcnt(0)
	v_mul_f32_e32 v132, v133, v132
	buffer_store_dword v132, off, s[0:3], 0 offset:4
.LBB127_616:
	s_or_b64 exec, exec, s[10:11]
	buffer_load_dword v132, off, s[0:3], 0
	v_cmp_ne_u32_e32 vcc, 0, v0
	s_waitcnt vmcnt(0)
	ds_write_b32 v130, v132
	s_waitcnt lgkmcnt(0)
	; wave barrier
	s_waitcnt lgkmcnt(0)
	s_and_saveexec_b64 s[4:5], vcc
	s_cbranch_execz .LBB127_626
; %bb.617:
	s_andn2_b64 vcc, exec, s[8:9]
	s_cbranch_vccnz .LBB127_619
; %bb.618:
	buffer_load_dword v132, v131, s[0:3], 0 offen
	ds_read_b32 v133, v130
	s_waitcnt vmcnt(0) lgkmcnt(0)
	v_mul_f32_e32 v132, v132, v133
	s_cbranch_execz .LBB127_620
	s_branch .LBB127_621
.LBB127_619:
                                        ; implicit-def: $vgpr132
.LBB127_620:
	ds_read_b32 v132, v130
.LBB127_621:
	s_and_saveexec_b64 s[10:11], s[6:7]
	s_cbranch_execz .LBB127_625
; %bb.622:
	v_mov_b32_e32 v133, 0
	v_or_b32_e32 v133, 4, v133
	v_add_u32_e32 v134, -1, v0
	s_movk_i32 s12, 0x104
	s_mov_b64 s[6:7], 0
.LBB127_623:                            ; =>This Inner Loop Header: Depth=1
	buffer_load_dword v135, v133, s[0:3], 0 offen
	v_mov_b32_e32 v136, s12
	ds_read_b32 v136, v136
	v_add_u32_e32 v134, -1, v134
	s_add_i32 s12, s12, 4
	v_cmp_eq_u32_e32 vcc, 0, v134
	v_add_u32_e32 v133, 4, v133
	s_or_b64 s[6:7], vcc, s[6:7]
	s_waitcnt vmcnt(0) lgkmcnt(0)
	v_fmac_f32_e32 v132, v135, v136
	s_andn2_b64 exec, exec, s[6:7]
	s_cbranch_execnz .LBB127_623
; %bb.624:
	s_or_b64 exec, exec, s[6:7]
.LBB127_625:
	s_or_b64 exec, exec, s[10:11]
	v_mov_b32_e32 v133, 0
	ds_read_b32 v133, v133
	s_waitcnt lgkmcnt(0)
	v_mul_f32_e32 v132, v132, v133
	buffer_store_dword v132, off, s[0:3], 0
.LBB127_626:
	s_or_b64 exec, exec, s[4:5]
	s_mov_b64 s[4:5], 0
.LBB127_627:
	s_and_b64 vcc, exec, s[4:5]
	s_cbranch_vccz .LBB127_1251
; %bb.628:
	buffer_load_dword v132, off, s[0:3], 0 offset:4
	v_cmp_eq_u32_e64 s[6:7], 0, v0
	s_waitcnt vmcnt(0)
	ds_write_b32 v130, v132
	s_waitcnt lgkmcnt(0)
	; wave barrier
	s_waitcnt lgkmcnt(0)
	s_and_saveexec_b64 s[4:5], s[6:7]
	s_cbranch_execz .LBB127_634
; %bb.629:
	s_and_b64 vcc, exec, s[8:9]
	s_cbranch_vccz .LBB127_631
; %bb.630:
	buffer_load_dword v132, v131, s[0:3], 0 offen
	ds_read_b32 v133, v130
	s_waitcnt vmcnt(0) lgkmcnt(0)
	v_mul_f32_e32 v132, v132, v133
	s_cbranch_execz .LBB127_632
	s_branch .LBB127_633
.LBB127_631:
                                        ; implicit-def: $vgpr132
.LBB127_632:
	ds_read_b32 v132, v130
.LBB127_633:
	v_mov_b32_e32 v133, 0
	ds_read_b32 v133, v133 offset:4
	s_waitcnt lgkmcnt(0)
	v_mul_f32_e32 v132, v132, v133
	buffer_store_dword v132, off, s[0:3], 0 offset:4
.LBB127_634:
	s_or_b64 exec, exec, s[4:5]
	buffer_load_dword v132, off, s[0:3], 0 offset:8
	v_cndmask_b32_e64 v133, 0, 1, s[8:9]
	v_cmp_gt_u32_e32 vcc, 2, v0
	v_cmp_ne_u32_e64 s[4:5], 1, v133
	s_waitcnt vmcnt(0)
	ds_write_b32 v130, v132
	s_waitcnt lgkmcnt(0)
	; wave barrier
	s_waitcnt lgkmcnt(0)
	s_and_saveexec_b64 s[8:9], vcc
	s_cbranch_execz .LBB127_642
; %bb.635:
	s_and_b64 vcc, exec, s[4:5]
	s_cbranch_vccnz .LBB127_637
; %bb.636:
	buffer_load_dword v132, v131, s[0:3], 0 offen
	ds_read_b32 v133, v130
	s_waitcnt vmcnt(0) lgkmcnt(0)
	v_mul_f32_e32 v132, v132, v133
	s_cbranch_execz .LBB127_638
	s_branch .LBB127_639
.LBB127_637:
                                        ; implicit-def: $vgpr132
.LBB127_638:
	ds_read_b32 v132, v130
.LBB127_639:
	s_and_saveexec_b64 s[10:11], s[6:7]
	s_cbranch_execz .LBB127_641
; %bb.640:
	buffer_load_dword v133, v131, s[0:3], 0 offen offset:4
	ds_read_b32 v134, v130 offset:4
	s_waitcnt vmcnt(0) lgkmcnt(0)
	v_fmac_f32_e32 v132, v133, v134
.LBB127_641:
	s_or_b64 exec, exec, s[10:11]
	v_mov_b32_e32 v133, 0
	ds_read_b32 v133, v133 offset:8
	s_waitcnt lgkmcnt(0)
	v_mul_f32_e32 v132, v132, v133
	buffer_store_dword v132, off, s[0:3], 0 offset:8
.LBB127_642:
	s_or_b64 exec, exec, s[8:9]
	buffer_load_dword v132, off, s[0:3], 0 offset:12
	v_cmp_gt_u32_e32 vcc, 3, v0
	s_waitcnt vmcnt(0)
	ds_write_b32 v130, v132
	s_waitcnt lgkmcnt(0)
	; wave barrier
	s_waitcnt lgkmcnt(0)
	s_and_saveexec_b64 s[8:9], vcc
	s_cbranch_execz .LBB127_650
; %bb.643:
	s_and_b64 vcc, exec, s[4:5]
	s_cbranch_vccnz .LBB127_645
; %bb.644:
	buffer_load_dword v132, v131, s[0:3], 0 offen
	ds_read_b32 v133, v130
	s_waitcnt vmcnt(0) lgkmcnt(0)
	v_mul_f32_e32 v132, v132, v133
	s_cbranch_execz .LBB127_646
	s_branch .LBB127_647
.LBB127_645:
                                        ; implicit-def: $vgpr132
.LBB127_646:
	ds_read_b32 v132, v130
.LBB127_647:
	v_cmp_ne_u32_e32 vcc, 2, v0
	s_and_saveexec_b64 s[10:11], vcc
	s_cbranch_execz .LBB127_649
; %bb.648:
	buffer_load_dword v133, v131, s[0:3], 0 offen offset:4
	buffer_load_dword v134, off, s[0:3], 0 offset:8
	v_mov_b32_e32 v135, 0
	ds_read_b32 v136, v130 offset:4
	ds_read_b32 v135, v135 offset:264
	s_waitcnt vmcnt(1) lgkmcnt(1)
	v_fmac_f32_e32 v132, v133, v136
	s_waitcnt vmcnt(0) lgkmcnt(0)
	v_fma_f32 v133, v134, v135, v132
	v_cndmask_b32_e64 v132, v132, v133, s[6:7]
.LBB127_649:
	s_or_b64 exec, exec, s[10:11]
	v_mov_b32_e32 v133, 0
	ds_read_b32 v133, v133 offset:12
	s_waitcnt lgkmcnt(0)
	v_mul_f32_e32 v132, v132, v133
	buffer_store_dword v132, off, s[0:3], 0 offset:12
.LBB127_650:
	s_or_b64 exec, exec, s[8:9]
	buffer_load_dword v132, off, s[0:3], 0 offset:16
	v_cmp_gt_u32_e32 vcc, 4, v0
	s_waitcnt vmcnt(0)
	ds_write_b32 v130, v132
	s_waitcnt lgkmcnt(0)
	; wave barrier
	s_waitcnt lgkmcnt(0)
	s_and_saveexec_b64 s[6:7], vcc
	s_cbranch_execz .LBB127_660
; %bb.651:
	s_and_b64 vcc, exec, s[4:5]
	s_cbranch_vccnz .LBB127_653
; %bb.652:
	buffer_load_dword v132, v131, s[0:3], 0 offen
	ds_read_b32 v133, v130
	s_waitcnt vmcnt(0) lgkmcnt(0)
	v_mul_f32_e32 v132, v132, v133
	s_cbranch_execz .LBB127_654
	s_branch .LBB127_655
.LBB127_653:
                                        ; implicit-def: $vgpr132
.LBB127_654:
	ds_read_b32 v132, v130
.LBB127_655:
	v_cmp_ne_u32_e32 vcc, 3, v0
	s_and_saveexec_b64 s[8:9], vcc
	s_cbranch_execz .LBB127_659
; %bb.656:
	v_mov_b32_e32 v134, 0
	v_add_u32_e32 v133, 0x104, v1
	v_add3_u32 v134, v1, v134, 4
	s_mov_b64 s[10:11], 0
	v_mov_b32_e32 v135, v0
.LBB127_657:                            ; =>This Inner Loop Header: Depth=1
	buffer_load_dword v136, v134, s[0:3], 0 offen
	ds_read_b32 v137, v133
	v_add_u32_e32 v135, 1, v135
	v_cmp_lt_u32_e32 vcc, 2, v135
	v_add_u32_e32 v133, 4, v133
	v_add_u32_e32 v134, 4, v134
	s_or_b64 s[10:11], vcc, s[10:11]
	s_waitcnt vmcnt(0) lgkmcnt(0)
	v_fmac_f32_e32 v132, v136, v137
	s_andn2_b64 exec, exec, s[10:11]
	s_cbranch_execnz .LBB127_657
; %bb.658:
	s_or_b64 exec, exec, s[10:11]
.LBB127_659:
	s_or_b64 exec, exec, s[8:9]
	v_mov_b32_e32 v133, 0
	ds_read_b32 v133, v133 offset:16
	s_waitcnt lgkmcnt(0)
	v_mul_f32_e32 v132, v132, v133
	buffer_store_dword v132, off, s[0:3], 0 offset:16
.LBB127_660:
	s_or_b64 exec, exec, s[6:7]
	buffer_load_dword v132, off, s[0:3], 0 offset:20
	v_cmp_gt_u32_e32 vcc, 5, v0
	s_waitcnt vmcnt(0)
	ds_write_b32 v130, v132
	s_waitcnt lgkmcnt(0)
	; wave barrier
	s_waitcnt lgkmcnt(0)
	s_and_saveexec_b64 s[6:7], vcc
	s_cbranch_execz .LBB127_670
; %bb.661:
	s_and_b64 vcc, exec, s[4:5]
	s_cbranch_vccnz .LBB127_663
; %bb.662:
	buffer_load_dword v132, v131, s[0:3], 0 offen
	ds_read_b32 v133, v130
	s_waitcnt vmcnt(0) lgkmcnt(0)
	v_mul_f32_e32 v132, v132, v133
	s_cbranch_execz .LBB127_664
	s_branch .LBB127_665
.LBB127_663:
                                        ; implicit-def: $vgpr132
.LBB127_664:
	ds_read_b32 v132, v130
.LBB127_665:
	v_cmp_ne_u32_e32 vcc, 4, v0
	s_and_saveexec_b64 s[8:9], vcc
	s_cbranch_execz .LBB127_669
; %bb.666:
	v_mov_b32_e32 v134, 0
	v_add_u32_e32 v133, 0x104, v1
	v_add3_u32 v134, v1, v134, 4
	s_mov_b64 s[10:11], 0
	v_mov_b32_e32 v135, v0
.LBB127_667:                            ; =>This Inner Loop Header: Depth=1
	buffer_load_dword v136, v134, s[0:3], 0 offen
	ds_read_b32 v137, v133
	v_add_u32_e32 v135, 1, v135
	v_cmp_lt_u32_e32 vcc, 3, v135
	v_add_u32_e32 v133, 4, v133
	v_add_u32_e32 v134, 4, v134
	s_or_b64 s[10:11], vcc, s[10:11]
	s_waitcnt vmcnt(0) lgkmcnt(0)
	v_fmac_f32_e32 v132, v136, v137
	s_andn2_b64 exec, exec, s[10:11]
	s_cbranch_execnz .LBB127_667
; %bb.668:
	s_or_b64 exec, exec, s[10:11]
.LBB127_669:
	s_or_b64 exec, exec, s[8:9]
	v_mov_b32_e32 v133, 0
	ds_read_b32 v133, v133 offset:20
	s_waitcnt lgkmcnt(0)
	v_mul_f32_e32 v132, v132, v133
	buffer_store_dword v132, off, s[0:3], 0 offset:20
.LBB127_670:
	;; [unrolled: 56-line block ×35, first 2 shown]
	s_or_b64 exec, exec, s[6:7]
	buffer_load_dword v132, off, s[0:3], 0 offset:156
	v_cmp_gt_u32_e32 vcc, 39, v0
	s_waitcnt vmcnt(0)
	ds_write_b32 v130, v132
	s_waitcnt lgkmcnt(0)
	; wave barrier
	s_waitcnt lgkmcnt(0)
	s_and_saveexec_b64 s[6:7], vcc
	s_cbranch_execz .LBB127_1010
; %bb.1001:
	s_and_b64 vcc, exec, s[4:5]
	s_cbranch_vccnz .LBB127_1003
; %bb.1002:
	buffer_load_dword v132, v131, s[0:3], 0 offen
	ds_read_b32 v133, v130
	s_waitcnt vmcnt(0) lgkmcnt(0)
	v_mul_f32_e32 v132, v132, v133
	s_cbranch_execz .LBB127_1004
	s_branch .LBB127_1005
.LBB127_1003:
                                        ; implicit-def: $vgpr132
.LBB127_1004:
	ds_read_b32 v132, v130
.LBB127_1005:
	v_cmp_ne_u32_e32 vcc, 38, v0
	s_and_saveexec_b64 s[8:9], vcc
	s_cbranch_execz .LBB127_1009
; %bb.1006:
	v_mov_b32_e32 v134, 0
	v_add_u32_e32 v133, 0x104, v1
	v_add3_u32 v134, v1, v134, 4
	s_mov_b64 s[10:11], 0
	v_mov_b32_e32 v135, v0
.LBB127_1007:                           ; =>This Inner Loop Header: Depth=1
	buffer_load_dword v136, v134, s[0:3], 0 offen
	ds_read_b32 v137, v133
	v_add_u32_e32 v135, 1, v135
	v_cmp_lt_u32_e32 vcc, 37, v135
	v_add_u32_e32 v133, 4, v133
	v_add_u32_e32 v134, 4, v134
	s_or_b64 s[10:11], vcc, s[10:11]
	s_waitcnt vmcnt(0) lgkmcnt(0)
	v_fmac_f32_e32 v132, v136, v137
	s_andn2_b64 exec, exec, s[10:11]
	s_cbranch_execnz .LBB127_1007
; %bb.1008:
	s_or_b64 exec, exec, s[10:11]
.LBB127_1009:
	s_or_b64 exec, exec, s[8:9]
	v_mov_b32_e32 v133, 0
	ds_read_b32 v133, v133 offset:156
	s_waitcnt lgkmcnt(0)
	v_mul_f32_e32 v132, v132, v133
	buffer_store_dword v132, off, s[0:3], 0 offset:156
.LBB127_1010:
	s_or_b64 exec, exec, s[6:7]
	buffer_load_dword v132, off, s[0:3], 0 offset:160
	v_cmp_gt_u32_e32 vcc, 40, v0
	s_waitcnt vmcnt(0)
	ds_write_b32 v130, v132
	s_waitcnt lgkmcnt(0)
	; wave barrier
	s_waitcnt lgkmcnt(0)
	s_and_saveexec_b64 s[6:7], vcc
	s_cbranch_execz .LBB127_1020
; %bb.1011:
	s_and_b64 vcc, exec, s[4:5]
	s_cbranch_vccnz .LBB127_1013
; %bb.1012:
	buffer_load_dword v132, v131, s[0:3], 0 offen
	ds_read_b32 v133, v130
	s_waitcnt vmcnt(0) lgkmcnt(0)
	v_mul_f32_e32 v132, v132, v133
	s_cbranch_execz .LBB127_1014
	s_branch .LBB127_1015
.LBB127_1013:
                                        ; implicit-def: $vgpr132
.LBB127_1014:
	ds_read_b32 v132, v130
.LBB127_1015:
	v_cmp_ne_u32_e32 vcc, 39, v0
	s_and_saveexec_b64 s[8:9], vcc
	s_cbranch_execz .LBB127_1019
; %bb.1016:
	v_mov_b32_e32 v134, 0
	v_add_u32_e32 v133, 0x104, v1
	v_add3_u32 v134, v1, v134, 4
	s_mov_b64 s[10:11], 0
	v_mov_b32_e32 v135, v0
.LBB127_1017:                           ; =>This Inner Loop Header: Depth=1
	buffer_load_dword v136, v134, s[0:3], 0 offen
	ds_read_b32 v137, v133
	v_add_u32_e32 v135, 1, v135
	v_cmp_lt_u32_e32 vcc, 38, v135
	v_add_u32_e32 v133, 4, v133
	v_add_u32_e32 v134, 4, v134
	s_or_b64 s[10:11], vcc, s[10:11]
	s_waitcnt vmcnt(0) lgkmcnt(0)
	v_fmac_f32_e32 v132, v136, v137
	s_andn2_b64 exec, exec, s[10:11]
	s_cbranch_execnz .LBB127_1017
; %bb.1018:
	s_or_b64 exec, exec, s[10:11]
.LBB127_1019:
	s_or_b64 exec, exec, s[8:9]
	v_mov_b32_e32 v133, 0
	ds_read_b32 v133, v133 offset:160
	s_waitcnt lgkmcnt(0)
	v_mul_f32_e32 v132, v132, v133
	buffer_store_dword v132, off, s[0:3], 0 offset:160
.LBB127_1020:
	s_or_b64 exec, exec, s[6:7]
	buffer_load_dword v132, off, s[0:3], 0 offset:164
	v_cmp_gt_u32_e32 vcc, 41, v0
	s_waitcnt vmcnt(0)
	ds_write_b32 v130, v132
	s_waitcnt lgkmcnt(0)
	; wave barrier
	s_waitcnt lgkmcnt(0)
	s_and_saveexec_b64 s[6:7], vcc
	s_cbranch_execz .LBB127_1030
; %bb.1021:
	s_and_b64 vcc, exec, s[4:5]
	s_cbranch_vccnz .LBB127_1023
; %bb.1022:
	buffer_load_dword v132, v131, s[0:3], 0 offen
	ds_read_b32 v133, v130
	s_waitcnt vmcnt(0) lgkmcnt(0)
	v_mul_f32_e32 v132, v132, v133
	s_cbranch_execz .LBB127_1024
	s_branch .LBB127_1025
.LBB127_1023:
                                        ; implicit-def: $vgpr132
.LBB127_1024:
	ds_read_b32 v132, v130
.LBB127_1025:
	v_cmp_ne_u32_e32 vcc, 40, v0
	s_and_saveexec_b64 s[8:9], vcc
	s_cbranch_execz .LBB127_1029
; %bb.1026:
	v_mov_b32_e32 v134, 0
	v_add_u32_e32 v133, 0x104, v1
	v_add3_u32 v134, v1, v134, 4
	s_mov_b64 s[10:11], 0
	v_mov_b32_e32 v135, v0
.LBB127_1027:                           ; =>This Inner Loop Header: Depth=1
	buffer_load_dword v136, v134, s[0:3], 0 offen
	ds_read_b32 v137, v133
	v_add_u32_e32 v135, 1, v135
	v_cmp_lt_u32_e32 vcc, 39, v135
	v_add_u32_e32 v133, 4, v133
	v_add_u32_e32 v134, 4, v134
	s_or_b64 s[10:11], vcc, s[10:11]
	s_waitcnt vmcnt(0) lgkmcnt(0)
	v_fmac_f32_e32 v132, v136, v137
	s_andn2_b64 exec, exec, s[10:11]
	s_cbranch_execnz .LBB127_1027
; %bb.1028:
	s_or_b64 exec, exec, s[10:11]
.LBB127_1029:
	s_or_b64 exec, exec, s[8:9]
	v_mov_b32_e32 v133, 0
	ds_read_b32 v133, v133 offset:164
	s_waitcnt lgkmcnt(0)
	v_mul_f32_e32 v132, v132, v133
	buffer_store_dword v132, off, s[0:3], 0 offset:164
.LBB127_1030:
	s_or_b64 exec, exec, s[6:7]
	buffer_load_dword v132, off, s[0:3], 0 offset:168
	v_cmp_gt_u32_e32 vcc, 42, v0
	s_waitcnt vmcnt(0)
	ds_write_b32 v130, v132
	s_waitcnt lgkmcnt(0)
	; wave barrier
	s_waitcnt lgkmcnt(0)
	s_and_saveexec_b64 s[6:7], vcc
	s_cbranch_execz .LBB127_1040
; %bb.1031:
	s_and_b64 vcc, exec, s[4:5]
	s_cbranch_vccnz .LBB127_1033
; %bb.1032:
	buffer_load_dword v132, v131, s[0:3], 0 offen
	ds_read_b32 v133, v130
	s_waitcnt vmcnt(0) lgkmcnt(0)
	v_mul_f32_e32 v132, v132, v133
	s_cbranch_execz .LBB127_1034
	s_branch .LBB127_1035
.LBB127_1033:
                                        ; implicit-def: $vgpr132
.LBB127_1034:
	ds_read_b32 v132, v130
.LBB127_1035:
	v_cmp_ne_u32_e32 vcc, 41, v0
	s_and_saveexec_b64 s[8:9], vcc
	s_cbranch_execz .LBB127_1039
; %bb.1036:
	v_mov_b32_e32 v134, 0
	v_add_u32_e32 v133, 0x104, v1
	v_add3_u32 v134, v1, v134, 4
	s_mov_b64 s[10:11], 0
	v_mov_b32_e32 v135, v0
.LBB127_1037:                           ; =>This Inner Loop Header: Depth=1
	buffer_load_dword v136, v134, s[0:3], 0 offen
	ds_read_b32 v137, v133
	v_add_u32_e32 v135, 1, v135
	v_cmp_lt_u32_e32 vcc, 40, v135
	v_add_u32_e32 v133, 4, v133
	v_add_u32_e32 v134, 4, v134
	s_or_b64 s[10:11], vcc, s[10:11]
	s_waitcnt vmcnt(0) lgkmcnt(0)
	v_fmac_f32_e32 v132, v136, v137
	s_andn2_b64 exec, exec, s[10:11]
	s_cbranch_execnz .LBB127_1037
; %bb.1038:
	s_or_b64 exec, exec, s[10:11]
.LBB127_1039:
	s_or_b64 exec, exec, s[8:9]
	v_mov_b32_e32 v133, 0
	ds_read_b32 v133, v133 offset:168
	s_waitcnt lgkmcnt(0)
	v_mul_f32_e32 v132, v132, v133
	buffer_store_dword v132, off, s[0:3], 0 offset:168
.LBB127_1040:
	s_or_b64 exec, exec, s[6:7]
	buffer_load_dword v132, off, s[0:3], 0 offset:172
	v_cmp_gt_u32_e32 vcc, 43, v0
	s_waitcnt vmcnt(0)
	ds_write_b32 v130, v132
	s_waitcnt lgkmcnt(0)
	; wave barrier
	s_waitcnt lgkmcnt(0)
	s_and_saveexec_b64 s[6:7], vcc
	s_cbranch_execz .LBB127_1050
; %bb.1041:
	s_and_b64 vcc, exec, s[4:5]
	s_cbranch_vccnz .LBB127_1043
; %bb.1042:
	buffer_load_dword v132, v131, s[0:3], 0 offen
	ds_read_b32 v133, v130
	s_waitcnt vmcnt(0) lgkmcnt(0)
	v_mul_f32_e32 v132, v132, v133
	s_cbranch_execz .LBB127_1044
	s_branch .LBB127_1045
.LBB127_1043:
                                        ; implicit-def: $vgpr132
.LBB127_1044:
	ds_read_b32 v132, v130
.LBB127_1045:
	v_cmp_ne_u32_e32 vcc, 42, v0
	s_and_saveexec_b64 s[8:9], vcc
	s_cbranch_execz .LBB127_1049
; %bb.1046:
	v_mov_b32_e32 v134, 0
	v_add_u32_e32 v133, 0x104, v1
	v_add3_u32 v134, v1, v134, 4
	s_mov_b64 s[10:11], 0
	v_mov_b32_e32 v135, v0
.LBB127_1047:                           ; =>This Inner Loop Header: Depth=1
	buffer_load_dword v136, v134, s[0:3], 0 offen
	ds_read_b32 v137, v133
	v_add_u32_e32 v135, 1, v135
	v_cmp_lt_u32_e32 vcc, 41, v135
	v_add_u32_e32 v133, 4, v133
	v_add_u32_e32 v134, 4, v134
	s_or_b64 s[10:11], vcc, s[10:11]
	s_waitcnt vmcnt(0) lgkmcnt(0)
	v_fmac_f32_e32 v132, v136, v137
	s_andn2_b64 exec, exec, s[10:11]
	s_cbranch_execnz .LBB127_1047
; %bb.1048:
	s_or_b64 exec, exec, s[10:11]
.LBB127_1049:
	s_or_b64 exec, exec, s[8:9]
	v_mov_b32_e32 v133, 0
	ds_read_b32 v133, v133 offset:172
	s_waitcnt lgkmcnt(0)
	v_mul_f32_e32 v132, v132, v133
	buffer_store_dword v132, off, s[0:3], 0 offset:172
.LBB127_1050:
	s_or_b64 exec, exec, s[6:7]
	buffer_load_dword v132, off, s[0:3], 0 offset:176
	v_cmp_gt_u32_e32 vcc, 44, v0
	s_waitcnt vmcnt(0)
	ds_write_b32 v130, v132
	s_waitcnt lgkmcnt(0)
	; wave barrier
	s_waitcnt lgkmcnt(0)
	s_and_saveexec_b64 s[6:7], vcc
	s_cbranch_execz .LBB127_1060
; %bb.1051:
	s_and_b64 vcc, exec, s[4:5]
	s_cbranch_vccnz .LBB127_1053
; %bb.1052:
	buffer_load_dword v132, v131, s[0:3], 0 offen
	ds_read_b32 v133, v130
	s_waitcnt vmcnt(0) lgkmcnt(0)
	v_mul_f32_e32 v132, v132, v133
	s_cbranch_execz .LBB127_1054
	s_branch .LBB127_1055
.LBB127_1053:
                                        ; implicit-def: $vgpr132
.LBB127_1054:
	ds_read_b32 v132, v130
.LBB127_1055:
	v_cmp_ne_u32_e32 vcc, 43, v0
	s_and_saveexec_b64 s[8:9], vcc
	s_cbranch_execz .LBB127_1059
; %bb.1056:
	v_mov_b32_e32 v134, 0
	v_add_u32_e32 v133, 0x104, v1
	v_add3_u32 v134, v1, v134, 4
	s_mov_b64 s[10:11], 0
	v_mov_b32_e32 v135, v0
.LBB127_1057:                           ; =>This Inner Loop Header: Depth=1
	buffer_load_dword v136, v134, s[0:3], 0 offen
	ds_read_b32 v137, v133
	v_add_u32_e32 v135, 1, v135
	v_cmp_lt_u32_e32 vcc, 42, v135
	v_add_u32_e32 v133, 4, v133
	v_add_u32_e32 v134, 4, v134
	s_or_b64 s[10:11], vcc, s[10:11]
	s_waitcnt vmcnt(0) lgkmcnt(0)
	v_fmac_f32_e32 v132, v136, v137
	s_andn2_b64 exec, exec, s[10:11]
	s_cbranch_execnz .LBB127_1057
; %bb.1058:
	s_or_b64 exec, exec, s[10:11]
.LBB127_1059:
	s_or_b64 exec, exec, s[8:9]
	v_mov_b32_e32 v133, 0
	ds_read_b32 v133, v133 offset:176
	s_waitcnt lgkmcnt(0)
	v_mul_f32_e32 v132, v132, v133
	buffer_store_dword v132, off, s[0:3], 0 offset:176
.LBB127_1060:
	s_or_b64 exec, exec, s[6:7]
	buffer_load_dword v132, off, s[0:3], 0 offset:180
	v_cmp_gt_u32_e32 vcc, 45, v0
	s_waitcnt vmcnt(0)
	ds_write_b32 v130, v132
	s_waitcnt lgkmcnt(0)
	; wave barrier
	s_waitcnt lgkmcnt(0)
	s_and_saveexec_b64 s[6:7], vcc
	s_cbranch_execz .LBB127_1070
; %bb.1061:
	s_and_b64 vcc, exec, s[4:5]
	s_cbranch_vccnz .LBB127_1063
; %bb.1062:
	buffer_load_dword v132, v131, s[0:3], 0 offen
	ds_read_b32 v133, v130
	s_waitcnt vmcnt(0) lgkmcnt(0)
	v_mul_f32_e32 v132, v132, v133
	s_cbranch_execz .LBB127_1064
	s_branch .LBB127_1065
.LBB127_1063:
                                        ; implicit-def: $vgpr132
.LBB127_1064:
	ds_read_b32 v132, v130
.LBB127_1065:
	v_cmp_ne_u32_e32 vcc, 44, v0
	s_and_saveexec_b64 s[8:9], vcc
	s_cbranch_execz .LBB127_1069
; %bb.1066:
	v_mov_b32_e32 v134, 0
	v_add_u32_e32 v133, 0x104, v1
	v_add3_u32 v134, v1, v134, 4
	s_mov_b64 s[10:11], 0
	v_mov_b32_e32 v135, v0
.LBB127_1067:                           ; =>This Inner Loop Header: Depth=1
	buffer_load_dword v136, v134, s[0:3], 0 offen
	ds_read_b32 v137, v133
	v_add_u32_e32 v135, 1, v135
	v_cmp_lt_u32_e32 vcc, 43, v135
	v_add_u32_e32 v133, 4, v133
	v_add_u32_e32 v134, 4, v134
	s_or_b64 s[10:11], vcc, s[10:11]
	s_waitcnt vmcnt(0) lgkmcnt(0)
	v_fmac_f32_e32 v132, v136, v137
	s_andn2_b64 exec, exec, s[10:11]
	s_cbranch_execnz .LBB127_1067
; %bb.1068:
	s_or_b64 exec, exec, s[10:11]
.LBB127_1069:
	s_or_b64 exec, exec, s[8:9]
	v_mov_b32_e32 v133, 0
	ds_read_b32 v133, v133 offset:180
	s_waitcnt lgkmcnt(0)
	v_mul_f32_e32 v132, v132, v133
	buffer_store_dword v132, off, s[0:3], 0 offset:180
.LBB127_1070:
	s_or_b64 exec, exec, s[6:7]
	buffer_load_dword v132, off, s[0:3], 0 offset:184
	v_cmp_gt_u32_e32 vcc, 46, v0
	s_waitcnt vmcnt(0)
	ds_write_b32 v130, v132
	s_waitcnt lgkmcnt(0)
	; wave barrier
	s_waitcnt lgkmcnt(0)
	s_and_saveexec_b64 s[6:7], vcc
	s_cbranch_execz .LBB127_1080
; %bb.1071:
	s_and_b64 vcc, exec, s[4:5]
	s_cbranch_vccnz .LBB127_1073
; %bb.1072:
	buffer_load_dword v132, v131, s[0:3], 0 offen
	ds_read_b32 v133, v130
	s_waitcnt vmcnt(0) lgkmcnt(0)
	v_mul_f32_e32 v132, v132, v133
	s_cbranch_execz .LBB127_1074
	s_branch .LBB127_1075
.LBB127_1073:
                                        ; implicit-def: $vgpr132
.LBB127_1074:
	ds_read_b32 v132, v130
.LBB127_1075:
	v_cmp_ne_u32_e32 vcc, 45, v0
	s_and_saveexec_b64 s[8:9], vcc
	s_cbranch_execz .LBB127_1079
; %bb.1076:
	v_mov_b32_e32 v134, 0
	v_add_u32_e32 v133, 0x104, v1
	v_add3_u32 v134, v1, v134, 4
	s_mov_b64 s[10:11], 0
	v_mov_b32_e32 v135, v0
.LBB127_1077:                           ; =>This Inner Loop Header: Depth=1
	buffer_load_dword v136, v134, s[0:3], 0 offen
	ds_read_b32 v137, v133
	v_add_u32_e32 v135, 1, v135
	v_cmp_lt_u32_e32 vcc, 44, v135
	v_add_u32_e32 v133, 4, v133
	v_add_u32_e32 v134, 4, v134
	s_or_b64 s[10:11], vcc, s[10:11]
	s_waitcnt vmcnt(0) lgkmcnt(0)
	v_fmac_f32_e32 v132, v136, v137
	s_andn2_b64 exec, exec, s[10:11]
	s_cbranch_execnz .LBB127_1077
; %bb.1078:
	s_or_b64 exec, exec, s[10:11]
.LBB127_1079:
	s_or_b64 exec, exec, s[8:9]
	v_mov_b32_e32 v133, 0
	ds_read_b32 v133, v133 offset:184
	s_waitcnt lgkmcnt(0)
	v_mul_f32_e32 v132, v132, v133
	buffer_store_dword v132, off, s[0:3], 0 offset:184
.LBB127_1080:
	s_or_b64 exec, exec, s[6:7]
	buffer_load_dword v132, off, s[0:3], 0 offset:188
	v_cmp_gt_u32_e32 vcc, 47, v0
	s_waitcnt vmcnt(0)
	ds_write_b32 v130, v132
	s_waitcnt lgkmcnt(0)
	; wave barrier
	s_waitcnt lgkmcnt(0)
	s_and_saveexec_b64 s[6:7], vcc
	s_cbranch_execz .LBB127_1090
; %bb.1081:
	s_and_b64 vcc, exec, s[4:5]
	s_cbranch_vccnz .LBB127_1083
; %bb.1082:
	buffer_load_dword v132, v131, s[0:3], 0 offen
	ds_read_b32 v133, v130
	s_waitcnt vmcnt(0) lgkmcnt(0)
	v_mul_f32_e32 v132, v132, v133
	s_cbranch_execz .LBB127_1084
	s_branch .LBB127_1085
.LBB127_1083:
                                        ; implicit-def: $vgpr132
.LBB127_1084:
	ds_read_b32 v132, v130
.LBB127_1085:
	v_cmp_ne_u32_e32 vcc, 46, v0
	s_and_saveexec_b64 s[8:9], vcc
	s_cbranch_execz .LBB127_1089
; %bb.1086:
	v_mov_b32_e32 v134, 0
	v_add_u32_e32 v133, 0x104, v1
	v_add3_u32 v134, v1, v134, 4
	s_mov_b64 s[10:11], 0
	v_mov_b32_e32 v135, v0
.LBB127_1087:                           ; =>This Inner Loop Header: Depth=1
	buffer_load_dword v136, v134, s[0:3], 0 offen
	ds_read_b32 v137, v133
	v_add_u32_e32 v135, 1, v135
	v_cmp_lt_u32_e32 vcc, 45, v135
	v_add_u32_e32 v133, 4, v133
	v_add_u32_e32 v134, 4, v134
	s_or_b64 s[10:11], vcc, s[10:11]
	s_waitcnt vmcnt(0) lgkmcnt(0)
	v_fmac_f32_e32 v132, v136, v137
	s_andn2_b64 exec, exec, s[10:11]
	s_cbranch_execnz .LBB127_1087
; %bb.1088:
	s_or_b64 exec, exec, s[10:11]
.LBB127_1089:
	s_or_b64 exec, exec, s[8:9]
	v_mov_b32_e32 v133, 0
	ds_read_b32 v133, v133 offset:188
	s_waitcnt lgkmcnt(0)
	v_mul_f32_e32 v132, v132, v133
	buffer_store_dword v132, off, s[0:3], 0 offset:188
.LBB127_1090:
	s_or_b64 exec, exec, s[6:7]
	buffer_load_dword v132, off, s[0:3], 0 offset:192
	v_cmp_gt_u32_e32 vcc, 48, v0
	s_waitcnt vmcnt(0)
	ds_write_b32 v130, v132
	s_waitcnt lgkmcnt(0)
	; wave barrier
	s_waitcnt lgkmcnt(0)
	s_and_saveexec_b64 s[6:7], vcc
	s_cbranch_execz .LBB127_1100
; %bb.1091:
	s_and_b64 vcc, exec, s[4:5]
	s_cbranch_vccnz .LBB127_1093
; %bb.1092:
	buffer_load_dword v132, v131, s[0:3], 0 offen
	ds_read_b32 v133, v130
	s_waitcnt vmcnt(0) lgkmcnt(0)
	v_mul_f32_e32 v132, v132, v133
	s_cbranch_execz .LBB127_1094
	s_branch .LBB127_1095
.LBB127_1093:
                                        ; implicit-def: $vgpr132
.LBB127_1094:
	ds_read_b32 v132, v130
.LBB127_1095:
	v_cmp_ne_u32_e32 vcc, 47, v0
	s_and_saveexec_b64 s[8:9], vcc
	s_cbranch_execz .LBB127_1099
; %bb.1096:
	v_mov_b32_e32 v134, 0
	v_add_u32_e32 v133, 0x104, v1
	v_add3_u32 v134, v1, v134, 4
	s_mov_b64 s[10:11], 0
	v_mov_b32_e32 v135, v0
.LBB127_1097:                           ; =>This Inner Loop Header: Depth=1
	buffer_load_dword v136, v134, s[0:3], 0 offen
	ds_read_b32 v137, v133
	v_add_u32_e32 v135, 1, v135
	v_cmp_lt_u32_e32 vcc, 46, v135
	v_add_u32_e32 v133, 4, v133
	v_add_u32_e32 v134, 4, v134
	s_or_b64 s[10:11], vcc, s[10:11]
	s_waitcnt vmcnt(0) lgkmcnt(0)
	v_fmac_f32_e32 v132, v136, v137
	s_andn2_b64 exec, exec, s[10:11]
	s_cbranch_execnz .LBB127_1097
; %bb.1098:
	s_or_b64 exec, exec, s[10:11]
.LBB127_1099:
	s_or_b64 exec, exec, s[8:9]
	v_mov_b32_e32 v133, 0
	ds_read_b32 v133, v133 offset:192
	s_waitcnt lgkmcnt(0)
	v_mul_f32_e32 v132, v132, v133
	buffer_store_dword v132, off, s[0:3], 0 offset:192
.LBB127_1100:
	s_or_b64 exec, exec, s[6:7]
	buffer_load_dword v132, off, s[0:3], 0 offset:196
	v_cmp_gt_u32_e32 vcc, 49, v0
	s_waitcnt vmcnt(0)
	ds_write_b32 v130, v132
	s_waitcnt lgkmcnt(0)
	; wave barrier
	s_waitcnt lgkmcnt(0)
	s_and_saveexec_b64 s[6:7], vcc
	s_cbranch_execz .LBB127_1110
; %bb.1101:
	s_and_b64 vcc, exec, s[4:5]
	s_cbranch_vccnz .LBB127_1103
; %bb.1102:
	buffer_load_dword v132, v131, s[0:3], 0 offen
	ds_read_b32 v133, v130
	s_waitcnt vmcnt(0) lgkmcnt(0)
	v_mul_f32_e32 v132, v132, v133
	s_cbranch_execz .LBB127_1104
	s_branch .LBB127_1105
.LBB127_1103:
                                        ; implicit-def: $vgpr132
.LBB127_1104:
	ds_read_b32 v132, v130
.LBB127_1105:
	v_cmp_ne_u32_e32 vcc, 48, v0
	s_and_saveexec_b64 s[8:9], vcc
	s_cbranch_execz .LBB127_1109
; %bb.1106:
	v_mov_b32_e32 v134, 0
	v_add_u32_e32 v133, 0x104, v1
	v_add3_u32 v134, v1, v134, 4
	s_mov_b64 s[10:11], 0
	v_mov_b32_e32 v135, v0
.LBB127_1107:                           ; =>This Inner Loop Header: Depth=1
	buffer_load_dword v136, v134, s[0:3], 0 offen
	ds_read_b32 v137, v133
	v_add_u32_e32 v135, 1, v135
	v_cmp_lt_u32_e32 vcc, 47, v135
	v_add_u32_e32 v133, 4, v133
	v_add_u32_e32 v134, 4, v134
	s_or_b64 s[10:11], vcc, s[10:11]
	s_waitcnt vmcnt(0) lgkmcnt(0)
	v_fmac_f32_e32 v132, v136, v137
	s_andn2_b64 exec, exec, s[10:11]
	s_cbranch_execnz .LBB127_1107
; %bb.1108:
	s_or_b64 exec, exec, s[10:11]
.LBB127_1109:
	s_or_b64 exec, exec, s[8:9]
	v_mov_b32_e32 v133, 0
	ds_read_b32 v133, v133 offset:196
	s_waitcnt lgkmcnt(0)
	v_mul_f32_e32 v132, v132, v133
	buffer_store_dword v132, off, s[0:3], 0 offset:196
.LBB127_1110:
	s_or_b64 exec, exec, s[6:7]
	buffer_load_dword v132, off, s[0:3], 0 offset:200
	v_cmp_gt_u32_e32 vcc, 50, v0
	s_waitcnt vmcnt(0)
	ds_write_b32 v130, v132
	s_waitcnt lgkmcnt(0)
	; wave barrier
	s_waitcnt lgkmcnt(0)
	s_and_saveexec_b64 s[6:7], vcc
	s_cbranch_execz .LBB127_1120
; %bb.1111:
	s_and_b64 vcc, exec, s[4:5]
	s_cbranch_vccnz .LBB127_1113
; %bb.1112:
	buffer_load_dword v132, v131, s[0:3], 0 offen
	ds_read_b32 v133, v130
	s_waitcnt vmcnt(0) lgkmcnt(0)
	v_mul_f32_e32 v132, v132, v133
	s_cbranch_execz .LBB127_1114
	s_branch .LBB127_1115
.LBB127_1113:
                                        ; implicit-def: $vgpr132
.LBB127_1114:
	ds_read_b32 v132, v130
.LBB127_1115:
	v_cmp_ne_u32_e32 vcc, 49, v0
	s_and_saveexec_b64 s[8:9], vcc
	s_cbranch_execz .LBB127_1119
; %bb.1116:
	v_mov_b32_e32 v134, 0
	v_add_u32_e32 v133, 0x104, v1
	v_add3_u32 v134, v1, v134, 4
	s_mov_b64 s[10:11], 0
	v_mov_b32_e32 v135, v0
.LBB127_1117:                           ; =>This Inner Loop Header: Depth=1
	buffer_load_dword v136, v134, s[0:3], 0 offen
	ds_read_b32 v137, v133
	v_add_u32_e32 v135, 1, v135
	v_cmp_lt_u32_e32 vcc, 48, v135
	v_add_u32_e32 v133, 4, v133
	v_add_u32_e32 v134, 4, v134
	s_or_b64 s[10:11], vcc, s[10:11]
	s_waitcnt vmcnt(0) lgkmcnt(0)
	v_fmac_f32_e32 v132, v136, v137
	s_andn2_b64 exec, exec, s[10:11]
	s_cbranch_execnz .LBB127_1117
; %bb.1118:
	s_or_b64 exec, exec, s[10:11]
.LBB127_1119:
	s_or_b64 exec, exec, s[8:9]
	v_mov_b32_e32 v133, 0
	ds_read_b32 v133, v133 offset:200
	s_waitcnt lgkmcnt(0)
	v_mul_f32_e32 v132, v132, v133
	buffer_store_dword v132, off, s[0:3], 0 offset:200
.LBB127_1120:
	s_or_b64 exec, exec, s[6:7]
	buffer_load_dword v132, off, s[0:3], 0 offset:204
	v_cmp_gt_u32_e32 vcc, 51, v0
	s_waitcnt vmcnt(0)
	ds_write_b32 v130, v132
	s_waitcnt lgkmcnt(0)
	; wave barrier
	s_waitcnt lgkmcnt(0)
	s_and_saveexec_b64 s[6:7], vcc
	s_cbranch_execz .LBB127_1130
; %bb.1121:
	s_and_b64 vcc, exec, s[4:5]
	s_cbranch_vccnz .LBB127_1123
; %bb.1122:
	buffer_load_dword v132, v131, s[0:3], 0 offen
	ds_read_b32 v133, v130
	s_waitcnt vmcnt(0) lgkmcnt(0)
	v_mul_f32_e32 v132, v132, v133
	s_cbranch_execz .LBB127_1124
	s_branch .LBB127_1125
.LBB127_1123:
                                        ; implicit-def: $vgpr132
.LBB127_1124:
	ds_read_b32 v132, v130
.LBB127_1125:
	v_cmp_ne_u32_e32 vcc, 50, v0
	s_and_saveexec_b64 s[8:9], vcc
	s_cbranch_execz .LBB127_1129
; %bb.1126:
	v_mov_b32_e32 v134, 0
	v_add_u32_e32 v133, 0x104, v1
	v_add3_u32 v134, v1, v134, 4
	s_mov_b64 s[10:11], 0
	v_mov_b32_e32 v135, v0
.LBB127_1127:                           ; =>This Inner Loop Header: Depth=1
	buffer_load_dword v136, v134, s[0:3], 0 offen
	ds_read_b32 v137, v133
	v_add_u32_e32 v135, 1, v135
	v_cmp_lt_u32_e32 vcc, 49, v135
	v_add_u32_e32 v133, 4, v133
	v_add_u32_e32 v134, 4, v134
	s_or_b64 s[10:11], vcc, s[10:11]
	s_waitcnt vmcnt(0) lgkmcnt(0)
	v_fmac_f32_e32 v132, v136, v137
	s_andn2_b64 exec, exec, s[10:11]
	s_cbranch_execnz .LBB127_1127
; %bb.1128:
	s_or_b64 exec, exec, s[10:11]
.LBB127_1129:
	s_or_b64 exec, exec, s[8:9]
	v_mov_b32_e32 v133, 0
	ds_read_b32 v133, v133 offset:204
	s_waitcnt lgkmcnt(0)
	v_mul_f32_e32 v132, v132, v133
	buffer_store_dword v132, off, s[0:3], 0 offset:204
.LBB127_1130:
	s_or_b64 exec, exec, s[6:7]
	buffer_load_dword v132, off, s[0:3], 0 offset:208
	v_cmp_gt_u32_e32 vcc, 52, v0
	s_waitcnt vmcnt(0)
	ds_write_b32 v130, v132
	s_waitcnt lgkmcnt(0)
	; wave barrier
	s_waitcnt lgkmcnt(0)
	s_and_saveexec_b64 s[6:7], vcc
	s_cbranch_execz .LBB127_1140
; %bb.1131:
	s_and_b64 vcc, exec, s[4:5]
	s_cbranch_vccnz .LBB127_1133
; %bb.1132:
	buffer_load_dword v132, v131, s[0:3], 0 offen
	ds_read_b32 v133, v130
	s_waitcnt vmcnt(0) lgkmcnt(0)
	v_mul_f32_e32 v132, v132, v133
	s_cbranch_execz .LBB127_1134
	s_branch .LBB127_1135
.LBB127_1133:
                                        ; implicit-def: $vgpr132
.LBB127_1134:
	ds_read_b32 v132, v130
.LBB127_1135:
	v_cmp_ne_u32_e32 vcc, 51, v0
	s_and_saveexec_b64 s[8:9], vcc
	s_cbranch_execz .LBB127_1139
; %bb.1136:
	v_mov_b32_e32 v134, 0
	v_add_u32_e32 v133, 0x104, v1
	v_add3_u32 v134, v1, v134, 4
	s_mov_b64 s[10:11], 0
	v_mov_b32_e32 v135, v0
.LBB127_1137:                           ; =>This Inner Loop Header: Depth=1
	buffer_load_dword v136, v134, s[0:3], 0 offen
	ds_read_b32 v137, v133
	v_add_u32_e32 v135, 1, v135
	v_cmp_lt_u32_e32 vcc, 50, v135
	v_add_u32_e32 v133, 4, v133
	v_add_u32_e32 v134, 4, v134
	s_or_b64 s[10:11], vcc, s[10:11]
	s_waitcnt vmcnt(0) lgkmcnt(0)
	v_fmac_f32_e32 v132, v136, v137
	s_andn2_b64 exec, exec, s[10:11]
	s_cbranch_execnz .LBB127_1137
; %bb.1138:
	s_or_b64 exec, exec, s[10:11]
.LBB127_1139:
	s_or_b64 exec, exec, s[8:9]
	v_mov_b32_e32 v133, 0
	ds_read_b32 v133, v133 offset:208
	s_waitcnt lgkmcnt(0)
	v_mul_f32_e32 v132, v132, v133
	buffer_store_dword v132, off, s[0:3], 0 offset:208
.LBB127_1140:
	s_or_b64 exec, exec, s[6:7]
	buffer_load_dword v132, off, s[0:3], 0 offset:212
	v_cmp_gt_u32_e32 vcc, 53, v0
	s_waitcnt vmcnt(0)
	ds_write_b32 v130, v132
	s_waitcnt lgkmcnt(0)
	; wave barrier
	s_waitcnt lgkmcnt(0)
	s_and_saveexec_b64 s[6:7], vcc
	s_cbranch_execz .LBB127_1150
; %bb.1141:
	s_and_b64 vcc, exec, s[4:5]
	s_cbranch_vccnz .LBB127_1143
; %bb.1142:
	buffer_load_dword v132, v131, s[0:3], 0 offen
	ds_read_b32 v133, v130
	s_waitcnt vmcnt(0) lgkmcnt(0)
	v_mul_f32_e32 v132, v132, v133
	s_cbranch_execz .LBB127_1144
	s_branch .LBB127_1145
.LBB127_1143:
                                        ; implicit-def: $vgpr132
.LBB127_1144:
	ds_read_b32 v132, v130
.LBB127_1145:
	v_cmp_ne_u32_e32 vcc, 52, v0
	s_and_saveexec_b64 s[8:9], vcc
	s_cbranch_execz .LBB127_1149
; %bb.1146:
	v_mov_b32_e32 v134, 0
	v_add_u32_e32 v133, 0x104, v1
	v_add3_u32 v134, v1, v134, 4
	s_mov_b64 s[10:11], 0
	v_mov_b32_e32 v135, v0
.LBB127_1147:                           ; =>This Inner Loop Header: Depth=1
	buffer_load_dword v136, v134, s[0:3], 0 offen
	ds_read_b32 v137, v133
	v_add_u32_e32 v135, 1, v135
	v_cmp_lt_u32_e32 vcc, 51, v135
	v_add_u32_e32 v133, 4, v133
	v_add_u32_e32 v134, 4, v134
	s_or_b64 s[10:11], vcc, s[10:11]
	s_waitcnt vmcnt(0) lgkmcnt(0)
	v_fmac_f32_e32 v132, v136, v137
	s_andn2_b64 exec, exec, s[10:11]
	s_cbranch_execnz .LBB127_1147
; %bb.1148:
	s_or_b64 exec, exec, s[10:11]
.LBB127_1149:
	s_or_b64 exec, exec, s[8:9]
	v_mov_b32_e32 v133, 0
	ds_read_b32 v133, v133 offset:212
	s_waitcnt lgkmcnt(0)
	v_mul_f32_e32 v132, v132, v133
	buffer_store_dword v132, off, s[0:3], 0 offset:212
.LBB127_1150:
	s_or_b64 exec, exec, s[6:7]
	buffer_load_dword v132, off, s[0:3], 0 offset:216
	v_cmp_gt_u32_e32 vcc, 54, v0
	s_waitcnt vmcnt(0)
	ds_write_b32 v130, v132
	s_waitcnt lgkmcnt(0)
	; wave barrier
	s_waitcnt lgkmcnt(0)
	s_and_saveexec_b64 s[6:7], vcc
	s_cbranch_execz .LBB127_1160
; %bb.1151:
	s_and_b64 vcc, exec, s[4:5]
	s_cbranch_vccnz .LBB127_1153
; %bb.1152:
	buffer_load_dword v132, v131, s[0:3], 0 offen
	ds_read_b32 v133, v130
	s_waitcnt vmcnt(0) lgkmcnt(0)
	v_mul_f32_e32 v132, v132, v133
	s_cbranch_execz .LBB127_1154
	s_branch .LBB127_1155
.LBB127_1153:
                                        ; implicit-def: $vgpr132
.LBB127_1154:
	ds_read_b32 v132, v130
.LBB127_1155:
	v_cmp_ne_u32_e32 vcc, 53, v0
	s_and_saveexec_b64 s[8:9], vcc
	s_cbranch_execz .LBB127_1159
; %bb.1156:
	v_mov_b32_e32 v134, 0
	v_add_u32_e32 v133, 0x104, v1
	v_add3_u32 v134, v1, v134, 4
	s_mov_b64 s[10:11], 0
	v_mov_b32_e32 v135, v0
.LBB127_1157:                           ; =>This Inner Loop Header: Depth=1
	buffer_load_dword v136, v134, s[0:3], 0 offen
	ds_read_b32 v137, v133
	v_add_u32_e32 v135, 1, v135
	v_cmp_lt_u32_e32 vcc, 52, v135
	v_add_u32_e32 v133, 4, v133
	v_add_u32_e32 v134, 4, v134
	s_or_b64 s[10:11], vcc, s[10:11]
	s_waitcnt vmcnt(0) lgkmcnt(0)
	v_fmac_f32_e32 v132, v136, v137
	s_andn2_b64 exec, exec, s[10:11]
	s_cbranch_execnz .LBB127_1157
; %bb.1158:
	s_or_b64 exec, exec, s[10:11]
.LBB127_1159:
	s_or_b64 exec, exec, s[8:9]
	v_mov_b32_e32 v133, 0
	ds_read_b32 v133, v133 offset:216
	s_waitcnt lgkmcnt(0)
	v_mul_f32_e32 v132, v132, v133
	buffer_store_dword v132, off, s[0:3], 0 offset:216
.LBB127_1160:
	s_or_b64 exec, exec, s[6:7]
	buffer_load_dword v132, off, s[0:3], 0 offset:220
	v_cmp_gt_u32_e32 vcc, 55, v0
	s_waitcnt vmcnt(0)
	ds_write_b32 v130, v132
	s_waitcnt lgkmcnt(0)
	; wave barrier
	s_waitcnt lgkmcnt(0)
	s_and_saveexec_b64 s[6:7], vcc
	s_cbranch_execz .LBB127_1170
; %bb.1161:
	s_and_b64 vcc, exec, s[4:5]
	s_cbranch_vccnz .LBB127_1163
; %bb.1162:
	buffer_load_dword v132, v131, s[0:3], 0 offen
	ds_read_b32 v133, v130
	s_waitcnt vmcnt(0) lgkmcnt(0)
	v_mul_f32_e32 v132, v132, v133
	s_cbranch_execz .LBB127_1164
	s_branch .LBB127_1165
.LBB127_1163:
                                        ; implicit-def: $vgpr132
.LBB127_1164:
	ds_read_b32 v132, v130
.LBB127_1165:
	v_cmp_ne_u32_e32 vcc, 54, v0
	s_and_saveexec_b64 s[8:9], vcc
	s_cbranch_execz .LBB127_1169
; %bb.1166:
	v_mov_b32_e32 v134, 0
	v_add_u32_e32 v133, 0x104, v1
	v_add3_u32 v134, v1, v134, 4
	s_mov_b64 s[10:11], 0
	v_mov_b32_e32 v135, v0
.LBB127_1167:                           ; =>This Inner Loop Header: Depth=1
	buffer_load_dword v136, v134, s[0:3], 0 offen
	ds_read_b32 v137, v133
	v_add_u32_e32 v135, 1, v135
	v_cmp_lt_u32_e32 vcc, 53, v135
	v_add_u32_e32 v133, 4, v133
	v_add_u32_e32 v134, 4, v134
	s_or_b64 s[10:11], vcc, s[10:11]
	s_waitcnt vmcnt(0) lgkmcnt(0)
	v_fmac_f32_e32 v132, v136, v137
	s_andn2_b64 exec, exec, s[10:11]
	s_cbranch_execnz .LBB127_1167
; %bb.1168:
	s_or_b64 exec, exec, s[10:11]
.LBB127_1169:
	s_or_b64 exec, exec, s[8:9]
	v_mov_b32_e32 v133, 0
	ds_read_b32 v133, v133 offset:220
	s_waitcnt lgkmcnt(0)
	v_mul_f32_e32 v132, v132, v133
	buffer_store_dword v132, off, s[0:3], 0 offset:220
.LBB127_1170:
	s_or_b64 exec, exec, s[6:7]
	buffer_load_dword v132, off, s[0:3], 0 offset:224
	v_cmp_gt_u32_e32 vcc, 56, v0
	s_waitcnt vmcnt(0)
	ds_write_b32 v130, v132
	s_waitcnt lgkmcnt(0)
	; wave barrier
	s_waitcnt lgkmcnt(0)
	s_and_saveexec_b64 s[6:7], vcc
	s_cbranch_execz .LBB127_1180
; %bb.1171:
	s_and_b64 vcc, exec, s[4:5]
	s_cbranch_vccnz .LBB127_1173
; %bb.1172:
	buffer_load_dword v132, v131, s[0:3], 0 offen
	ds_read_b32 v133, v130
	s_waitcnt vmcnt(0) lgkmcnt(0)
	v_mul_f32_e32 v132, v132, v133
	s_cbranch_execz .LBB127_1174
	s_branch .LBB127_1175
.LBB127_1173:
                                        ; implicit-def: $vgpr132
.LBB127_1174:
	ds_read_b32 v132, v130
.LBB127_1175:
	v_cmp_ne_u32_e32 vcc, 55, v0
	s_and_saveexec_b64 s[8:9], vcc
	s_cbranch_execz .LBB127_1179
; %bb.1176:
	v_mov_b32_e32 v134, 0
	v_add_u32_e32 v133, 0x104, v1
	v_add3_u32 v134, v1, v134, 4
	s_mov_b64 s[10:11], 0
	v_mov_b32_e32 v135, v0
.LBB127_1177:                           ; =>This Inner Loop Header: Depth=1
	buffer_load_dword v136, v134, s[0:3], 0 offen
	ds_read_b32 v137, v133
	v_add_u32_e32 v135, 1, v135
	v_cmp_lt_u32_e32 vcc, 54, v135
	v_add_u32_e32 v133, 4, v133
	v_add_u32_e32 v134, 4, v134
	s_or_b64 s[10:11], vcc, s[10:11]
	s_waitcnt vmcnt(0) lgkmcnt(0)
	v_fmac_f32_e32 v132, v136, v137
	s_andn2_b64 exec, exec, s[10:11]
	s_cbranch_execnz .LBB127_1177
; %bb.1178:
	s_or_b64 exec, exec, s[10:11]
.LBB127_1179:
	s_or_b64 exec, exec, s[8:9]
	v_mov_b32_e32 v133, 0
	ds_read_b32 v133, v133 offset:224
	s_waitcnt lgkmcnt(0)
	v_mul_f32_e32 v132, v132, v133
	buffer_store_dword v132, off, s[0:3], 0 offset:224
.LBB127_1180:
	s_or_b64 exec, exec, s[6:7]
	buffer_load_dword v132, off, s[0:3], 0 offset:228
	v_cmp_gt_u32_e32 vcc, 57, v0
	s_waitcnt vmcnt(0)
	ds_write_b32 v130, v132
	s_waitcnt lgkmcnt(0)
	; wave barrier
	s_waitcnt lgkmcnt(0)
	s_and_saveexec_b64 s[6:7], vcc
	s_cbranch_execz .LBB127_1190
; %bb.1181:
	s_and_b64 vcc, exec, s[4:5]
	s_cbranch_vccnz .LBB127_1183
; %bb.1182:
	buffer_load_dword v132, v131, s[0:3], 0 offen
	ds_read_b32 v133, v130
	s_waitcnt vmcnt(0) lgkmcnt(0)
	v_mul_f32_e32 v132, v132, v133
	s_cbranch_execz .LBB127_1184
	s_branch .LBB127_1185
.LBB127_1183:
                                        ; implicit-def: $vgpr132
.LBB127_1184:
	ds_read_b32 v132, v130
.LBB127_1185:
	v_cmp_ne_u32_e32 vcc, 56, v0
	s_and_saveexec_b64 s[8:9], vcc
	s_cbranch_execz .LBB127_1189
; %bb.1186:
	v_mov_b32_e32 v134, 0
	v_add_u32_e32 v133, 0x104, v1
	v_add3_u32 v134, v1, v134, 4
	s_mov_b64 s[10:11], 0
	v_mov_b32_e32 v135, v0
.LBB127_1187:                           ; =>This Inner Loop Header: Depth=1
	buffer_load_dword v136, v134, s[0:3], 0 offen
	ds_read_b32 v137, v133
	v_add_u32_e32 v135, 1, v135
	v_cmp_lt_u32_e32 vcc, 55, v135
	v_add_u32_e32 v133, 4, v133
	v_add_u32_e32 v134, 4, v134
	s_or_b64 s[10:11], vcc, s[10:11]
	s_waitcnt vmcnt(0) lgkmcnt(0)
	v_fmac_f32_e32 v132, v136, v137
	s_andn2_b64 exec, exec, s[10:11]
	s_cbranch_execnz .LBB127_1187
; %bb.1188:
	s_or_b64 exec, exec, s[10:11]
.LBB127_1189:
	s_or_b64 exec, exec, s[8:9]
	v_mov_b32_e32 v133, 0
	ds_read_b32 v133, v133 offset:228
	s_waitcnt lgkmcnt(0)
	v_mul_f32_e32 v132, v132, v133
	buffer_store_dword v132, off, s[0:3], 0 offset:228
.LBB127_1190:
	s_or_b64 exec, exec, s[6:7]
	buffer_load_dword v132, off, s[0:3], 0 offset:232
	v_cmp_gt_u32_e32 vcc, 58, v0
	s_waitcnt vmcnt(0)
	ds_write_b32 v130, v132
	s_waitcnt lgkmcnt(0)
	; wave barrier
	s_waitcnt lgkmcnt(0)
	s_and_saveexec_b64 s[6:7], vcc
	s_cbranch_execz .LBB127_1200
; %bb.1191:
	s_and_b64 vcc, exec, s[4:5]
	s_cbranch_vccnz .LBB127_1193
; %bb.1192:
	buffer_load_dword v132, v131, s[0:3], 0 offen
	ds_read_b32 v133, v130
	s_waitcnt vmcnt(0) lgkmcnt(0)
	v_mul_f32_e32 v132, v132, v133
	s_cbranch_execz .LBB127_1194
	s_branch .LBB127_1195
.LBB127_1193:
                                        ; implicit-def: $vgpr132
.LBB127_1194:
	ds_read_b32 v132, v130
.LBB127_1195:
	v_cmp_ne_u32_e32 vcc, 57, v0
	s_and_saveexec_b64 s[8:9], vcc
	s_cbranch_execz .LBB127_1199
; %bb.1196:
	v_mov_b32_e32 v134, 0
	v_add_u32_e32 v133, 0x104, v1
	v_add3_u32 v134, v1, v134, 4
	s_mov_b64 s[10:11], 0
	v_mov_b32_e32 v135, v0
.LBB127_1197:                           ; =>This Inner Loop Header: Depth=1
	buffer_load_dword v136, v134, s[0:3], 0 offen
	ds_read_b32 v137, v133
	v_add_u32_e32 v135, 1, v135
	v_cmp_lt_u32_e32 vcc, 56, v135
	v_add_u32_e32 v133, 4, v133
	v_add_u32_e32 v134, 4, v134
	s_or_b64 s[10:11], vcc, s[10:11]
	s_waitcnt vmcnt(0) lgkmcnt(0)
	v_fmac_f32_e32 v132, v136, v137
	s_andn2_b64 exec, exec, s[10:11]
	s_cbranch_execnz .LBB127_1197
; %bb.1198:
	s_or_b64 exec, exec, s[10:11]
.LBB127_1199:
	s_or_b64 exec, exec, s[8:9]
	v_mov_b32_e32 v133, 0
	ds_read_b32 v133, v133 offset:232
	s_waitcnt lgkmcnt(0)
	v_mul_f32_e32 v132, v132, v133
	buffer_store_dword v132, off, s[0:3], 0 offset:232
.LBB127_1200:
	s_or_b64 exec, exec, s[6:7]
	buffer_load_dword v132, off, s[0:3], 0 offset:236
	v_cmp_gt_u32_e32 vcc, 59, v0
	s_waitcnt vmcnt(0)
	ds_write_b32 v130, v132
	s_waitcnt lgkmcnt(0)
	; wave barrier
	s_waitcnt lgkmcnt(0)
	s_and_saveexec_b64 s[6:7], vcc
	s_cbranch_execz .LBB127_1210
; %bb.1201:
	s_and_b64 vcc, exec, s[4:5]
	s_cbranch_vccnz .LBB127_1203
; %bb.1202:
	buffer_load_dword v132, v131, s[0:3], 0 offen
	ds_read_b32 v133, v130
	s_waitcnt vmcnt(0) lgkmcnt(0)
	v_mul_f32_e32 v132, v132, v133
	s_cbranch_execz .LBB127_1204
	s_branch .LBB127_1205
.LBB127_1203:
                                        ; implicit-def: $vgpr132
.LBB127_1204:
	ds_read_b32 v132, v130
.LBB127_1205:
	v_cmp_ne_u32_e32 vcc, 58, v0
	s_and_saveexec_b64 s[8:9], vcc
	s_cbranch_execz .LBB127_1209
; %bb.1206:
	v_mov_b32_e32 v134, 0
	v_add_u32_e32 v133, 0x104, v1
	v_add3_u32 v134, v1, v134, 4
	s_mov_b64 s[10:11], 0
	v_mov_b32_e32 v135, v0
.LBB127_1207:                           ; =>This Inner Loop Header: Depth=1
	buffer_load_dword v136, v134, s[0:3], 0 offen
	ds_read_b32 v137, v133
	v_add_u32_e32 v135, 1, v135
	v_cmp_lt_u32_e32 vcc, 57, v135
	v_add_u32_e32 v133, 4, v133
	v_add_u32_e32 v134, 4, v134
	s_or_b64 s[10:11], vcc, s[10:11]
	s_waitcnt vmcnt(0) lgkmcnt(0)
	v_fmac_f32_e32 v132, v136, v137
	s_andn2_b64 exec, exec, s[10:11]
	s_cbranch_execnz .LBB127_1207
; %bb.1208:
	s_or_b64 exec, exec, s[10:11]
.LBB127_1209:
	s_or_b64 exec, exec, s[8:9]
	v_mov_b32_e32 v133, 0
	ds_read_b32 v133, v133 offset:236
	s_waitcnt lgkmcnt(0)
	v_mul_f32_e32 v132, v132, v133
	buffer_store_dword v132, off, s[0:3], 0 offset:236
.LBB127_1210:
	s_or_b64 exec, exec, s[6:7]
	buffer_load_dword v132, off, s[0:3], 0 offset:240
	v_cmp_gt_u32_e32 vcc, 60, v0
	s_waitcnt vmcnt(0)
	ds_write_b32 v130, v132
	s_waitcnt lgkmcnt(0)
	; wave barrier
	s_waitcnt lgkmcnt(0)
	s_and_saveexec_b64 s[6:7], vcc
	s_cbranch_execz .LBB127_1220
; %bb.1211:
	s_and_b64 vcc, exec, s[4:5]
	s_cbranch_vccnz .LBB127_1213
; %bb.1212:
	buffer_load_dword v132, v131, s[0:3], 0 offen
	ds_read_b32 v133, v130
	s_waitcnt vmcnt(0) lgkmcnt(0)
	v_mul_f32_e32 v132, v132, v133
	s_cbranch_execz .LBB127_1214
	s_branch .LBB127_1215
.LBB127_1213:
                                        ; implicit-def: $vgpr132
.LBB127_1214:
	ds_read_b32 v132, v130
.LBB127_1215:
	v_cmp_ne_u32_e32 vcc, 59, v0
	s_and_saveexec_b64 s[8:9], vcc
	s_cbranch_execz .LBB127_1219
; %bb.1216:
	v_mov_b32_e32 v134, 0
	v_add_u32_e32 v133, 0x104, v1
	v_add3_u32 v134, v1, v134, 4
	s_mov_b64 s[10:11], 0
	v_mov_b32_e32 v135, v0
.LBB127_1217:                           ; =>This Inner Loop Header: Depth=1
	buffer_load_dword v136, v134, s[0:3], 0 offen
	ds_read_b32 v137, v133
	v_add_u32_e32 v135, 1, v135
	v_cmp_lt_u32_e32 vcc, 58, v135
	v_add_u32_e32 v133, 4, v133
	v_add_u32_e32 v134, 4, v134
	s_or_b64 s[10:11], vcc, s[10:11]
	s_waitcnt vmcnt(0) lgkmcnt(0)
	v_fmac_f32_e32 v132, v136, v137
	s_andn2_b64 exec, exec, s[10:11]
	s_cbranch_execnz .LBB127_1217
; %bb.1218:
	s_or_b64 exec, exec, s[10:11]
.LBB127_1219:
	s_or_b64 exec, exec, s[8:9]
	v_mov_b32_e32 v133, 0
	ds_read_b32 v133, v133 offset:240
	s_waitcnt lgkmcnt(0)
	v_mul_f32_e32 v132, v132, v133
	buffer_store_dword v132, off, s[0:3], 0 offset:240
.LBB127_1220:
	s_or_b64 exec, exec, s[6:7]
	buffer_load_dword v132, off, s[0:3], 0 offset:244
	v_cmp_gt_u32_e32 vcc, 61, v0
	s_waitcnt vmcnt(0)
	ds_write_b32 v130, v132
	s_waitcnt lgkmcnt(0)
	; wave barrier
	s_waitcnt lgkmcnt(0)
	s_and_saveexec_b64 s[6:7], vcc
	s_cbranch_execz .LBB127_1230
; %bb.1221:
	s_and_b64 vcc, exec, s[4:5]
	s_cbranch_vccnz .LBB127_1223
; %bb.1222:
	buffer_load_dword v132, v131, s[0:3], 0 offen
	ds_read_b32 v133, v130
	s_waitcnt vmcnt(0) lgkmcnt(0)
	v_mul_f32_e32 v132, v132, v133
	s_cbranch_execz .LBB127_1224
	s_branch .LBB127_1225
.LBB127_1223:
                                        ; implicit-def: $vgpr132
.LBB127_1224:
	ds_read_b32 v132, v130
.LBB127_1225:
	v_cmp_ne_u32_e32 vcc, 60, v0
	s_and_saveexec_b64 s[8:9], vcc
	s_cbranch_execz .LBB127_1229
; %bb.1226:
	v_mov_b32_e32 v134, 0
	v_add_u32_e32 v133, 0x104, v1
	v_add3_u32 v134, v1, v134, 4
	s_mov_b64 s[10:11], 0
	v_mov_b32_e32 v135, v0
.LBB127_1227:                           ; =>This Inner Loop Header: Depth=1
	buffer_load_dword v136, v134, s[0:3], 0 offen
	ds_read_b32 v137, v133
	v_add_u32_e32 v135, 1, v135
	v_cmp_lt_u32_e32 vcc, 59, v135
	v_add_u32_e32 v133, 4, v133
	v_add_u32_e32 v134, 4, v134
	s_or_b64 s[10:11], vcc, s[10:11]
	s_waitcnt vmcnt(0) lgkmcnt(0)
	v_fmac_f32_e32 v132, v136, v137
	s_andn2_b64 exec, exec, s[10:11]
	s_cbranch_execnz .LBB127_1227
; %bb.1228:
	s_or_b64 exec, exec, s[10:11]
.LBB127_1229:
	s_or_b64 exec, exec, s[8:9]
	v_mov_b32_e32 v133, 0
	ds_read_b32 v133, v133 offset:244
	s_waitcnt lgkmcnt(0)
	v_mul_f32_e32 v132, v132, v133
	buffer_store_dword v132, off, s[0:3], 0 offset:244
.LBB127_1230:
	s_or_b64 exec, exec, s[6:7]
	buffer_load_dword v132, off, s[0:3], 0 offset:248
	v_cmp_gt_u32_e64 s[6:7], 62, v0
	s_waitcnt vmcnt(0)
	ds_write_b32 v130, v132
	s_waitcnt lgkmcnt(0)
	; wave barrier
	s_waitcnt lgkmcnt(0)
	s_and_saveexec_b64 s[8:9], s[6:7]
	s_cbranch_execz .LBB127_1240
; %bb.1231:
	s_and_b64 vcc, exec, s[4:5]
	s_cbranch_vccnz .LBB127_1233
; %bb.1232:
	buffer_load_dword v132, v131, s[0:3], 0 offen
	ds_read_b32 v133, v130
	s_waitcnt vmcnt(0) lgkmcnt(0)
	v_mul_f32_e32 v132, v132, v133
	s_cbranch_execz .LBB127_1234
	s_branch .LBB127_1235
.LBB127_1233:
                                        ; implicit-def: $vgpr132
.LBB127_1234:
	ds_read_b32 v132, v130
.LBB127_1235:
	v_cmp_ne_u32_e32 vcc, 61, v0
	s_and_saveexec_b64 s[10:11], vcc
	s_cbranch_execz .LBB127_1239
; %bb.1236:
	v_mov_b32_e32 v134, 0
	v_add_u32_e32 v133, 0x104, v1
	v_add3_u32 v134, v1, v134, 4
	s_mov_b64 s[12:13], 0
	v_mov_b32_e32 v135, v0
.LBB127_1237:                           ; =>This Inner Loop Header: Depth=1
	buffer_load_dword v136, v134, s[0:3], 0 offen
	ds_read_b32 v137, v133
	v_add_u32_e32 v135, 1, v135
	v_cmp_lt_u32_e32 vcc, 60, v135
	v_add_u32_e32 v133, 4, v133
	v_add_u32_e32 v134, 4, v134
	s_or_b64 s[12:13], vcc, s[12:13]
	s_waitcnt vmcnt(0) lgkmcnt(0)
	v_fmac_f32_e32 v132, v136, v137
	s_andn2_b64 exec, exec, s[12:13]
	s_cbranch_execnz .LBB127_1237
; %bb.1238:
	s_or_b64 exec, exec, s[12:13]
.LBB127_1239:
	s_or_b64 exec, exec, s[10:11]
	v_mov_b32_e32 v133, 0
	ds_read_b32 v133, v133 offset:248
	s_waitcnt lgkmcnt(0)
	v_mul_f32_e32 v132, v132, v133
	buffer_store_dword v132, off, s[0:3], 0 offset:248
.LBB127_1240:
	s_or_b64 exec, exec, s[8:9]
	buffer_load_dword v132, off, s[0:3], 0 offset:252
	v_cmp_ne_u32_e32 vcc, 63, v0
	s_waitcnt vmcnt(0)
	ds_write_b32 v130, v132
	s_waitcnt lgkmcnt(0)
	; wave barrier
	s_waitcnt lgkmcnt(0)
	s_and_saveexec_b64 s[8:9], vcc
	s_cbranch_execz .LBB127_1250
; %bb.1241:
	s_and_b64 vcc, exec, s[4:5]
	s_cbranch_vccnz .LBB127_1243
; %bb.1242:
	buffer_load_dword v131, v131, s[0:3], 0 offen
	ds_read_b32 v132, v130
	s_waitcnt vmcnt(0) lgkmcnt(0)
	v_mul_f32_e32 v131, v131, v132
	s_cbranch_execz .LBB127_1244
	s_branch .LBB127_1245
.LBB127_1243:
                                        ; implicit-def: $vgpr131
.LBB127_1244:
	ds_read_b32 v131, v130
.LBB127_1245:
	s_and_saveexec_b64 s[4:5], s[6:7]
	s_cbranch_execz .LBB127_1249
; %bb.1246:
	v_mov_b32_e32 v132, 0
	v_add_u32_e32 v130, 0x104, v1
	v_add3_u32 v1, v1, v132, 4
	s_mov_b64 s[6:7], 0
.LBB127_1247:                           ; =>This Inner Loop Header: Depth=1
	buffer_load_dword v132, v1, s[0:3], 0 offen
	ds_read_b32 v133, v130
	v_add_u32_e32 v0, 1, v0
	v_cmp_lt_u32_e32 vcc, 61, v0
	v_add_u32_e32 v130, 4, v130
	v_add_u32_e32 v1, 4, v1
	s_or_b64 s[6:7], vcc, s[6:7]
	s_waitcnt vmcnt(0) lgkmcnt(0)
	v_fmac_f32_e32 v131, v132, v133
	s_andn2_b64 exec, exec, s[6:7]
	s_cbranch_execnz .LBB127_1247
; %bb.1248:
	s_or_b64 exec, exec, s[6:7]
.LBB127_1249:
	s_or_b64 exec, exec, s[4:5]
	v_mov_b32_e32 v0, 0
	ds_read_b32 v0, v0 offset:252
	s_waitcnt lgkmcnt(0)
	v_mul_f32_e32 v0, v131, v0
	buffer_store_dword v0, off, s[0:3], 0 offset:252
.LBB127_1250:
	s_or_b64 exec, exec, s[8:9]
.LBB127_1251:
	buffer_load_dword v0, off, s[0:3], 0
	buffer_load_dword v1, off, s[0:3], 0 offset:4
	buffer_load_dword v130, off, s[0:3], 0 offset:8
	;; [unrolled: 1-line block ×31, first 2 shown]
	s_waitcnt vmcnt(31)
	global_store_dword v[124:125], v0, off
	s_waitcnt vmcnt(31)
	global_store_dword v[128:129], v1, off
	buffer_load_dword v0, off, s[0:3], 0 offset:128
	s_nop 0
	buffer_load_dword v1, off, s[0:3], 0 offset:132
	buffer_load_dword v124, off, s[0:3], 0 offset:136
	;; [unrolled: 1-line block ×7, first 2 shown]
	s_waitcnt vmcnt(39)
	global_store_dword v[2:3], v130, off
	s_waitcnt vmcnt(39)
	global_store_dword v[6:7], v131, off
	buffer_load_dword v2, off, s[0:3], 0 offset:160
	buffer_load_dword v3, off, s[0:3], 0 offset:164
	s_nop 0
	buffer_load_dword v6, off, s[0:3], 0 offset:168
	buffer_load_dword v7, off, s[0:3], 0 offset:172
	;; [unrolled: 1-line block ×6, first 2 shown]
	s_waitcnt vmcnt(47)
	global_store_dword v[4:5], v132, off
	s_waitcnt vmcnt(47)
	global_store_dword v[8:9], v133, off
	;; [unrolled: 2-line block ×3, first 2 shown]
	buffer_load_dword v4, off, s[0:3], 0 offset:192
	buffer_load_dword v5, off, s[0:3], 0 offset:196
	;; [unrolled: 1-line block ×4, first 2 shown]
	s_nop 0
	buffer_load_dword v12, off, s[0:3], 0 offset:208
	buffer_load_dword v13, off, s[0:3], 0 offset:212
	;; [unrolled: 1-line block ×4, first 2 shown]
	s_waitcnt vmcnt(55)
	global_store_dword v[10:11], v135, off
	s_waitcnt vmcnt(55)
	global_store_dword v[14:15], v136, off
	;; [unrolled: 2-line block ×3, first 2 shown]
	buffer_load_dword v10, off, s[0:3], 0 offset:224
	buffer_load_dword v11, off, s[0:3], 0 offset:228
	buffer_load_dword v14, off, s[0:3], 0 offset:232
	buffer_load_dword v15, off, s[0:3], 0 offset:236
	s_nop 0
	buffer_load_dword v18, off, s[0:3], 0 offset:240
	buffer_load_dword v19, off, s[0:3], 0 offset:244
	;; [unrolled: 1-line block ×4, first 2 shown]
	s_waitcnt vmcnt(62)
	global_store_dword v[16:17], v138, off
	global_store_dword v[20:21], v139, off
	s_waitcnt vmcnt(62)
	global_store_dword v[22:23], v140, off
	global_store_dword v[24:25], v141, off
	;; [unrolled: 3-line block ×11, first 2 shown]
	s_waitcnt vmcnt(61)
	global_store_dword v[62:63], v0, off
	s_waitcnt vmcnt(61)
	global_store_dword v[64:65], v1, off
	;; [unrolled: 2-line block ×32, first 2 shown]
.LBB127_1252:
	s_endpgm
	.section	.rodata,"a",@progbits
	.p2align	6, 0x0
	.amdhsa_kernel _ZN9rocsolver6v33100L18trti2_kernel_smallILi64EfPKPfEEv13rocblas_fill_17rocblas_diagonal_T1_iil
		.amdhsa_group_segment_fixed_size 512
		.amdhsa_private_segment_fixed_size 272
		.amdhsa_kernarg_size 32
		.amdhsa_user_sgpr_count 8
		.amdhsa_user_sgpr_private_segment_buffer 1
		.amdhsa_user_sgpr_dispatch_ptr 0
		.amdhsa_user_sgpr_queue_ptr 0
		.amdhsa_user_sgpr_kernarg_segment_ptr 1
		.amdhsa_user_sgpr_dispatch_id 0
		.amdhsa_user_sgpr_flat_scratch_init 1
		.amdhsa_user_sgpr_kernarg_preload_length 0
		.amdhsa_user_sgpr_kernarg_preload_offset 0
		.amdhsa_user_sgpr_private_segment_size 0
		.amdhsa_uses_dynamic_stack 0
		.amdhsa_system_sgpr_private_segment_wavefront_offset 1
		.amdhsa_system_sgpr_workgroup_id_x 1
		.amdhsa_system_sgpr_workgroup_id_y 0
		.amdhsa_system_sgpr_workgroup_id_z 0
		.amdhsa_system_sgpr_workgroup_info 0
		.amdhsa_system_vgpr_workitem_id 0
		.amdhsa_next_free_vgpr 167
		.amdhsa_next_free_sgpr 16
		.amdhsa_accum_offset 168
		.amdhsa_reserve_vcc 1
		.amdhsa_reserve_flat_scratch 0
		.amdhsa_float_round_mode_32 0
		.amdhsa_float_round_mode_16_64 0
		.amdhsa_float_denorm_mode_32 3
		.amdhsa_float_denorm_mode_16_64 3
		.amdhsa_dx10_clamp 1
		.amdhsa_ieee_mode 1
		.amdhsa_fp16_overflow 0
		.amdhsa_tg_split 0
		.amdhsa_exception_fp_ieee_invalid_op 0
		.amdhsa_exception_fp_denorm_src 0
		.amdhsa_exception_fp_ieee_div_zero 0
		.amdhsa_exception_fp_ieee_overflow 0
		.amdhsa_exception_fp_ieee_underflow 0
		.amdhsa_exception_fp_ieee_inexact 0
		.amdhsa_exception_int_div_zero 0
	.end_amdhsa_kernel
	.section	.text._ZN9rocsolver6v33100L18trti2_kernel_smallILi64EfPKPfEEv13rocblas_fill_17rocblas_diagonal_T1_iil,"axG",@progbits,_ZN9rocsolver6v33100L18trti2_kernel_smallILi64EfPKPfEEv13rocblas_fill_17rocblas_diagonal_T1_iil,comdat
.Lfunc_end127:
	.size	_ZN9rocsolver6v33100L18trti2_kernel_smallILi64EfPKPfEEv13rocblas_fill_17rocblas_diagonal_T1_iil, .Lfunc_end127-_ZN9rocsolver6v33100L18trti2_kernel_smallILi64EfPKPfEEv13rocblas_fill_17rocblas_diagonal_T1_iil
                                        ; -- End function
	.section	.AMDGPU.csdata,"",@progbits
; Kernel info:
; codeLenInByte = 31432
; NumSgprs: 20
; NumVgprs: 167
; NumAgprs: 0
; TotalNumVgprs: 167
; ScratchSize: 272
; MemoryBound: 0
; FloatMode: 240
; IeeeMode: 1
; LDSByteSize: 512 bytes/workgroup (compile time only)
; SGPRBlocks: 2
; VGPRBlocks: 20
; NumSGPRsForWavesPerEU: 20
; NumVGPRsForWavesPerEU: 167
; AccumOffset: 168
; Occupancy: 3
; WaveLimiterHint : 1
; COMPUTE_PGM_RSRC2:SCRATCH_EN: 1
; COMPUTE_PGM_RSRC2:USER_SGPR: 8
; COMPUTE_PGM_RSRC2:TRAP_HANDLER: 0
; COMPUTE_PGM_RSRC2:TGID_X_EN: 1
; COMPUTE_PGM_RSRC2:TGID_Y_EN: 0
; COMPUTE_PGM_RSRC2:TGID_Z_EN: 0
; COMPUTE_PGM_RSRC2:TIDIG_COMP_CNT: 0
; COMPUTE_PGM_RSRC3_GFX90A:ACCUM_OFFSET: 41
; COMPUTE_PGM_RSRC3_GFX90A:TG_SPLIT: 0
	.text
	.p2alignl 6, 3212836864
	.fill 256, 4, 3212836864
	.type	__hip_cuid_db02813413bfb66c,@object ; @__hip_cuid_db02813413bfb66c
	.section	.bss,"aw",@nobits
	.globl	__hip_cuid_db02813413bfb66c
__hip_cuid_db02813413bfb66c:
	.byte	0                               ; 0x0
	.size	__hip_cuid_db02813413bfb66c, 1

	.ident	"AMD clang version 19.0.0git (https://github.com/RadeonOpenCompute/llvm-project roc-6.4.0 25133 c7fe45cf4b819c5991fe208aaa96edf142730f1d)"
	.section	".note.GNU-stack","",@progbits
	.addrsig
	.addrsig_sym __hip_cuid_db02813413bfb66c
	.amdgpu_metadata
---
amdhsa.kernels:
  - .agpr_count:     0
    .args:
      - .offset:         0
        .size:           4
        .value_kind:     by_value
      - .offset:         4
        .size:           4
        .value_kind:     by_value
      - .address_space:  global
        .offset:         8
        .size:           8
        .value_kind:     global_buffer
      - .offset:         16
        .size:           4
        .value_kind:     by_value
      - .offset:         20
        .size:           4
        .value_kind:     by_value
      - .offset:         24
        .size:           8
        .value_kind:     by_value
    .group_segment_fixed_size: 0
    .kernarg_segment_align: 8
    .kernarg_segment_size: 32
    .language:       OpenCL C
    .language_version:
      - 2
      - 0
    .max_flat_workgroup_size: 64
    .name:           _ZN9rocsolver6v33100L18trti2_kernel_smallILi1EfPfEEv13rocblas_fill_17rocblas_diagonal_T1_iil
    .private_segment_fixed_size: 0
    .sgpr_count:     15
    .sgpr_spill_count: 0
    .symbol:         _ZN9rocsolver6v33100L18trti2_kernel_smallILi1EfPfEEv13rocblas_fill_17rocblas_diagonal_T1_iil.kd
    .uniform_work_group_size: 1
    .uses_dynamic_stack: false
    .vgpr_count:     7
    .vgpr_spill_count: 0
    .wavefront_size: 64
  - .agpr_count:     0
    .args:
      - .offset:         0
        .size:           4
        .value_kind:     by_value
      - .offset:         4
        .size:           4
        .value_kind:     by_value
      - .address_space:  global
        .offset:         8
        .size:           8
        .value_kind:     global_buffer
      - .offset:         16
        .size:           4
        .value_kind:     by_value
      - .offset:         20
        .size:           4
        .value_kind:     by_value
      - .offset:         24
        .size:           8
        .value_kind:     by_value
    .group_segment_fixed_size: 16
    .kernarg_segment_align: 8
    .kernarg_segment_size: 32
    .language:       OpenCL C
    .language_version:
      - 2
      - 0
    .max_flat_workgroup_size: 64
    .name:           _ZN9rocsolver6v33100L18trti2_kernel_smallILi2EfPfEEv13rocblas_fill_17rocblas_diagonal_T1_iil
    .private_segment_fixed_size: 0
    .sgpr_count:     20
    .sgpr_spill_count: 0
    .symbol:         _ZN9rocsolver6v33100L18trti2_kernel_smallILi2EfPfEEv13rocblas_fill_17rocblas_diagonal_T1_iil.kd
    .uniform_work_group_size: 1
    .uses_dynamic_stack: false
    .vgpr_count:     14
    .vgpr_spill_count: 0
    .wavefront_size: 64
  - .agpr_count:     0
    .args:
      - .offset:         0
        .size:           4
        .value_kind:     by_value
      - .offset:         4
        .size:           4
        .value_kind:     by_value
      - .address_space:  global
        .offset:         8
        .size:           8
        .value_kind:     global_buffer
      - .offset:         16
        .size:           4
        .value_kind:     by_value
      - .offset:         20
        .size:           4
        .value_kind:     by_value
      - .offset:         24
        .size:           8
        .value_kind:     by_value
    .group_segment_fixed_size: 28
    .kernarg_segment_align: 8
    .kernarg_segment_size: 32
    .language:       OpenCL C
    .language_version:
      - 2
      - 0
    .max_flat_workgroup_size: 64
    .name:           _ZN9rocsolver6v33100L18trti2_kernel_smallILi3EfPfEEv13rocblas_fill_17rocblas_diagonal_T1_iil
    .private_segment_fixed_size: 0
    .sgpr_count:     20
    .sgpr_spill_count: 0
    .symbol:         _ZN9rocsolver6v33100L18trti2_kernel_smallILi3EfPfEEv13rocblas_fill_17rocblas_diagonal_T1_iil.kd
    .uniform_work_group_size: 1
    .uses_dynamic_stack: false
    .vgpr_count:     18
    .vgpr_spill_count: 0
    .wavefront_size: 64
  - .agpr_count:     0
    .args:
      - .offset:         0
        .size:           4
        .value_kind:     by_value
      - .offset:         4
        .size:           4
        .value_kind:     by_value
      - .address_space:  global
        .offset:         8
        .size:           8
        .value_kind:     global_buffer
      - .offset:         16
        .size:           4
        .value_kind:     by_value
      - .offset:         20
        .size:           4
        .value_kind:     by_value
      - .offset:         24
        .size:           8
        .value_kind:     by_value
    .group_segment_fixed_size: 32
    .kernarg_segment_align: 8
    .kernarg_segment_size: 32
    .language:       OpenCL C
    .language_version:
      - 2
      - 0
    .max_flat_workgroup_size: 64
    .name:           _ZN9rocsolver6v33100L18trti2_kernel_smallILi4EfPfEEv13rocblas_fill_17rocblas_diagonal_T1_iil
    .private_segment_fixed_size: 0
    .sgpr_count:     20
    .sgpr_spill_count: 0
    .symbol:         _ZN9rocsolver6v33100L18trti2_kernel_smallILi4EfPfEEv13rocblas_fill_17rocblas_diagonal_T1_iil.kd
    .uniform_work_group_size: 1
    .uses_dynamic_stack: false
    .vgpr_count:     30
    .vgpr_spill_count: 0
    .wavefront_size: 64
  - .agpr_count:     0
    .args:
      - .offset:         0
        .size:           4
        .value_kind:     by_value
      - .offset:         4
        .size:           4
        .value_kind:     by_value
      - .address_space:  global
        .offset:         8
        .size:           8
        .value_kind:     global_buffer
      - .offset:         16
        .size:           4
        .value_kind:     by_value
      - .offset:         20
        .size:           4
        .value_kind:     by_value
      - .offset:         24
        .size:           8
        .value_kind:     by_value
    .group_segment_fixed_size: 52
    .kernarg_segment_align: 8
    .kernarg_segment_size: 32
    .language:       OpenCL C
    .language_version:
      - 2
      - 0
    .max_flat_workgroup_size: 64
    .name:           _ZN9rocsolver6v33100L18trti2_kernel_smallILi5EfPfEEv13rocblas_fill_17rocblas_diagonal_T1_iil
    .private_segment_fixed_size: 0
    .sgpr_count:     24
    .sgpr_spill_count: 0
    .symbol:         _ZN9rocsolver6v33100L18trti2_kernel_smallILi5EfPfEEv13rocblas_fill_17rocblas_diagonal_T1_iil.kd
    .uniform_work_group_size: 1
    .uses_dynamic_stack: false
    .vgpr_count:     35
    .vgpr_spill_count: 0
    .wavefront_size: 64
  - .agpr_count:     0
    .args:
      - .offset:         0
        .size:           4
        .value_kind:     by_value
      - .offset:         4
        .size:           4
        .value_kind:     by_value
      - .address_space:  global
        .offset:         8
        .size:           8
        .value_kind:     global_buffer
      - .offset:         16
        .size:           4
        .value_kind:     by_value
      - .offset:         20
        .size:           4
        .value_kind:     by_value
      - .offset:         24
        .size:           8
        .value_kind:     by_value
    .group_segment_fixed_size: 56
    .kernarg_segment_align: 8
    .kernarg_segment_size: 32
    .language:       OpenCL C
    .language_version:
      - 2
      - 0
    .max_flat_workgroup_size: 64
    .name:           _ZN9rocsolver6v33100L18trti2_kernel_smallILi6EfPfEEv13rocblas_fill_17rocblas_diagonal_T1_iil
    .private_segment_fixed_size: 0
    .sgpr_count:     24
    .sgpr_spill_count: 0
    .symbol:         _ZN9rocsolver6v33100L18trti2_kernel_smallILi6EfPfEEv13rocblas_fill_17rocblas_diagonal_T1_iil.kd
    .uniform_work_group_size: 1
    .uses_dynamic_stack: false
    .vgpr_count:     40
    .vgpr_spill_count: 0
    .wavefront_size: 64
  - .agpr_count:     0
    .args:
      - .offset:         0
        .size:           4
        .value_kind:     by_value
      - .offset:         4
        .size:           4
        .value_kind:     by_value
      - .address_space:  global
        .offset:         8
        .size:           8
        .value_kind:     global_buffer
      - .offset:         16
        .size:           4
        .value_kind:     by_value
      - .offset:         20
        .size:           4
        .value_kind:     by_value
      - .offset:         24
        .size:           8
        .value_kind:     by_value
    .group_segment_fixed_size: 60
    .kernarg_segment_align: 8
    .kernarg_segment_size: 32
    .language:       OpenCL C
    .language_version:
      - 2
      - 0
    .max_flat_workgroup_size: 64
    .name:           _ZN9rocsolver6v33100L18trti2_kernel_smallILi7EfPfEEv13rocblas_fill_17rocblas_diagonal_T1_iil
    .private_segment_fixed_size: 0
    .sgpr_count:     28
    .sgpr_spill_count: 0
    .symbol:         _ZN9rocsolver6v33100L18trti2_kernel_smallILi7EfPfEEv13rocblas_fill_17rocblas_diagonal_T1_iil.kd
    .uniform_work_group_size: 1
    .uses_dynamic_stack: false
    .vgpr_count:     43
    .vgpr_spill_count: 0
    .wavefront_size: 64
  - .agpr_count:     0
    .args:
      - .offset:         0
        .size:           4
        .value_kind:     by_value
      - .offset:         4
        .size:           4
        .value_kind:     by_value
      - .address_space:  global
        .offset:         8
        .size:           8
        .value_kind:     global_buffer
      - .offset:         16
        .size:           4
        .value_kind:     by_value
      - .offset:         20
        .size:           4
        .value_kind:     by_value
      - .offset:         24
        .size:           8
        .value_kind:     by_value
    .group_segment_fixed_size: 64
    .kernarg_segment_align: 8
    .kernarg_segment_size: 32
    .language:       OpenCL C
    .language_version:
      - 2
      - 0
    .max_flat_workgroup_size: 64
    .name:           _ZN9rocsolver6v33100L18trti2_kernel_smallILi8EfPfEEv13rocblas_fill_17rocblas_diagonal_T1_iil
    .private_segment_fixed_size: 0
    .sgpr_count:     28
    .sgpr_spill_count: 0
    .symbol:         _ZN9rocsolver6v33100L18trti2_kernel_smallILi8EfPfEEv13rocblas_fill_17rocblas_diagonal_T1_iil.kd
    .uniform_work_group_size: 1
    .uses_dynamic_stack: false
    .vgpr_count:     48
    .vgpr_spill_count: 0
    .wavefront_size: 64
  - .agpr_count:     0
    .args:
      - .offset:         0
        .size:           4
        .value_kind:     by_value
      - .offset:         4
        .size:           4
        .value_kind:     by_value
      - .address_space:  global
        .offset:         8
        .size:           8
        .value_kind:     global_buffer
      - .offset:         16
        .size:           4
        .value_kind:     by_value
      - .offset:         20
        .size:           4
        .value_kind:     by_value
      - .offset:         24
        .size:           8
        .value_kind:     by_value
    .group_segment_fixed_size: 84
    .kernarg_segment_align: 8
    .kernarg_segment_size: 32
    .language:       OpenCL C
    .language_version:
      - 2
      - 0
    .max_flat_workgroup_size: 64
    .name:           _ZN9rocsolver6v33100L18trti2_kernel_smallILi9EfPfEEv13rocblas_fill_17rocblas_diagonal_T1_iil
    .private_segment_fixed_size: 0
    .sgpr_count:     32
    .sgpr_spill_count: 0
    .symbol:         _ZN9rocsolver6v33100L18trti2_kernel_smallILi9EfPfEEv13rocblas_fill_17rocblas_diagonal_T1_iil.kd
    .uniform_work_group_size: 1
    .uses_dynamic_stack: false
    .vgpr_count:     56
    .vgpr_spill_count: 0
    .wavefront_size: 64
  - .agpr_count:     0
    .args:
      - .offset:         0
        .size:           4
        .value_kind:     by_value
      - .offset:         4
        .size:           4
        .value_kind:     by_value
      - .address_space:  global
        .offset:         8
        .size:           8
        .value_kind:     global_buffer
      - .offset:         16
        .size:           4
        .value_kind:     by_value
      - .offset:         20
        .size:           4
        .value_kind:     by_value
      - .offset:         24
        .size:           8
        .value_kind:     by_value
    .group_segment_fixed_size: 88
    .kernarg_segment_align: 8
    .kernarg_segment_size: 32
    .language:       OpenCL C
    .language_version:
      - 2
      - 0
    .max_flat_workgroup_size: 64
    .name:           _ZN9rocsolver6v33100L18trti2_kernel_smallILi10EfPfEEv13rocblas_fill_17rocblas_diagonal_T1_iil
    .private_segment_fixed_size: 0
    .sgpr_count:     32
    .sgpr_spill_count: 0
    .symbol:         _ZN9rocsolver6v33100L18trti2_kernel_smallILi10EfPfEEv13rocblas_fill_17rocblas_diagonal_T1_iil.kd
    .uniform_work_group_size: 1
    .uses_dynamic_stack: false
    .vgpr_count:     60
    .vgpr_spill_count: 0
    .wavefront_size: 64
  - .agpr_count:     0
    .args:
      - .offset:         0
        .size:           4
        .value_kind:     by_value
      - .offset:         4
        .size:           4
        .value_kind:     by_value
      - .address_space:  global
        .offset:         8
        .size:           8
        .value_kind:     global_buffer
      - .offset:         16
        .size:           4
        .value_kind:     by_value
      - .offset:         20
        .size:           4
        .value_kind:     by_value
      - .offset:         24
        .size:           8
        .value_kind:     by_value
    .group_segment_fixed_size: 92
    .kernarg_segment_align: 8
    .kernarg_segment_size: 32
    .language:       OpenCL C
    .language_version:
      - 2
      - 0
    .max_flat_workgroup_size: 64
    .name:           _ZN9rocsolver6v33100L18trti2_kernel_smallILi11EfPfEEv13rocblas_fill_17rocblas_diagonal_T1_iil
    .private_segment_fixed_size: 0
    .sgpr_count:     36
    .sgpr_spill_count: 0
    .symbol:         _ZN9rocsolver6v33100L18trti2_kernel_smallILi11EfPfEEv13rocblas_fill_17rocblas_diagonal_T1_iil.kd
    .uniform_work_group_size: 1
    .uses_dynamic_stack: false
    .vgpr_count:     64
    .vgpr_spill_count: 0
    .wavefront_size: 64
  - .agpr_count:     0
    .args:
      - .offset:         0
        .size:           4
        .value_kind:     by_value
      - .offset:         4
        .size:           4
        .value_kind:     by_value
      - .address_space:  global
        .offset:         8
        .size:           8
        .value_kind:     global_buffer
      - .offset:         16
        .size:           4
        .value_kind:     by_value
      - .offset:         20
        .size:           4
        .value_kind:     by_value
      - .offset:         24
        .size:           8
        .value_kind:     by_value
    .group_segment_fixed_size: 96
    .kernarg_segment_align: 8
    .kernarg_segment_size: 32
    .language:       OpenCL C
    .language_version:
      - 2
      - 0
    .max_flat_workgroup_size: 64
    .name:           _ZN9rocsolver6v33100L18trti2_kernel_smallILi12EfPfEEv13rocblas_fill_17rocblas_diagonal_T1_iil
    .private_segment_fixed_size: 0
    .sgpr_count:     36
    .sgpr_spill_count: 0
    .symbol:         _ZN9rocsolver6v33100L18trti2_kernel_smallILi12EfPfEEv13rocblas_fill_17rocblas_diagonal_T1_iil.kd
    .uniform_work_group_size: 1
    .uses_dynamic_stack: false
    .vgpr_count:     64
    .vgpr_spill_count: 0
    .wavefront_size: 64
  - .agpr_count:     0
    .args:
      - .offset:         0
        .size:           4
        .value_kind:     by_value
      - .offset:         4
        .size:           4
        .value_kind:     by_value
      - .address_space:  global
        .offset:         8
        .size:           8
        .value_kind:     global_buffer
      - .offset:         16
        .size:           4
        .value_kind:     by_value
      - .offset:         20
        .size:           4
        .value_kind:     by_value
      - .offset:         24
        .size:           8
        .value_kind:     by_value
    .group_segment_fixed_size: 116
    .kernarg_segment_align: 8
    .kernarg_segment_size: 32
    .language:       OpenCL C
    .language_version:
      - 2
      - 0
    .max_flat_workgroup_size: 64
    .name:           _ZN9rocsolver6v33100L18trti2_kernel_smallILi13EfPfEEv13rocblas_fill_17rocblas_diagonal_T1_iil
    .private_segment_fixed_size: 0
    .sgpr_count:     48
    .sgpr_spill_count: 0
    .symbol:         _ZN9rocsolver6v33100L18trti2_kernel_smallILi13EfPfEEv13rocblas_fill_17rocblas_diagonal_T1_iil.kd
    .uniform_work_group_size: 1
    .uses_dynamic_stack: false
    .vgpr_count:     75
    .vgpr_spill_count: 0
    .wavefront_size: 64
  - .agpr_count:     0
    .args:
      - .offset:         0
        .size:           4
        .value_kind:     by_value
      - .offset:         4
        .size:           4
        .value_kind:     by_value
      - .address_space:  global
        .offset:         8
        .size:           8
        .value_kind:     global_buffer
      - .offset:         16
        .size:           4
        .value_kind:     by_value
      - .offset:         20
        .size:           4
        .value_kind:     by_value
      - .offset:         24
        .size:           8
        .value_kind:     by_value
    .group_segment_fixed_size: 120
    .kernarg_segment_align: 8
    .kernarg_segment_size: 32
    .language:       OpenCL C
    .language_version:
      - 2
      - 0
    .max_flat_workgroup_size: 64
    .name:           _ZN9rocsolver6v33100L18trti2_kernel_smallILi14EfPfEEv13rocblas_fill_17rocblas_diagonal_T1_iil
    .private_segment_fixed_size: 0
    .sgpr_count:     48
    .sgpr_spill_count: 0
    .symbol:         _ZN9rocsolver6v33100L18trti2_kernel_smallILi14EfPfEEv13rocblas_fill_17rocblas_diagonal_T1_iil.kd
    .uniform_work_group_size: 1
    .uses_dynamic_stack: false
    .vgpr_count:     78
    .vgpr_spill_count: 0
    .wavefront_size: 64
  - .agpr_count:     0
    .args:
      - .offset:         0
        .size:           4
        .value_kind:     by_value
      - .offset:         4
        .size:           4
        .value_kind:     by_value
      - .address_space:  global
        .offset:         8
        .size:           8
        .value_kind:     global_buffer
      - .offset:         16
        .size:           4
        .value_kind:     by_value
      - .offset:         20
        .size:           4
        .value_kind:     by_value
      - .offset:         24
        .size:           8
        .value_kind:     by_value
    .group_segment_fixed_size: 124
    .kernarg_segment_align: 8
    .kernarg_segment_size: 32
    .language:       OpenCL C
    .language_version:
      - 2
      - 0
    .max_flat_workgroup_size: 64
    .name:           _ZN9rocsolver6v33100L18trti2_kernel_smallILi15EfPfEEv13rocblas_fill_17rocblas_diagonal_T1_iil
    .private_segment_fixed_size: 0
    .sgpr_count:     48
    .sgpr_spill_count: 0
    .symbol:         _ZN9rocsolver6v33100L18trti2_kernel_smallILi15EfPfEEv13rocblas_fill_17rocblas_diagonal_T1_iil.kd
    .uniform_work_group_size: 1
    .uses_dynamic_stack: false
    .vgpr_count:     79
    .vgpr_spill_count: 0
    .wavefront_size: 64
  - .agpr_count:     0
    .args:
      - .offset:         0
        .size:           4
        .value_kind:     by_value
      - .offset:         4
        .size:           4
        .value_kind:     by_value
      - .address_space:  global
        .offset:         8
        .size:           8
        .value_kind:     global_buffer
      - .offset:         16
        .size:           4
        .value_kind:     by_value
      - .offset:         20
        .size:           4
        .value_kind:     by_value
      - .offset:         24
        .size:           8
        .value_kind:     by_value
    .group_segment_fixed_size: 128
    .kernarg_segment_align: 8
    .kernarg_segment_size: 32
    .language:       OpenCL C
    .language_version:
      - 2
      - 0
    .max_flat_workgroup_size: 64
    .name:           _ZN9rocsolver6v33100L18trti2_kernel_smallILi16EfPfEEv13rocblas_fill_17rocblas_diagonal_T1_iil
    .private_segment_fixed_size: 0
    .sgpr_count:     48
    .sgpr_spill_count: 0
    .symbol:         _ZN9rocsolver6v33100L18trti2_kernel_smallILi16EfPfEEv13rocblas_fill_17rocblas_diagonal_T1_iil.kd
    .uniform_work_group_size: 1
    .uses_dynamic_stack: false
    .vgpr_count:     80
    .vgpr_spill_count: 0
    .wavefront_size: 64
  - .agpr_count:     0
    .args:
      - .offset:         0
        .size:           4
        .value_kind:     by_value
      - .offset:         4
        .size:           4
        .value_kind:     by_value
      - .address_space:  global
        .offset:         8
        .size:           8
        .value_kind:     global_buffer
      - .offset:         16
        .size:           4
        .value_kind:     by_value
      - .offset:         20
        .size:           4
        .value_kind:     by_value
      - .offset:         24
        .size:           8
        .value_kind:     by_value
    .group_segment_fixed_size: 148
    .kernarg_segment_align: 8
    .kernarg_segment_size: 32
    .language:       OpenCL C
    .language_version:
      - 2
      - 0
    .max_flat_workgroup_size: 64
    .name:           _ZN9rocsolver6v33100L18trti2_kernel_smallILi17EfPfEEv13rocblas_fill_17rocblas_diagonal_T1_iil
    .private_segment_fixed_size: 80
    .sgpr_count:     24
    .sgpr_spill_count: 0
    .symbol:         _ZN9rocsolver6v33100L18trti2_kernel_smallILi17EfPfEEv13rocblas_fill_17rocblas_diagonal_T1_iil.kd
    .uniform_work_group_size: 1
    .uses_dynamic_stack: false
    .vgpr_count:     54
    .vgpr_spill_count: 0
    .wavefront_size: 64
  - .agpr_count:     0
    .args:
      - .offset:         0
        .size:           4
        .value_kind:     by_value
      - .offset:         4
        .size:           4
        .value_kind:     by_value
      - .address_space:  global
        .offset:         8
        .size:           8
        .value_kind:     global_buffer
      - .offset:         16
        .size:           4
        .value_kind:     by_value
      - .offset:         20
        .size:           4
        .value_kind:     by_value
      - .offset:         24
        .size:           8
        .value_kind:     by_value
    .group_segment_fixed_size: 152
    .kernarg_segment_align: 8
    .kernarg_segment_size: 32
    .language:       OpenCL C
    .language_version:
      - 2
      - 0
    .max_flat_workgroup_size: 64
    .name:           _ZN9rocsolver6v33100L18trti2_kernel_smallILi18EfPfEEv13rocblas_fill_17rocblas_diagonal_T1_iil
    .private_segment_fixed_size: 80
    .sgpr_count:     24
    .sgpr_spill_count: 0
    .symbol:         _ZN9rocsolver6v33100L18trti2_kernel_smallILi18EfPfEEv13rocblas_fill_17rocblas_diagonal_T1_iil.kd
    .uniform_work_group_size: 1
    .uses_dynamic_stack: false
    .vgpr_count:     57
    .vgpr_spill_count: 0
    .wavefront_size: 64
  - .agpr_count:     0
    .args:
      - .offset:         0
        .size:           4
        .value_kind:     by_value
      - .offset:         4
        .size:           4
        .value_kind:     by_value
      - .address_space:  global
        .offset:         8
        .size:           8
        .value_kind:     global_buffer
      - .offset:         16
        .size:           4
        .value_kind:     by_value
      - .offset:         20
        .size:           4
        .value_kind:     by_value
      - .offset:         24
        .size:           8
        .value_kind:     by_value
    .group_segment_fixed_size: 156
    .kernarg_segment_align: 8
    .kernarg_segment_size: 32
    .language:       OpenCL C
    .language_version:
      - 2
      - 0
    .max_flat_workgroup_size: 64
    .name:           _ZN9rocsolver6v33100L18trti2_kernel_smallILi19EfPfEEv13rocblas_fill_17rocblas_diagonal_T1_iil
    .private_segment_fixed_size: 80
    .sgpr_count:     24
    .sgpr_spill_count: 0
    .symbol:         _ZN9rocsolver6v33100L18trti2_kernel_smallILi19EfPfEEv13rocblas_fill_17rocblas_diagonal_T1_iil.kd
    .uniform_work_group_size: 1
    .uses_dynamic_stack: false
    .vgpr_count:     60
    .vgpr_spill_count: 0
    .wavefront_size: 64
  - .agpr_count:     0
    .args:
      - .offset:         0
        .size:           4
        .value_kind:     by_value
      - .offset:         4
        .size:           4
        .value_kind:     by_value
      - .address_space:  global
        .offset:         8
        .size:           8
        .value_kind:     global_buffer
      - .offset:         16
        .size:           4
        .value_kind:     by_value
      - .offset:         20
        .size:           4
        .value_kind:     by_value
      - .offset:         24
        .size:           8
        .value_kind:     by_value
    .group_segment_fixed_size: 160
    .kernarg_segment_align: 8
    .kernarg_segment_size: 32
    .language:       OpenCL C
    .language_version:
      - 2
      - 0
    .max_flat_workgroup_size: 64
    .name:           _ZN9rocsolver6v33100L18trti2_kernel_smallILi20EfPfEEv13rocblas_fill_17rocblas_diagonal_T1_iil
    .private_segment_fixed_size: 96
    .sgpr_count:     24
    .sgpr_spill_count: 0
    .symbol:         _ZN9rocsolver6v33100L18trti2_kernel_smallILi20EfPfEEv13rocblas_fill_17rocblas_diagonal_T1_iil.kd
    .uniform_work_group_size: 1
    .uses_dynamic_stack: false
    .vgpr_count:     61
    .vgpr_spill_count: 0
    .wavefront_size: 64
  - .agpr_count:     0
    .args:
      - .offset:         0
        .size:           4
        .value_kind:     by_value
      - .offset:         4
        .size:           4
        .value_kind:     by_value
      - .address_space:  global
        .offset:         8
        .size:           8
        .value_kind:     global_buffer
      - .offset:         16
        .size:           4
        .value_kind:     by_value
      - .offset:         20
        .size:           4
        .value_kind:     by_value
      - .offset:         24
        .size:           8
        .value_kind:     by_value
    .group_segment_fixed_size: 180
    .kernarg_segment_align: 8
    .kernarg_segment_size: 32
    .language:       OpenCL C
    .language_version:
      - 2
      - 0
    .max_flat_workgroup_size: 64
    .name:           _ZN9rocsolver6v33100L18trti2_kernel_smallILi21EfPfEEv13rocblas_fill_17rocblas_diagonal_T1_iil
    .private_segment_fixed_size: 96
    .sgpr_count:     24
    .sgpr_spill_count: 0
    .symbol:         _ZN9rocsolver6v33100L18trti2_kernel_smallILi21EfPfEEv13rocblas_fill_17rocblas_diagonal_T1_iil.kd
    .uniform_work_group_size: 1
    .uses_dynamic_stack: false
    .vgpr_count:     61
    .vgpr_spill_count: 0
    .wavefront_size: 64
  - .agpr_count:     0
    .args:
      - .offset:         0
        .size:           4
        .value_kind:     by_value
      - .offset:         4
        .size:           4
        .value_kind:     by_value
      - .address_space:  global
        .offset:         8
        .size:           8
        .value_kind:     global_buffer
      - .offset:         16
        .size:           4
        .value_kind:     by_value
      - .offset:         20
        .size:           4
        .value_kind:     by_value
      - .offset:         24
        .size:           8
        .value_kind:     by_value
    .group_segment_fixed_size: 184
    .kernarg_segment_align: 8
    .kernarg_segment_size: 32
    .language:       OpenCL C
    .language_version:
      - 2
      - 0
    .max_flat_workgroup_size: 64
    .name:           _ZN9rocsolver6v33100L18trti2_kernel_smallILi22EfPfEEv13rocblas_fill_17rocblas_diagonal_T1_iil
    .private_segment_fixed_size: 96
    .sgpr_count:     24
    .sgpr_spill_count: 0
    .symbol:         _ZN9rocsolver6v33100L18trti2_kernel_smallILi22EfPfEEv13rocblas_fill_17rocblas_diagonal_T1_iil.kd
    .uniform_work_group_size: 1
    .uses_dynamic_stack: false
    .vgpr_count:     62
    .vgpr_spill_count: 0
    .wavefront_size: 64
  - .agpr_count:     0
    .args:
      - .offset:         0
        .size:           4
        .value_kind:     by_value
      - .offset:         4
        .size:           4
        .value_kind:     by_value
      - .address_space:  global
        .offset:         8
        .size:           8
        .value_kind:     global_buffer
      - .offset:         16
        .size:           4
        .value_kind:     by_value
      - .offset:         20
        .size:           4
        .value_kind:     by_value
      - .offset:         24
        .size:           8
        .value_kind:     by_value
    .group_segment_fixed_size: 188
    .kernarg_segment_align: 8
    .kernarg_segment_size: 32
    .language:       OpenCL C
    .language_version:
      - 2
      - 0
    .max_flat_workgroup_size: 64
    .name:           _ZN9rocsolver6v33100L18trti2_kernel_smallILi23EfPfEEv13rocblas_fill_17rocblas_diagonal_T1_iil
    .private_segment_fixed_size: 96
    .sgpr_count:     24
    .sgpr_spill_count: 0
    .symbol:         _ZN9rocsolver6v33100L18trti2_kernel_smallILi23EfPfEEv13rocblas_fill_17rocblas_diagonal_T1_iil.kd
    .uniform_work_group_size: 1
    .uses_dynamic_stack: false
    .vgpr_count:     69
    .vgpr_spill_count: 0
    .wavefront_size: 64
  - .agpr_count:     0
    .args:
      - .offset:         0
        .size:           4
        .value_kind:     by_value
      - .offset:         4
        .size:           4
        .value_kind:     by_value
      - .address_space:  global
        .offset:         8
        .size:           8
        .value_kind:     global_buffer
      - .offset:         16
        .size:           4
        .value_kind:     by_value
      - .offset:         20
        .size:           4
        .value_kind:     by_value
      - .offset:         24
        .size:           8
        .value_kind:     by_value
    .group_segment_fixed_size: 192
    .kernarg_segment_align: 8
    .kernarg_segment_size: 32
    .language:       OpenCL C
    .language_version:
      - 2
      - 0
    .max_flat_workgroup_size: 64
    .name:           _ZN9rocsolver6v33100L18trti2_kernel_smallILi24EfPfEEv13rocblas_fill_17rocblas_diagonal_T1_iil
    .private_segment_fixed_size: 112
    .sgpr_count:     24
    .sgpr_spill_count: 0
    .symbol:         _ZN9rocsolver6v33100L18trti2_kernel_smallILi24EfPfEEv13rocblas_fill_17rocblas_diagonal_T1_iil.kd
    .uniform_work_group_size: 1
    .uses_dynamic_stack: false
    .vgpr_count:     69
    .vgpr_spill_count: 0
    .wavefront_size: 64
  - .agpr_count:     0
    .args:
      - .offset:         0
        .size:           4
        .value_kind:     by_value
      - .offset:         4
        .size:           4
        .value_kind:     by_value
      - .address_space:  global
        .offset:         8
        .size:           8
        .value_kind:     global_buffer
      - .offset:         16
        .size:           4
        .value_kind:     by_value
      - .offset:         20
        .size:           4
        .value_kind:     by_value
      - .offset:         24
        .size:           8
        .value_kind:     by_value
    .group_segment_fixed_size: 212
    .kernarg_segment_align: 8
    .kernarg_segment_size: 32
    .language:       OpenCL C
    .language_version:
      - 2
      - 0
    .max_flat_workgroup_size: 64
    .name:           _ZN9rocsolver6v33100L18trti2_kernel_smallILi25EfPfEEv13rocblas_fill_17rocblas_diagonal_T1_iil
    .private_segment_fixed_size: 112
    .sgpr_count:     24
    .sgpr_spill_count: 0
    .symbol:         _ZN9rocsolver6v33100L18trti2_kernel_smallILi25EfPfEEv13rocblas_fill_17rocblas_diagonal_T1_iil.kd
    .uniform_work_group_size: 1
    .uses_dynamic_stack: false
    .vgpr_count:     69
    .vgpr_spill_count: 0
    .wavefront_size: 64
  - .agpr_count:     0
    .args:
      - .offset:         0
        .size:           4
        .value_kind:     by_value
      - .offset:         4
        .size:           4
        .value_kind:     by_value
      - .address_space:  global
        .offset:         8
        .size:           8
        .value_kind:     global_buffer
      - .offset:         16
        .size:           4
        .value_kind:     by_value
      - .offset:         20
        .size:           4
        .value_kind:     by_value
      - .offset:         24
        .size:           8
        .value_kind:     by_value
    .group_segment_fixed_size: 216
    .kernarg_segment_align: 8
    .kernarg_segment_size: 32
    .language:       OpenCL C
    .language_version:
      - 2
      - 0
    .max_flat_workgroup_size: 64
    .name:           _ZN9rocsolver6v33100L18trti2_kernel_smallILi26EfPfEEv13rocblas_fill_17rocblas_diagonal_T1_iil
    .private_segment_fixed_size: 112
    .sgpr_count:     24
    .sgpr_spill_count: 0
    .symbol:         _ZN9rocsolver6v33100L18trti2_kernel_smallILi26EfPfEEv13rocblas_fill_17rocblas_diagonal_T1_iil.kd
    .uniform_work_group_size: 1
    .uses_dynamic_stack: false
    .vgpr_count:     76
    .vgpr_spill_count: 0
    .wavefront_size: 64
  - .agpr_count:     0
    .args:
      - .offset:         0
        .size:           4
        .value_kind:     by_value
      - .offset:         4
        .size:           4
        .value_kind:     by_value
      - .address_space:  global
        .offset:         8
        .size:           8
        .value_kind:     global_buffer
      - .offset:         16
        .size:           4
        .value_kind:     by_value
      - .offset:         20
        .size:           4
        .value_kind:     by_value
      - .offset:         24
        .size:           8
        .value_kind:     by_value
    .group_segment_fixed_size: 220
    .kernarg_segment_align: 8
    .kernarg_segment_size: 32
    .language:       OpenCL C
    .language_version:
      - 2
      - 0
    .max_flat_workgroup_size: 64
    .name:           _ZN9rocsolver6v33100L18trti2_kernel_smallILi27EfPfEEv13rocblas_fill_17rocblas_diagonal_T1_iil
    .private_segment_fixed_size: 112
    .sgpr_count:     24
    .sgpr_spill_count: 0
    .symbol:         _ZN9rocsolver6v33100L18trti2_kernel_smallILi27EfPfEEv13rocblas_fill_17rocblas_diagonal_T1_iil.kd
    .uniform_work_group_size: 1
    .uses_dynamic_stack: false
    .vgpr_count:     77
    .vgpr_spill_count: 0
    .wavefront_size: 64
  - .agpr_count:     0
    .args:
      - .offset:         0
        .size:           4
        .value_kind:     by_value
      - .offset:         4
        .size:           4
        .value_kind:     by_value
      - .address_space:  global
        .offset:         8
        .size:           8
        .value_kind:     global_buffer
      - .offset:         16
        .size:           4
        .value_kind:     by_value
      - .offset:         20
        .size:           4
        .value_kind:     by_value
      - .offset:         24
        .size:           8
        .value_kind:     by_value
    .group_segment_fixed_size: 224
    .kernarg_segment_align: 8
    .kernarg_segment_size: 32
    .language:       OpenCL C
    .language_version:
      - 2
      - 0
    .max_flat_workgroup_size: 64
    .name:           _ZN9rocsolver6v33100L18trti2_kernel_smallILi28EfPfEEv13rocblas_fill_17rocblas_diagonal_T1_iil
    .private_segment_fixed_size: 128
    .sgpr_count:     24
    .sgpr_spill_count: 0
    .symbol:         _ZN9rocsolver6v33100L18trti2_kernel_smallILi28EfPfEEv13rocblas_fill_17rocblas_diagonal_T1_iil.kd
    .uniform_work_group_size: 1
    .uses_dynamic_stack: false
    .vgpr_count:     77
    .vgpr_spill_count: 0
    .wavefront_size: 64
  - .agpr_count:     0
    .args:
      - .offset:         0
        .size:           4
        .value_kind:     by_value
      - .offset:         4
        .size:           4
        .value_kind:     by_value
      - .address_space:  global
        .offset:         8
        .size:           8
        .value_kind:     global_buffer
      - .offset:         16
        .size:           4
        .value_kind:     by_value
      - .offset:         20
        .size:           4
        .value_kind:     by_value
      - .offset:         24
        .size:           8
        .value_kind:     by_value
    .group_segment_fixed_size: 244
    .kernarg_segment_align: 8
    .kernarg_segment_size: 32
    .language:       OpenCL C
    .language_version:
      - 2
      - 0
    .max_flat_workgroup_size: 64
    .name:           _ZN9rocsolver6v33100L18trti2_kernel_smallILi29EfPfEEv13rocblas_fill_17rocblas_diagonal_T1_iil
    .private_segment_fixed_size: 128
    .sgpr_count:     24
    .sgpr_spill_count: 0
    .symbol:         _ZN9rocsolver6v33100L18trti2_kernel_smallILi29EfPfEEv13rocblas_fill_17rocblas_diagonal_T1_iil.kd
    .uniform_work_group_size: 1
    .uses_dynamic_stack: false
    .vgpr_count:     79
    .vgpr_spill_count: 0
    .wavefront_size: 64
  - .agpr_count:     0
    .args:
      - .offset:         0
        .size:           4
        .value_kind:     by_value
      - .offset:         4
        .size:           4
        .value_kind:     by_value
      - .address_space:  global
        .offset:         8
        .size:           8
        .value_kind:     global_buffer
      - .offset:         16
        .size:           4
        .value_kind:     by_value
      - .offset:         20
        .size:           4
        .value_kind:     by_value
      - .offset:         24
        .size:           8
        .value_kind:     by_value
    .group_segment_fixed_size: 248
    .kernarg_segment_align: 8
    .kernarg_segment_size: 32
    .language:       OpenCL C
    .language_version:
      - 2
      - 0
    .max_flat_workgroup_size: 64
    .name:           _ZN9rocsolver6v33100L18trti2_kernel_smallILi30EfPfEEv13rocblas_fill_17rocblas_diagonal_T1_iil
    .private_segment_fixed_size: 128
    .sgpr_count:     24
    .sgpr_spill_count: 0
    .symbol:         _ZN9rocsolver6v33100L18trti2_kernel_smallILi30EfPfEEv13rocblas_fill_17rocblas_diagonal_T1_iil.kd
    .uniform_work_group_size: 1
    .uses_dynamic_stack: false
    .vgpr_count:     92
    .vgpr_spill_count: 0
    .wavefront_size: 64
  - .agpr_count:     0
    .args:
      - .offset:         0
        .size:           4
        .value_kind:     by_value
      - .offset:         4
        .size:           4
        .value_kind:     by_value
      - .address_space:  global
        .offset:         8
        .size:           8
        .value_kind:     global_buffer
      - .offset:         16
        .size:           4
        .value_kind:     by_value
      - .offset:         20
        .size:           4
        .value_kind:     by_value
      - .offset:         24
        .size:           8
        .value_kind:     by_value
    .group_segment_fixed_size: 252
    .kernarg_segment_align: 8
    .kernarg_segment_size: 32
    .language:       OpenCL C
    .language_version:
      - 2
      - 0
    .max_flat_workgroup_size: 64
    .name:           _ZN9rocsolver6v33100L18trti2_kernel_smallILi31EfPfEEv13rocblas_fill_17rocblas_diagonal_T1_iil
    .private_segment_fixed_size: 128
    .sgpr_count:     24
    .sgpr_spill_count: 0
    .symbol:         _ZN9rocsolver6v33100L18trti2_kernel_smallILi31EfPfEEv13rocblas_fill_17rocblas_diagonal_T1_iil.kd
    .uniform_work_group_size: 1
    .uses_dynamic_stack: false
    .vgpr_count:     93
    .vgpr_spill_count: 0
    .wavefront_size: 64
  - .agpr_count:     0
    .args:
      - .offset:         0
        .size:           4
        .value_kind:     by_value
      - .offset:         4
        .size:           4
        .value_kind:     by_value
      - .address_space:  global
        .offset:         8
        .size:           8
        .value_kind:     global_buffer
      - .offset:         16
        .size:           4
        .value_kind:     by_value
      - .offset:         20
        .size:           4
        .value_kind:     by_value
      - .offset:         24
        .size:           8
        .value_kind:     by_value
    .group_segment_fixed_size: 256
    .kernarg_segment_align: 8
    .kernarg_segment_size: 32
    .language:       OpenCL C
    .language_version:
      - 2
      - 0
    .max_flat_workgroup_size: 64
    .name:           _ZN9rocsolver6v33100L18trti2_kernel_smallILi32EfPfEEv13rocblas_fill_17rocblas_diagonal_T1_iil
    .private_segment_fixed_size: 144
    .sgpr_count:     24
    .sgpr_spill_count: 0
    .symbol:         _ZN9rocsolver6v33100L18trti2_kernel_smallILi32EfPfEEv13rocblas_fill_17rocblas_diagonal_T1_iil.kd
    .uniform_work_group_size: 1
    .uses_dynamic_stack: false
    .vgpr_count:     95
    .vgpr_spill_count: 0
    .wavefront_size: 64
  - .agpr_count:     0
    .args:
      - .offset:         0
        .size:           4
        .value_kind:     by_value
      - .offset:         4
        .size:           4
        .value_kind:     by_value
      - .address_space:  global
        .offset:         8
        .size:           8
        .value_kind:     global_buffer
      - .offset:         16
        .size:           4
        .value_kind:     by_value
      - .offset:         20
        .size:           4
        .value_kind:     by_value
      - .offset:         24
        .size:           8
        .value_kind:     by_value
    .group_segment_fixed_size: 276
    .kernarg_segment_align: 8
    .kernarg_segment_size: 32
    .language:       OpenCL C
    .language_version:
      - 2
      - 0
    .max_flat_workgroup_size: 64
    .name:           _ZN9rocsolver6v33100L18trti2_kernel_smallILi33EfPfEEv13rocblas_fill_17rocblas_diagonal_T1_iil
    .private_segment_fixed_size: 144
    .sgpr_count:     24
    .sgpr_spill_count: 0
    .symbol:         _ZN9rocsolver6v33100L18trti2_kernel_smallILi33EfPfEEv13rocblas_fill_17rocblas_diagonal_T1_iil.kd
    .uniform_work_group_size: 1
    .uses_dynamic_stack: false
    .vgpr_count:     93
    .vgpr_spill_count: 0
    .wavefront_size: 64
  - .agpr_count:     0
    .args:
      - .offset:         0
        .size:           4
        .value_kind:     by_value
      - .offset:         4
        .size:           4
        .value_kind:     by_value
      - .address_space:  global
        .offset:         8
        .size:           8
        .value_kind:     global_buffer
      - .offset:         16
        .size:           4
        .value_kind:     by_value
      - .offset:         20
        .size:           4
        .value_kind:     by_value
      - .offset:         24
        .size:           8
        .value_kind:     by_value
    .group_segment_fixed_size: 280
    .kernarg_segment_align: 8
    .kernarg_segment_size: 32
    .language:       OpenCL C
    .language_version:
      - 2
      - 0
    .max_flat_workgroup_size: 64
    .name:           _ZN9rocsolver6v33100L18trti2_kernel_smallILi34EfPfEEv13rocblas_fill_17rocblas_diagonal_T1_iil
    .private_segment_fixed_size: 144
    .sgpr_count:     24
    .sgpr_spill_count: 0
    .symbol:         _ZN9rocsolver6v33100L18trti2_kernel_smallILi34EfPfEEv13rocblas_fill_17rocblas_diagonal_T1_iil.kd
    .uniform_work_group_size: 1
    .uses_dynamic_stack: false
    .vgpr_count:     92
    .vgpr_spill_count: 0
    .wavefront_size: 64
  - .agpr_count:     0
    .args:
      - .offset:         0
        .size:           4
        .value_kind:     by_value
      - .offset:         4
        .size:           4
        .value_kind:     by_value
      - .address_space:  global
        .offset:         8
        .size:           8
        .value_kind:     global_buffer
      - .offset:         16
        .size:           4
        .value_kind:     by_value
      - .offset:         20
        .size:           4
        .value_kind:     by_value
      - .offset:         24
        .size:           8
        .value_kind:     by_value
    .group_segment_fixed_size: 284
    .kernarg_segment_align: 8
    .kernarg_segment_size: 32
    .language:       OpenCL C
    .language_version:
      - 2
      - 0
    .max_flat_workgroup_size: 64
    .name:           _ZN9rocsolver6v33100L18trti2_kernel_smallILi35EfPfEEv13rocblas_fill_17rocblas_diagonal_T1_iil
    .private_segment_fixed_size: 144
    .sgpr_count:     24
    .sgpr_spill_count: 0
    .symbol:         _ZN9rocsolver6v33100L18trti2_kernel_smallILi35EfPfEEv13rocblas_fill_17rocblas_diagonal_T1_iil.kd
    .uniform_work_group_size: 1
    .uses_dynamic_stack: false
    .vgpr_count:     94
    .vgpr_spill_count: 0
    .wavefront_size: 64
  - .agpr_count:     0
    .args:
      - .offset:         0
        .size:           4
        .value_kind:     by_value
      - .offset:         4
        .size:           4
        .value_kind:     by_value
      - .address_space:  global
        .offset:         8
        .size:           8
        .value_kind:     global_buffer
      - .offset:         16
        .size:           4
        .value_kind:     by_value
      - .offset:         20
        .size:           4
        .value_kind:     by_value
      - .offset:         24
        .size:           8
        .value_kind:     by_value
    .group_segment_fixed_size: 288
    .kernarg_segment_align: 8
    .kernarg_segment_size: 32
    .language:       OpenCL C
    .language_version:
      - 2
      - 0
    .max_flat_workgroup_size: 64
    .name:           _ZN9rocsolver6v33100L18trti2_kernel_smallILi36EfPfEEv13rocblas_fill_17rocblas_diagonal_T1_iil
    .private_segment_fixed_size: 160
    .sgpr_count:     24
    .sgpr_spill_count: 0
    .symbol:         _ZN9rocsolver6v33100L18trti2_kernel_smallILi36EfPfEEv13rocblas_fill_17rocblas_diagonal_T1_iil.kd
    .uniform_work_group_size: 1
    .uses_dynamic_stack: false
    .vgpr_count:     111
    .vgpr_spill_count: 0
    .wavefront_size: 64
  - .agpr_count:     0
    .args:
      - .offset:         0
        .size:           4
        .value_kind:     by_value
      - .offset:         4
        .size:           4
        .value_kind:     by_value
      - .address_space:  global
        .offset:         8
        .size:           8
        .value_kind:     global_buffer
      - .offset:         16
        .size:           4
        .value_kind:     by_value
      - .offset:         20
        .size:           4
        .value_kind:     by_value
      - .offset:         24
        .size:           8
        .value_kind:     by_value
    .group_segment_fixed_size: 308
    .kernarg_segment_align: 8
    .kernarg_segment_size: 32
    .language:       OpenCL C
    .language_version:
      - 2
      - 0
    .max_flat_workgroup_size: 64
    .name:           _ZN9rocsolver6v33100L18trti2_kernel_smallILi37EfPfEEv13rocblas_fill_17rocblas_diagonal_T1_iil
    .private_segment_fixed_size: 160
    .sgpr_count:     24
    .sgpr_spill_count: 0
    .symbol:         _ZN9rocsolver6v33100L18trti2_kernel_smallILi37EfPfEEv13rocblas_fill_17rocblas_diagonal_T1_iil.kd
    .uniform_work_group_size: 1
    .uses_dynamic_stack: false
    .vgpr_count:     114
    .vgpr_spill_count: 0
    .wavefront_size: 64
  - .agpr_count:     0
    .args:
      - .offset:         0
        .size:           4
        .value_kind:     by_value
      - .offset:         4
        .size:           4
        .value_kind:     by_value
      - .address_space:  global
        .offset:         8
        .size:           8
        .value_kind:     global_buffer
      - .offset:         16
        .size:           4
        .value_kind:     by_value
      - .offset:         20
        .size:           4
        .value_kind:     by_value
      - .offset:         24
        .size:           8
        .value_kind:     by_value
    .group_segment_fixed_size: 312
    .kernarg_segment_align: 8
    .kernarg_segment_size: 32
    .language:       OpenCL C
    .language_version:
      - 2
      - 0
    .max_flat_workgroup_size: 64
    .name:           _ZN9rocsolver6v33100L18trti2_kernel_smallILi38EfPfEEv13rocblas_fill_17rocblas_diagonal_T1_iil
    .private_segment_fixed_size: 160
    .sgpr_count:     24
    .sgpr_spill_count: 0
    .symbol:         _ZN9rocsolver6v33100L18trti2_kernel_smallILi38EfPfEEv13rocblas_fill_17rocblas_diagonal_T1_iil.kd
    .uniform_work_group_size: 1
    .uses_dynamic_stack: false
    .vgpr_count:     116
    .vgpr_spill_count: 0
    .wavefront_size: 64
  - .agpr_count:     0
    .args:
      - .offset:         0
        .size:           4
        .value_kind:     by_value
      - .offset:         4
        .size:           4
        .value_kind:     by_value
      - .address_space:  global
        .offset:         8
        .size:           8
        .value_kind:     global_buffer
      - .offset:         16
        .size:           4
        .value_kind:     by_value
      - .offset:         20
        .size:           4
        .value_kind:     by_value
      - .offset:         24
        .size:           8
        .value_kind:     by_value
    .group_segment_fixed_size: 316
    .kernarg_segment_align: 8
    .kernarg_segment_size: 32
    .language:       OpenCL C
    .language_version:
      - 2
      - 0
    .max_flat_workgroup_size: 64
    .name:           _ZN9rocsolver6v33100L18trti2_kernel_smallILi39EfPfEEv13rocblas_fill_17rocblas_diagonal_T1_iil
    .private_segment_fixed_size: 160
    .sgpr_count:     24
    .sgpr_spill_count: 0
    .symbol:         _ZN9rocsolver6v33100L18trti2_kernel_smallILi39EfPfEEv13rocblas_fill_17rocblas_diagonal_T1_iil.kd
    .uniform_work_group_size: 1
    .uses_dynamic_stack: false
    .vgpr_count:     119
    .vgpr_spill_count: 0
    .wavefront_size: 64
  - .agpr_count:     0
    .args:
      - .offset:         0
        .size:           4
        .value_kind:     by_value
      - .offset:         4
        .size:           4
        .value_kind:     by_value
      - .address_space:  global
        .offset:         8
        .size:           8
        .value_kind:     global_buffer
      - .offset:         16
        .size:           4
        .value_kind:     by_value
      - .offset:         20
        .size:           4
        .value_kind:     by_value
      - .offset:         24
        .size:           8
        .value_kind:     by_value
    .group_segment_fixed_size: 320
    .kernarg_segment_align: 8
    .kernarg_segment_size: 32
    .language:       OpenCL C
    .language_version:
      - 2
      - 0
    .max_flat_workgroup_size: 64
    .name:           _ZN9rocsolver6v33100L18trti2_kernel_smallILi40EfPfEEv13rocblas_fill_17rocblas_diagonal_T1_iil
    .private_segment_fixed_size: 176
    .sgpr_count:     24
    .sgpr_spill_count: 0
    .symbol:         _ZN9rocsolver6v33100L18trti2_kernel_smallILi40EfPfEEv13rocblas_fill_17rocblas_diagonal_T1_iil.kd
    .uniform_work_group_size: 1
    .uses_dynamic_stack: false
    .vgpr_count:     122
    .vgpr_spill_count: 0
    .wavefront_size: 64
  - .agpr_count:     0
    .args:
      - .offset:         0
        .size:           4
        .value_kind:     by_value
      - .offset:         4
        .size:           4
        .value_kind:     by_value
      - .address_space:  global
        .offset:         8
        .size:           8
        .value_kind:     global_buffer
      - .offset:         16
        .size:           4
        .value_kind:     by_value
      - .offset:         20
        .size:           4
        .value_kind:     by_value
      - .offset:         24
        .size:           8
        .value_kind:     by_value
    .group_segment_fixed_size: 340
    .kernarg_segment_align: 8
    .kernarg_segment_size: 32
    .language:       OpenCL C
    .language_version:
      - 2
      - 0
    .max_flat_workgroup_size: 64
    .name:           _ZN9rocsolver6v33100L18trti2_kernel_smallILi41EfPfEEv13rocblas_fill_17rocblas_diagonal_T1_iil
    .private_segment_fixed_size: 176
    .sgpr_count:     24
    .sgpr_spill_count: 0
    .symbol:         _ZN9rocsolver6v33100L18trti2_kernel_smallILi41EfPfEEv13rocblas_fill_17rocblas_diagonal_T1_iil.kd
    .uniform_work_group_size: 1
    .uses_dynamic_stack: false
    .vgpr_count:     124
    .vgpr_spill_count: 0
    .wavefront_size: 64
  - .agpr_count:     0
    .args:
      - .offset:         0
        .size:           4
        .value_kind:     by_value
      - .offset:         4
        .size:           4
        .value_kind:     by_value
      - .address_space:  global
        .offset:         8
        .size:           8
        .value_kind:     global_buffer
      - .offset:         16
        .size:           4
        .value_kind:     by_value
      - .offset:         20
        .size:           4
        .value_kind:     by_value
      - .offset:         24
        .size:           8
        .value_kind:     by_value
    .group_segment_fixed_size: 344
    .kernarg_segment_align: 8
    .kernarg_segment_size: 32
    .language:       OpenCL C
    .language_version:
      - 2
      - 0
    .max_flat_workgroup_size: 64
    .name:           _ZN9rocsolver6v33100L18trti2_kernel_smallILi42EfPfEEv13rocblas_fill_17rocblas_diagonal_T1_iil
    .private_segment_fixed_size: 176
    .sgpr_count:     24
    .sgpr_spill_count: 0
    .symbol:         _ZN9rocsolver6v33100L18trti2_kernel_smallILi42EfPfEEv13rocblas_fill_17rocblas_diagonal_T1_iil.kd
    .uniform_work_group_size: 1
    .uses_dynamic_stack: false
    .vgpr_count:     124
    .vgpr_spill_count: 0
    .wavefront_size: 64
  - .agpr_count:     0
    .args:
      - .offset:         0
        .size:           4
        .value_kind:     by_value
      - .offset:         4
        .size:           4
        .value_kind:     by_value
      - .address_space:  global
        .offset:         8
        .size:           8
        .value_kind:     global_buffer
      - .offset:         16
        .size:           4
        .value_kind:     by_value
      - .offset:         20
        .size:           4
        .value_kind:     by_value
      - .offset:         24
        .size:           8
        .value_kind:     by_value
    .group_segment_fixed_size: 348
    .kernarg_segment_align: 8
    .kernarg_segment_size: 32
    .language:       OpenCL C
    .language_version:
      - 2
      - 0
    .max_flat_workgroup_size: 64
    .name:           _ZN9rocsolver6v33100L18trti2_kernel_smallILi43EfPfEEv13rocblas_fill_17rocblas_diagonal_T1_iil
    .private_segment_fixed_size: 176
    .sgpr_count:     24
    .sgpr_spill_count: 0
    .symbol:         _ZN9rocsolver6v33100L18trti2_kernel_smallILi43EfPfEEv13rocblas_fill_17rocblas_diagonal_T1_iil.kd
    .uniform_work_group_size: 1
    .uses_dynamic_stack: false
    .vgpr_count:     125
    .vgpr_spill_count: 0
    .wavefront_size: 64
  - .agpr_count:     0
    .args:
      - .offset:         0
        .size:           4
        .value_kind:     by_value
      - .offset:         4
        .size:           4
        .value_kind:     by_value
      - .address_space:  global
        .offset:         8
        .size:           8
        .value_kind:     global_buffer
      - .offset:         16
        .size:           4
        .value_kind:     by_value
      - .offset:         20
        .size:           4
        .value_kind:     by_value
      - .offset:         24
        .size:           8
        .value_kind:     by_value
    .group_segment_fixed_size: 352
    .kernarg_segment_align: 8
    .kernarg_segment_size: 32
    .language:       OpenCL C
    .language_version:
      - 2
      - 0
    .max_flat_workgroup_size: 64
    .name:           _ZN9rocsolver6v33100L18trti2_kernel_smallILi44EfPfEEv13rocblas_fill_17rocblas_diagonal_T1_iil
    .private_segment_fixed_size: 192
    .sgpr_count:     24
    .sgpr_spill_count: 0
    .symbol:         _ZN9rocsolver6v33100L18trti2_kernel_smallILi44EfPfEEv13rocblas_fill_17rocblas_diagonal_T1_iil.kd
    .uniform_work_group_size: 1
    .uses_dynamic_stack: false
    .vgpr_count:     125
    .vgpr_spill_count: 0
    .wavefront_size: 64
  - .agpr_count:     0
    .args:
      - .offset:         0
        .size:           4
        .value_kind:     by_value
      - .offset:         4
        .size:           4
        .value_kind:     by_value
      - .address_space:  global
        .offset:         8
        .size:           8
        .value_kind:     global_buffer
      - .offset:         16
        .size:           4
        .value_kind:     by_value
      - .offset:         20
        .size:           4
        .value_kind:     by_value
      - .offset:         24
        .size:           8
        .value_kind:     by_value
    .group_segment_fixed_size: 372
    .kernarg_segment_align: 8
    .kernarg_segment_size: 32
    .language:       OpenCL C
    .language_version:
      - 2
      - 0
    .max_flat_workgroup_size: 64
    .name:           _ZN9rocsolver6v33100L18trti2_kernel_smallILi45EfPfEEv13rocblas_fill_17rocblas_diagonal_T1_iil
    .private_segment_fixed_size: 192
    .sgpr_count:     24
    .sgpr_spill_count: 0
    .symbol:         _ZN9rocsolver6v33100L18trti2_kernel_smallILi45EfPfEEv13rocblas_fill_17rocblas_diagonal_T1_iil.kd
    .uniform_work_group_size: 1
    .uses_dynamic_stack: false
    .vgpr_count:     125
    .vgpr_spill_count: 0
    .wavefront_size: 64
  - .agpr_count:     0
    .args:
      - .offset:         0
        .size:           4
        .value_kind:     by_value
      - .offset:         4
        .size:           4
        .value_kind:     by_value
      - .address_space:  global
        .offset:         8
        .size:           8
        .value_kind:     global_buffer
      - .offset:         16
        .size:           4
        .value_kind:     by_value
      - .offset:         20
        .size:           4
        .value_kind:     by_value
      - .offset:         24
        .size:           8
        .value_kind:     by_value
    .group_segment_fixed_size: 376
    .kernarg_segment_align: 8
    .kernarg_segment_size: 32
    .language:       OpenCL C
    .language_version:
      - 2
      - 0
    .max_flat_workgroup_size: 64
    .name:           _ZN9rocsolver6v33100L18trti2_kernel_smallILi46EfPfEEv13rocblas_fill_17rocblas_diagonal_T1_iil
    .private_segment_fixed_size: 192
    .sgpr_count:     24
    .sgpr_spill_count: 0
    .symbol:         _ZN9rocsolver6v33100L18trti2_kernel_smallILi46EfPfEEv13rocblas_fill_17rocblas_diagonal_T1_iil.kd
    .uniform_work_group_size: 1
    .uses_dynamic_stack: false
    .vgpr_count:     124
    .vgpr_spill_count: 0
    .wavefront_size: 64
  - .agpr_count:     0
    .args:
      - .offset:         0
        .size:           4
        .value_kind:     by_value
      - .offset:         4
        .size:           4
        .value_kind:     by_value
      - .address_space:  global
        .offset:         8
        .size:           8
        .value_kind:     global_buffer
      - .offset:         16
        .size:           4
        .value_kind:     by_value
      - .offset:         20
        .size:           4
        .value_kind:     by_value
      - .offset:         24
        .size:           8
        .value_kind:     by_value
    .group_segment_fixed_size: 380
    .kernarg_segment_align: 8
    .kernarg_segment_size: 32
    .language:       OpenCL C
    .language_version:
      - 2
      - 0
    .max_flat_workgroup_size: 64
    .name:           _ZN9rocsolver6v33100L18trti2_kernel_smallILi47EfPfEEv13rocblas_fill_17rocblas_diagonal_T1_iil
    .private_segment_fixed_size: 192
    .sgpr_count:     24
    .sgpr_spill_count: 0
    .symbol:         _ZN9rocsolver6v33100L18trti2_kernel_smallILi47EfPfEEv13rocblas_fill_17rocblas_diagonal_T1_iil.kd
    .uniform_work_group_size: 1
    .uses_dynamic_stack: false
    .vgpr_count:     124
    .vgpr_spill_count: 0
    .wavefront_size: 64
  - .agpr_count:     0
    .args:
      - .offset:         0
        .size:           4
        .value_kind:     by_value
      - .offset:         4
        .size:           4
        .value_kind:     by_value
      - .address_space:  global
        .offset:         8
        .size:           8
        .value_kind:     global_buffer
      - .offset:         16
        .size:           4
        .value_kind:     by_value
      - .offset:         20
        .size:           4
        .value_kind:     by_value
      - .offset:         24
        .size:           8
        .value_kind:     by_value
    .group_segment_fixed_size: 384
    .kernarg_segment_align: 8
    .kernarg_segment_size: 32
    .language:       OpenCL C
    .language_version:
      - 2
      - 0
    .max_flat_workgroup_size: 64
    .name:           _ZN9rocsolver6v33100L18trti2_kernel_smallILi48EfPfEEv13rocblas_fill_17rocblas_diagonal_T1_iil
    .private_segment_fixed_size: 208
    .sgpr_count:     24
    .sgpr_spill_count: 0
    .symbol:         _ZN9rocsolver6v33100L18trti2_kernel_smallILi48EfPfEEv13rocblas_fill_17rocblas_diagonal_T1_iil.kd
    .uniform_work_group_size: 1
    .uses_dynamic_stack: false
    .vgpr_count:     127
    .vgpr_spill_count: 0
    .wavefront_size: 64
  - .agpr_count:     0
    .args:
      - .offset:         0
        .size:           4
        .value_kind:     by_value
      - .offset:         4
        .size:           4
        .value_kind:     by_value
      - .address_space:  global
        .offset:         8
        .size:           8
        .value_kind:     global_buffer
      - .offset:         16
        .size:           4
        .value_kind:     by_value
      - .offset:         20
        .size:           4
        .value_kind:     by_value
      - .offset:         24
        .size:           8
        .value_kind:     by_value
    .group_segment_fixed_size: 404
    .kernarg_segment_align: 8
    .kernarg_segment_size: 32
    .language:       OpenCL C
    .language_version:
      - 2
      - 0
    .max_flat_workgroup_size: 64
    .name:           _ZN9rocsolver6v33100L18trti2_kernel_smallILi49EfPfEEv13rocblas_fill_17rocblas_diagonal_T1_iil
    .private_segment_fixed_size: 208
    .sgpr_count:     24
    .sgpr_spill_count: 0
    .symbol:         _ZN9rocsolver6v33100L18trti2_kernel_smallILi49EfPfEEv13rocblas_fill_17rocblas_diagonal_T1_iil.kd
    .uniform_work_group_size: 1
    .uses_dynamic_stack: false
    .vgpr_count:     149
    .vgpr_spill_count: 0
    .wavefront_size: 64
  - .agpr_count:     0
    .args:
      - .offset:         0
        .size:           4
        .value_kind:     by_value
      - .offset:         4
        .size:           4
        .value_kind:     by_value
      - .address_space:  global
        .offset:         8
        .size:           8
        .value_kind:     global_buffer
      - .offset:         16
        .size:           4
        .value_kind:     by_value
      - .offset:         20
        .size:           4
        .value_kind:     by_value
      - .offset:         24
        .size:           8
        .value_kind:     by_value
    .group_segment_fixed_size: 408
    .kernarg_segment_align: 8
    .kernarg_segment_size: 32
    .language:       OpenCL C
    .language_version:
      - 2
      - 0
    .max_flat_workgroup_size: 64
    .name:           _ZN9rocsolver6v33100L18trti2_kernel_smallILi50EfPfEEv13rocblas_fill_17rocblas_diagonal_T1_iil
    .private_segment_fixed_size: 208
    .sgpr_count:     24
    .sgpr_spill_count: 0
    .symbol:         _ZN9rocsolver6v33100L18trti2_kernel_smallILi50EfPfEEv13rocblas_fill_17rocblas_diagonal_T1_iil.kd
    .uniform_work_group_size: 1
    .uses_dynamic_stack: false
    .vgpr_count:     152
    .vgpr_spill_count: 0
    .wavefront_size: 64
  - .agpr_count:     0
    .args:
      - .offset:         0
        .size:           4
        .value_kind:     by_value
      - .offset:         4
        .size:           4
        .value_kind:     by_value
      - .address_space:  global
        .offset:         8
        .size:           8
        .value_kind:     global_buffer
      - .offset:         16
        .size:           4
        .value_kind:     by_value
      - .offset:         20
        .size:           4
        .value_kind:     by_value
      - .offset:         24
        .size:           8
        .value_kind:     by_value
    .group_segment_fixed_size: 412
    .kernarg_segment_align: 8
    .kernarg_segment_size: 32
    .language:       OpenCL C
    .language_version:
      - 2
      - 0
    .max_flat_workgroup_size: 64
    .name:           _ZN9rocsolver6v33100L18trti2_kernel_smallILi51EfPfEEv13rocblas_fill_17rocblas_diagonal_T1_iil
    .private_segment_fixed_size: 208
    .sgpr_count:     24
    .sgpr_spill_count: 0
    .symbol:         _ZN9rocsolver6v33100L18trti2_kernel_smallILi51EfPfEEv13rocblas_fill_17rocblas_diagonal_T1_iil.kd
    .uniform_work_group_size: 1
    .uses_dynamic_stack: false
    .vgpr_count:     155
    .vgpr_spill_count: 0
    .wavefront_size: 64
  - .agpr_count:     0
    .args:
      - .offset:         0
        .size:           4
        .value_kind:     by_value
      - .offset:         4
        .size:           4
        .value_kind:     by_value
      - .address_space:  global
        .offset:         8
        .size:           8
        .value_kind:     global_buffer
      - .offset:         16
        .size:           4
        .value_kind:     by_value
      - .offset:         20
        .size:           4
        .value_kind:     by_value
      - .offset:         24
        .size:           8
        .value_kind:     by_value
    .group_segment_fixed_size: 416
    .kernarg_segment_align: 8
    .kernarg_segment_size: 32
    .language:       OpenCL C
    .language_version:
      - 2
      - 0
    .max_flat_workgroup_size: 64
    .name:           _ZN9rocsolver6v33100L18trti2_kernel_smallILi52EfPfEEv13rocblas_fill_17rocblas_diagonal_T1_iil
    .private_segment_fixed_size: 224
    .sgpr_count:     24
    .sgpr_spill_count: 0
    .symbol:         _ZN9rocsolver6v33100L18trti2_kernel_smallILi52EfPfEEv13rocblas_fill_17rocblas_diagonal_T1_iil.kd
    .uniform_work_group_size: 1
    .uses_dynamic_stack: false
    .vgpr_count:     158
    .vgpr_spill_count: 0
    .wavefront_size: 64
  - .agpr_count:     0
    .args:
      - .offset:         0
        .size:           4
        .value_kind:     by_value
      - .offset:         4
        .size:           4
        .value_kind:     by_value
      - .address_space:  global
        .offset:         8
        .size:           8
        .value_kind:     global_buffer
      - .offset:         16
        .size:           4
        .value_kind:     by_value
      - .offset:         20
        .size:           4
        .value_kind:     by_value
      - .offset:         24
        .size:           8
        .value_kind:     by_value
    .group_segment_fixed_size: 436
    .kernarg_segment_align: 8
    .kernarg_segment_size: 32
    .language:       OpenCL C
    .language_version:
      - 2
      - 0
    .max_flat_workgroup_size: 64
    .name:           _ZN9rocsolver6v33100L18trti2_kernel_smallILi53EfPfEEv13rocblas_fill_17rocblas_diagonal_T1_iil
    .private_segment_fixed_size: 224
    .sgpr_count:     24
    .sgpr_spill_count: 0
    .symbol:         _ZN9rocsolver6v33100L18trti2_kernel_smallILi53EfPfEEv13rocblas_fill_17rocblas_diagonal_T1_iil.kd
    .uniform_work_group_size: 1
    .uses_dynamic_stack: false
    .vgpr_count:     161
    .vgpr_spill_count: 0
    .wavefront_size: 64
  - .agpr_count:     0
    .args:
      - .offset:         0
        .size:           4
        .value_kind:     by_value
      - .offset:         4
        .size:           4
        .value_kind:     by_value
      - .address_space:  global
        .offset:         8
        .size:           8
        .value_kind:     global_buffer
      - .offset:         16
        .size:           4
        .value_kind:     by_value
      - .offset:         20
        .size:           4
        .value_kind:     by_value
      - .offset:         24
        .size:           8
        .value_kind:     by_value
    .group_segment_fixed_size: 440
    .kernarg_segment_align: 8
    .kernarg_segment_size: 32
    .language:       OpenCL C
    .language_version:
      - 2
      - 0
    .max_flat_workgroup_size: 64
    .name:           _ZN9rocsolver6v33100L18trti2_kernel_smallILi54EfPfEEv13rocblas_fill_17rocblas_diagonal_T1_iil
    .private_segment_fixed_size: 224
    .sgpr_count:     24
    .sgpr_spill_count: 0
    .symbol:         _ZN9rocsolver6v33100L18trti2_kernel_smallILi54EfPfEEv13rocblas_fill_17rocblas_diagonal_T1_iil.kd
    .uniform_work_group_size: 1
    .uses_dynamic_stack: false
    .vgpr_count:     164
    .vgpr_spill_count: 0
    .wavefront_size: 64
  - .agpr_count:     0
    .args:
      - .offset:         0
        .size:           4
        .value_kind:     by_value
      - .offset:         4
        .size:           4
        .value_kind:     by_value
      - .address_space:  global
        .offset:         8
        .size:           8
        .value_kind:     global_buffer
      - .offset:         16
        .size:           4
        .value_kind:     by_value
      - .offset:         20
        .size:           4
        .value_kind:     by_value
      - .offset:         24
        .size:           8
        .value_kind:     by_value
    .group_segment_fixed_size: 444
    .kernarg_segment_align: 8
    .kernarg_segment_size: 32
    .language:       OpenCL C
    .language_version:
      - 2
      - 0
    .max_flat_workgroup_size: 64
    .name:           _ZN9rocsolver6v33100L18trti2_kernel_smallILi55EfPfEEv13rocblas_fill_17rocblas_diagonal_T1_iil
    .private_segment_fixed_size: 224
    .sgpr_count:     24
    .sgpr_spill_count: 0
    .symbol:         _ZN9rocsolver6v33100L18trti2_kernel_smallILi55EfPfEEv13rocblas_fill_17rocblas_diagonal_T1_iil.kd
    .uniform_work_group_size: 1
    .uses_dynamic_stack: false
    .vgpr_count:     164
    .vgpr_spill_count: 0
    .wavefront_size: 64
  - .agpr_count:     0
    .args:
      - .offset:         0
        .size:           4
        .value_kind:     by_value
      - .offset:         4
        .size:           4
        .value_kind:     by_value
      - .address_space:  global
        .offset:         8
        .size:           8
        .value_kind:     global_buffer
      - .offset:         16
        .size:           4
        .value_kind:     by_value
      - .offset:         20
        .size:           4
        .value_kind:     by_value
      - .offset:         24
        .size:           8
        .value_kind:     by_value
    .group_segment_fixed_size: 448
    .kernarg_segment_align: 8
    .kernarg_segment_size: 32
    .language:       OpenCL C
    .language_version:
      - 2
      - 0
    .max_flat_workgroup_size: 64
    .name:           _ZN9rocsolver6v33100L18trti2_kernel_smallILi56EfPfEEv13rocblas_fill_17rocblas_diagonal_T1_iil
    .private_segment_fixed_size: 240
    .sgpr_count:     24
    .sgpr_spill_count: 0
    .symbol:         _ZN9rocsolver6v33100L18trti2_kernel_smallILi56EfPfEEv13rocblas_fill_17rocblas_diagonal_T1_iil.kd
    .uniform_work_group_size: 1
    .uses_dynamic_stack: false
    .vgpr_count:     164
    .vgpr_spill_count: 0
    .wavefront_size: 64
  - .agpr_count:     0
    .args:
      - .offset:         0
        .size:           4
        .value_kind:     by_value
      - .offset:         4
        .size:           4
        .value_kind:     by_value
      - .address_space:  global
        .offset:         8
        .size:           8
        .value_kind:     global_buffer
      - .offset:         16
        .size:           4
        .value_kind:     by_value
      - .offset:         20
        .size:           4
        .value_kind:     by_value
      - .offset:         24
        .size:           8
        .value_kind:     by_value
    .group_segment_fixed_size: 468
    .kernarg_segment_align: 8
    .kernarg_segment_size: 32
    .language:       OpenCL C
    .language_version:
      - 2
      - 0
    .max_flat_workgroup_size: 64
    .name:           _ZN9rocsolver6v33100L18trti2_kernel_smallILi57EfPfEEv13rocblas_fill_17rocblas_diagonal_T1_iil
    .private_segment_fixed_size: 240
    .sgpr_count:     24
    .sgpr_spill_count: 0
    .symbol:         _ZN9rocsolver6v33100L18trti2_kernel_smallILi57EfPfEEv13rocblas_fill_17rocblas_diagonal_T1_iil.kd
    .uniform_work_group_size: 1
    .uses_dynamic_stack: false
    .vgpr_count:     164
    .vgpr_spill_count: 0
    .wavefront_size: 64
  - .agpr_count:     0
    .args:
      - .offset:         0
        .size:           4
        .value_kind:     by_value
      - .offset:         4
        .size:           4
        .value_kind:     by_value
      - .address_space:  global
        .offset:         8
        .size:           8
        .value_kind:     global_buffer
      - .offset:         16
        .size:           4
        .value_kind:     by_value
      - .offset:         20
        .size:           4
        .value_kind:     by_value
      - .offset:         24
        .size:           8
        .value_kind:     by_value
    .group_segment_fixed_size: 472
    .kernarg_segment_align: 8
    .kernarg_segment_size: 32
    .language:       OpenCL C
    .language_version:
      - 2
      - 0
    .max_flat_workgroup_size: 64
    .name:           _ZN9rocsolver6v33100L18trti2_kernel_smallILi58EfPfEEv13rocblas_fill_17rocblas_diagonal_T1_iil
    .private_segment_fixed_size: 240
    .sgpr_count:     24
    .sgpr_spill_count: 0
    .symbol:         _ZN9rocsolver6v33100L18trti2_kernel_smallILi58EfPfEEv13rocblas_fill_17rocblas_diagonal_T1_iil.kd
    .uniform_work_group_size: 1
    .uses_dynamic_stack: false
    .vgpr_count:     164
    .vgpr_spill_count: 0
    .wavefront_size: 64
  - .agpr_count:     0
    .args:
      - .offset:         0
        .size:           4
        .value_kind:     by_value
      - .offset:         4
        .size:           4
        .value_kind:     by_value
      - .address_space:  global
        .offset:         8
        .size:           8
        .value_kind:     global_buffer
      - .offset:         16
        .size:           4
        .value_kind:     by_value
      - .offset:         20
        .size:           4
        .value_kind:     by_value
      - .offset:         24
        .size:           8
        .value_kind:     by_value
    .group_segment_fixed_size: 476
    .kernarg_segment_align: 8
    .kernarg_segment_size: 32
    .language:       OpenCL C
    .language_version:
      - 2
      - 0
    .max_flat_workgroup_size: 64
    .name:           _ZN9rocsolver6v33100L18trti2_kernel_smallILi59EfPfEEv13rocblas_fill_17rocblas_diagonal_T1_iil
    .private_segment_fixed_size: 240
    .sgpr_count:     24
    .sgpr_spill_count: 0
    .symbol:         _ZN9rocsolver6v33100L18trti2_kernel_smallILi59EfPfEEv13rocblas_fill_17rocblas_diagonal_T1_iil.kd
    .uniform_work_group_size: 1
    .uses_dynamic_stack: false
    .vgpr_count:     165
    .vgpr_spill_count: 0
    .wavefront_size: 64
  - .agpr_count:     0
    .args:
      - .offset:         0
        .size:           4
        .value_kind:     by_value
      - .offset:         4
        .size:           4
        .value_kind:     by_value
      - .address_space:  global
        .offset:         8
        .size:           8
        .value_kind:     global_buffer
      - .offset:         16
        .size:           4
        .value_kind:     by_value
      - .offset:         20
        .size:           4
        .value_kind:     by_value
      - .offset:         24
        .size:           8
        .value_kind:     by_value
    .group_segment_fixed_size: 480
    .kernarg_segment_align: 8
    .kernarg_segment_size: 32
    .language:       OpenCL C
    .language_version:
      - 2
      - 0
    .max_flat_workgroup_size: 64
    .name:           _ZN9rocsolver6v33100L18trti2_kernel_smallILi60EfPfEEv13rocblas_fill_17rocblas_diagonal_T1_iil
    .private_segment_fixed_size: 256
    .sgpr_count:     24
    .sgpr_spill_count: 0
    .symbol:         _ZN9rocsolver6v33100L18trti2_kernel_smallILi60EfPfEEv13rocblas_fill_17rocblas_diagonal_T1_iil.kd
    .uniform_work_group_size: 1
    .uses_dynamic_stack: false
    .vgpr_count:     165
    .vgpr_spill_count: 0
    .wavefront_size: 64
  - .agpr_count:     0
    .args:
      - .offset:         0
        .size:           4
        .value_kind:     by_value
      - .offset:         4
        .size:           4
        .value_kind:     by_value
      - .address_space:  global
        .offset:         8
        .size:           8
        .value_kind:     global_buffer
      - .offset:         16
        .size:           4
        .value_kind:     by_value
      - .offset:         20
        .size:           4
        .value_kind:     by_value
      - .offset:         24
        .size:           8
        .value_kind:     by_value
    .group_segment_fixed_size: 500
    .kernarg_segment_align: 8
    .kernarg_segment_size: 32
    .language:       OpenCL C
    .language_version:
      - 2
      - 0
    .max_flat_workgroup_size: 64
    .name:           _ZN9rocsolver6v33100L18trti2_kernel_smallILi61EfPfEEv13rocblas_fill_17rocblas_diagonal_T1_iil
    .private_segment_fixed_size: 256
    .sgpr_count:     24
    .sgpr_spill_count: 0
    .symbol:         _ZN9rocsolver6v33100L18trti2_kernel_smallILi61EfPfEEv13rocblas_fill_17rocblas_diagonal_T1_iil.kd
    .uniform_work_group_size: 1
    .uses_dynamic_stack: false
    .vgpr_count:     165
    .vgpr_spill_count: 0
    .wavefront_size: 64
  - .agpr_count:     0
    .args:
      - .offset:         0
        .size:           4
        .value_kind:     by_value
      - .offset:         4
        .size:           4
        .value_kind:     by_value
      - .address_space:  global
        .offset:         8
        .size:           8
        .value_kind:     global_buffer
      - .offset:         16
        .size:           4
        .value_kind:     by_value
      - .offset:         20
        .size:           4
        .value_kind:     by_value
      - .offset:         24
        .size:           8
        .value_kind:     by_value
    .group_segment_fixed_size: 504
    .kernarg_segment_align: 8
    .kernarg_segment_size: 32
    .language:       OpenCL C
    .language_version:
      - 2
      - 0
    .max_flat_workgroup_size: 64
    .name:           _ZN9rocsolver6v33100L18trti2_kernel_smallILi62EfPfEEv13rocblas_fill_17rocblas_diagonal_T1_iil
    .private_segment_fixed_size: 256
    .sgpr_count:     24
    .sgpr_spill_count: 0
    .symbol:         _ZN9rocsolver6v33100L18trti2_kernel_smallILi62EfPfEEv13rocblas_fill_17rocblas_diagonal_T1_iil.kd
    .uniform_work_group_size: 1
    .uses_dynamic_stack: false
    .vgpr_count:     164
    .vgpr_spill_count: 0
    .wavefront_size: 64
  - .agpr_count:     0
    .args:
      - .offset:         0
        .size:           4
        .value_kind:     by_value
      - .offset:         4
        .size:           4
        .value_kind:     by_value
      - .address_space:  global
        .offset:         8
        .size:           8
        .value_kind:     global_buffer
      - .offset:         16
        .size:           4
        .value_kind:     by_value
      - .offset:         20
        .size:           4
        .value_kind:     by_value
      - .offset:         24
        .size:           8
        .value_kind:     by_value
    .group_segment_fixed_size: 508
    .kernarg_segment_align: 8
    .kernarg_segment_size: 32
    .language:       OpenCL C
    .language_version:
      - 2
      - 0
    .max_flat_workgroup_size: 64
    .name:           _ZN9rocsolver6v33100L18trti2_kernel_smallILi63EfPfEEv13rocblas_fill_17rocblas_diagonal_T1_iil
    .private_segment_fixed_size: 256
    .sgpr_count:     24
    .sgpr_spill_count: 0
    .symbol:         _ZN9rocsolver6v33100L18trti2_kernel_smallILi63EfPfEEv13rocblas_fill_17rocblas_diagonal_T1_iil.kd
    .uniform_work_group_size: 1
    .uses_dynamic_stack: false
    .vgpr_count:     164
    .vgpr_spill_count: 0
    .wavefront_size: 64
  - .agpr_count:     0
    .args:
      - .offset:         0
        .size:           4
        .value_kind:     by_value
      - .offset:         4
        .size:           4
        .value_kind:     by_value
      - .address_space:  global
        .offset:         8
        .size:           8
        .value_kind:     global_buffer
      - .offset:         16
        .size:           4
        .value_kind:     by_value
      - .offset:         20
        .size:           4
        .value_kind:     by_value
      - .offset:         24
        .size:           8
        .value_kind:     by_value
    .group_segment_fixed_size: 512
    .kernarg_segment_align: 8
    .kernarg_segment_size: 32
    .language:       OpenCL C
    .language_version:
      - 2
      - 0
    .max_flat_workgroup_size: 64
    .name:           _ZN9rocsolver6v33100L18trti2_kernel_smallILi64EfPfEEv13rocblas_fill_17rocblas_diagonal_T1_iil
    .private_segment_fixed_size: 272
    .sgpr_count:     24
    .sgpr_spill_count: 0
    .symbol:         _ZN9rocsolver6v33100L18trti2_kernel_smallILi64EfPfEEv13rocblas_fill_17rocblas_diagonal_T1_iil.kd
    .uniform_work_group_size: 1
    .uses_dynamic_stack: false
    .vgpr_count:     167
    .vgpr_spill_count: 0
    .wavefront_size: 64
  - .agpr_count:     0
    .args:
      - .offset:         0
        .size:           4
        .value_kind:     by_value
      - .offset:         4
        .size:           4
        .value_kind:     by_value
      - .address_space:  global
        .offset:         8
        .size:           8
        .value_kind:     global_buffer
      - .offset:         16
        .size:           4
        .value_kind:     by_value
      - .offset:         20
        .size:           4
        .value_kind:     by_value
      - .offset:         24
        .size:           8
        .value_kind:     by_value
    .group_segment_fixed_size: 0
    .kernarg_segment_align: 8
    .kernarg_segment_size: 32
    .language:       OpenCL C
    .language_version:
      - 2
      - 0
    .max_flat_workgroup_size: 64
    .name:           _ZN9rocsolver6v33100L18trti2_kernel_smallILi1EfPKPfEEv13rocblas_fill_17rocblas_diagonal_T1_iil
    .private_segment_fixed_size: 0
    .sgpr_count:     13
    .sgpr_spill_count: 0
    .symbol:         _ZN9rocsolver6v33100L18trti2_kernel_smallILi1EfPKPfEEv13rocblas_fill_17rocblas_diagonal_T1_iil.kd
    .uniform_work_group_size: 1
    .uses_dynamic_stack: false
    .vgpr_count:     7
    .vgpr_spill_count: 0
    .wavefront_size: 64
  - .agpr_count:     0
    .args:
      - .offset:         0
        .size:           4
        .value_kind:     by_value
      - .offset:         4
        .size:           4
        .value_kind:     by_value
      - .address_space:  global
        .offset:         8
        .size:           8
        .value_kind:     global_buffer
      - .offset:         16
        .size:           4
        .value_kind:     by_value
      - .offset:         20
        .size:           4
        .value_kind:     by_value
      - .offset:         24
        .size:           8
        .value_kind:     by_value
    .group_segment_fixed_size: 16
    .kernarg_segment_align: 8
    .kernarg_segment_size: 32
    .language:       OpenCL C
    .language_version:
      - 2
      - 0
    .max_flat_workgroup_size: 64
    .name:           _ZN9rocsolver6v33100L18trti2_kernel_smallILi2EfPKPfEEv13rocblas_fill_17rocblas_diagonal_T1_iil
    .private_segment_fixed_size: 0
    .sgpr_count:     16
    .sgpr_spill_count: 0
    .symbol:         _ZN9rocsolver6v33100L18trti2_kernel_smallILi2EfPKPfEEv13rocblas_fill_17rocblas_diagonal_T1_iil.kd
    .uniform_work_group_size: 1
    .uses_dynamic_stack: false
    .vgpr_count:     14
    .vgpr_spill_count: 0
    .wavefront_size: 64
  - .agpr_count:     0
    .args:
      - .offset:         0
        .size:           4
        .value_kind:     by_value
      - .offset:         4
        .size:           4
        .value_kind:     by_value
      - .address_space:  global
        .offset:         8
        .size:           8
        .value_kind:     global_buffer
      - .offset:         16
        .size:           4
        .value_kind:     by_value
      - .offset:         20
        .size:           4
        .value_kind:     by_value
      - .offset:         24
        .size:           8
        .value_kind:     by_value
    .group_segment_fixed_size: 28
    .kernarg_segment_align: 8
    .kernarg_segment_size: 32
    .language:       OpenCL C
    .language_version:
      - 2
      - 0
    .max_flat_workgroup_size: 64
    .name:           _ZN9rocsolver6v33100L18trti2_kernel_smallILi3EfPKPfEEv13rocblas_fill_17rocblas_diagonal_T1_iil
    .private_segment_fixed_size: 0
    .sgpr_count:     16
    .sgpr_spill_count: 0
    .symbol:         _ZN9rocsolver6v33100L18trti2_kernel_smallILi3EfPKPfEEv13rocblas_fill_17rocblas_diagonal_T1_iil.kd
    .uniform_work_group_size: 1
    .uses_dynamic_stack: false
    .vgpr_count:     18
    .vgpr_spill_count: 0
    .wavefront_size: 64
  - .agpr_count:     0
    .args:
      - .offset:         0
        .size:           4
        .value_kind:     by_value
      - .offset:         4
        .size:           4
        .value_kind:     by_value
      - .address_space:  global
        .offset:         8
        .size:           8
        .value_kind:     global_buffer
      - .offset:         16
        .size:           4
        .value_kind:     by_value
      - .offset:         20
        .size:           4
        .value_kind:     by_value
      - .offset:         24
        .size:           8
        .value_kind:     by_value
    .group_segment_fixed_size: 32
    .kernarg_segment_align: 8
    .kernarg_segment_size: 32
    .language:       OpenCL C
    .language_version:
      - 2
      - 0
    .max_flat_workgroup_size: 64
    .name:           _ZN9rocsolver6v33100L18trti2_kernel_smallILi4EfPKPfEEv13rocblas_fill_17rocblas_diagonal_T1_iil
    .private_segment_fixed_size: 0
    .sgpr_count:     18
    .sgpr_spill_count: 0
    .symbol:         _ZN9rocsolver6v33100L18trti2_kernel_smallILi4EfPKPfEEv13rocblas_fill_17rocblas_diagonal_T1_iil.kd
    .uniform_work_group_size: 1
    .uses_dynamic_stack: false
    .vgpr_count:     30
    .vgpr_spill_count: 0
    .wavefront_size: 64
  - .agpr_count:     0
    .args:
      - .offset:         0
        .size:           4
        .value_kind:     by_value
      - .offset:         4
        .size:           4
        .value_kind:     by_value
      - .address_space:  global
        .offset:         8
        .size:           8
        .value_kind:     global_buffer
      - .offset:         16
        .size:           4
        .value_kind:     by_value
      - .offset:         20
        .size:           4
        .value_kind:     by_value
      - .offset:         24
        .size:           8
        .value_kind:     by_value
    .group_segment_fixed_size: 52
    .kernarg_segment_align: 8
    .kernarg_segment_size: 32
    .language:       OpenCL C
    .language_version:
      - 2
      - 0
    .max_flat_workgroup_size: 64
    .name:           _ZN9rocsolver6v33100L18trti2_kernel_smallILi5EfPKPfEEv13rocblas_fill_17rocblas_diagonal_T1_iil
    .private_segment_fixed_size: 0
    .sgpr_count:     20
    .sgpr_spill_count: 0
    .symbol:         _ZN9rocsolver6v33100L18trti2_kernel_smallILi5EfPKPfEEv13rocblas_fill_17rocblas_diagonal_T1_iil.kd
    .uniform_work_group_size: 1
    .uses_dynamic_stack: false
    .vgpr_count:     35
    .vgpr_spill_count: 0
    .wavefront_size: 64
  - .agpr_count:     0
    .args:
      - .offset:         0
        .size:           4
        .value_kind:     by_value
      - .offset:         4
        .size:           4
        .value_kind:     by_value
      - .address_space:  global
        .offset:         8
        .size:           8
        .value_kind:     global_buffer
      - .offset:         16
        .size:           4
        .value_kind:     by_value
      - .offset:         20
        .size:           4
        .value_kind:     by_value
      - .offset:         24
        .size:           8
        .value_kind:     by_value
    .group_segment_fixed_size: 56
    .kernarg_segment_align: 8
    .kernarg_segment_size: 32
    .language:       OpenCL C
    .language_version:
      - 2
      - 0
    .max_flat_workgroup_size: 64
    .name:           _ZN9rocsolver6v33100L18trti2_kernel_smallILi6EfPKPfEEv13rocblas_fill_17rocblas_diagonal_T1_iil
    .private_segment_fixed_size: 0
    .sgpr_count:     22
    .sgpr_spill_count: 0
    .symbol:         _ZN9rocsolver6v33100L18trti2_kernel_smallILi6EfPKPfEEv13rocblas_fill_17rocblas_diagonal_T1_iil.kd
    .uniform_work_group_size: 1
    .uses_dynamic_stack: false
    .vgpr_count:     40
    .vgpr_spill_count: 0
    .wavefront_size: 64
  - .agpr_count:     0
    .args:
      - .offset:         0
        .size:           4
        .value_kind:     by_value
      - .offset:         4
        .size:           4
        .value_kind:     by_value
      - .address_space:  global
        .offset:         8
        .size:           8
        .value_kind:     global_buffer
      - .offset:         16
        .size:           4
        .value_kind:     by_value
      - .offset:         20
        .size:           4
        .value_kind:     by_value
      - .offset:         24
        .size:           8
        .value_kind:     by_value
    .group_segment_fixed_size: 60
    .kernarg_segment_align: 8
    .kernarg_segment_size: 32
    .language:       OpenCL C
    .language_version:
      - 2
      - 0
    .max_flat_workgroup_size: 64
    .name:           _ZN9rocsolver6v33100L18trti2_kernel_smallILi7EfPKPfEEv13rocblas_fill_17rocblas_diagonal_T1_iil
    .private_segment_fixed_size: 0
    .sgpr_count:     24
    .sgpr_spill_count: 0
    .symbol:         _ZN9rocsolver6v33100L18trti2_kernel_smallILi7EfPKPfEEv13rocblas_fill_17rocblas_diagonal_T1_iil.kd
    .uniform_work_group_size: 1
    .uses_dynamic_stack: false
    .vgpr_count:     43
    .vgpr_spill_count: 0
    .wavefront_size: 64
  - .agpr_count:     0
    .args:
      - .offset:         0
        .size:           4
        .value_kind:     by_value
      - .offset:         4
        .size:           4
        .value_kind:     by_value
      - .address_space:  global
        .offset:         8
        .size:           8
        .value_kind:     global_buffer
      - .offset:         16
        .size:           4
        .value_kind:     by_value
      - .offset:         20
        .size:           4
        .value_kind:     by_value
      - .offset:         24
        .size:           8
        .value_kind:     by_value
    .group_segment_fixed_size: 64
    .kernarg_segment_align: 8
    .kernarg_segment_size: 32
    .language:       OpenCL C
    .language_version:
      - 2
      - 0
    .max_flat_workgroup_size: 64
    .name:           _ZN9rocsolver6v33100L18trti2_kernel_smallILi8EfPKPfEEv13rocblas_fill_17rocblas_diagonal_T1_iil
    .private_segment_fixed_size: 0
    .sgpr_count:     26
    .sgpr_spill_count: 0
    .symbol:         _ZN9rocsolver6v33100L18trti2_kernel_smallILi8EfPKPfEEv13rocblas_fill_17rocblas_diagonal_T1_iil.kd
    .uniform_work_group_size: 1
    .uses_dynamic_stack: false
    .vgpr_count:     48
    .vgpr_spill_count: 0
    .wavefront_size: 64
  - .agpr_count:     0
    .args:
      - .offset:         0
        .size:           4
        .value_kind:     by_value
      - .offset:         4
        .size:           4
        .value_kind:     by_value
      - .address_space:  global
        .offset:         8
        .size:           8
        .value_kind:     global_buffer
      - .offset:         16
        .size:           4
        .value_kind:     by_value
      - .offset:         20
        .size:           4
        .value_kind:     by_value
      - .offset:         24
        .size:           8
        .value_kind:     by_value
    .group_segment_fixed_size: 84
    .kernarg_segment_align: 8
    .kernarg_segment_size: 32
    .language:       OpenCL C
    .language_version:
      - 2
      - 0
    .max_flat_workgroup_size: 64
    .name:           _ZN9rocsolver6v33100L18trti2_kernel_smallILi9EfPKPfEEv13rocblas_fill_17rocblas_diagonal_T1_iil
    .private_segment_fixed_size: 0
    .sgpr_count:     28
    .sgpr_spill_count: 0
    .symbol:         _ZN9rocsolver6v33100L18trti2_kernel_smallILi9EfPKPfEEv13rocblas_fill_17rocblas_diagonal_T1_iil.kd
    .uniform_work_group_size: 1
    .uses_dynamic_stack: false
    .vgpr_count:     56
    .vgpr_spill_count: 0
    .wavefront_size: 64
  - .agpr_count:     0
    .args:
      - .offset:         0
        .size:           4
        .value_kind:     by_value
      - .offset:         4
        .size:           4
        .value_kind:     by_value
      - .address_space:  global
        .offset:         8
        .size:           8
        .value_kind:     global_buffer
      - .offset:         16
        .size:           4
        .value_kind:     by_value
      - .offset:         20
        .size:           4
        .value_kind:     by_value
      - .offset:         24
        .size:           8
        .value_kind:     by_value
    .group_segment_fixed_size: 88
    .kernarg_segment_align: 8
    .kernarg_segment_size: 32
    .language:       OpenCL C
    .language_version:
      - 2
      - 0
    .max_flat_workgroup_size: 64
    .name:           _ZN9rocsolver6v33100L18trti2_kernel_smallILi10EfPKPfEEv13rocblas_fill_17rocblas_diagonal_T1_iil
    .private_segment_fixed_size: 0
    .sgpr_count:     30
    .sgpr_spill_count: 0
    .symbol:         _ZN9rocsolver6v33100L18trti2_kernel_smallILi10EfPKPfEEv13rocblas_fill_17rocblas_diagonal_T1_iil.kd
    .uniform_work_group_size: 1
    .uses_dynamic_stack: false
    .vgpr_count:     60
    .vgpr_spill_count: 0
    .wavefront_size: 64
  - .agpr_count:     0
    .args:
      - .offset:         0
        .size:           4
        .value_kind:     by_value
      - .offset:         4
        .size:           4
        .value_kind:     by_value
      - .address_space:  global
        .offset:         8
        .size:           8
        .value_kind:     global_buffer
      - .offset:         16
        .size:           4
        .value_kind:     by_value
      - .offset:         20
        .size:           4
        .value_kind:     by_value
      - .offset:         24
        .size:           8
        .value_kind:     by_value
    .group_segment_fixed_size: 92
    .kernarg_segment_align: 8
    .kernarg_segment_size: 32
    .language:       OpenCL C
    .language_version:
      - 2
      - 0
    .max_flat_workgroup_size: 64
    .name:           _ZN9rocsolver6v33100L18trti2_kernel_smallILi11EfPKPfEEv13rocblas_fill_17rocblas_diagonal_T1_iil
    .private_segment_fixed_size: 0
    .sgpr_count:     32
    .sgpr_spill_count: 0
    .symbol:         _ZN9rocsolver6v33100L18trti2_kernel_smallILi11EfPKPfEEv13rocblas_fill_17rocblas_diagonal_T1_iil.kd
    .uniform_work_group_size: 1
    .uses_dynamic_stack: false
    .vgpr_count:     64
    .vgpr_spill_count: 0
    .wavefront_size: 64
  - .agpr_count:     0
    .args:
      - .offset:         0
        .size:           4
        .value_kind:     by_value
      - .offset:         4
        .size:           4
        .value_kind:     by_value
      - .address_space:  global
        .offset:         8
        .size:           8
        .value_kind:     global_buffer
      - .offset:         16
        .size:           4
        .value_kind:     by_value
      - .offset:         20
        .size:           4
        .value_kind:     by_value
      - .offset:         24
        .size:           8
        .value_kind:     by_value
    .group_segment_fixed_size: 96
    .kernarg_segment_align: 8
    .kernarg_segment_size: 32
    .language:       OpenCL C
    .language_version:
      - 2
      - 0
    .max_flat_workgroup_size: 64
    .name:           _ZN9rocsolver6v33100L18trti2_kernel_smallILi12EfPKPfEEv13rocblas_fill_17rocblas_diagonal_T1_iil
    .private_segment_fixed_size: 0
    .sgpr_count:     34
    .sgpr_spill_count: 0
    .symbol:         _ZN9rocsolver6v33100L18trti2_kernel_smallILi12EfPKPfEEv13rocblas_fill_17rocblas_diagonal_T1_iil.kd
    .uniform_work_group_size: 1
    .uses_dynamic_stack: false
    .vgpr_count:     68
    .vgpr_spill_count: 0
    .wavefront_size: 64
  - .agpr_count:     0
    .args:
      - .offset:         0
        .size:           4
        .value_kind:     by_value
      - .offset:         4
        .size:           4
        .value_kind:     by_value
      - .address_space:  global
        .offset:         8
        .size:           8
        .value_kind:     global_buffer
      - .offset:         16
        .size:           4
        .value_kind:     by_value
      - .offset:         20
        .size:           4
        .value_kind:     by_value
      - .offset:         24
        .size:           8
        .value_kind:     by_value
    .group_segment_fixed_size: 116
    .kernarg_segment_align: 8
    .kernarg_segment_size: 32
    .language:       OpenCL C
    .language_version:
      - 2
      - 0
    .max_flat_workgroup_size: 64
    .name:           _ZN9rocsolver6v33100L18trti2_kernel_smallILi13EfPKPfEEv13rocblas_fill_17rocblas_diagonal_T1_iil
    .private_segment_fixed_size: 0
    .sgpr_count:     36
    .sgpr_spill_count: 0
    .symbol:         _ZN9rocsolver6v33100L18trti2_kernel_smallILi13EfPKPfEEv13rocblas_fill_17rocblas_diagonal_T1_iil.kd
    .uniform_work_group_size: 1
    .uses_dynamic_stack: false
    .vgpr_count:     75
    .vgpr_spill_count: 0
    .wavefront_size: 64
  - .agpr_count:     0
    .args:
      - .offset:         0
        .size:           4
        .value_kind:     by_value
      - .offset:         4
        .size:           4
        .value_kind:     by_value
      - .address_space:  global
        .offset:         8
        .size:           8
        .value_kind:     global_buffer
      - .offset:         16
        .size:           4
        .value_kind:     by_value
      - .offset:         20
        .size:           4
        .value_kind:     by_value
      - .offset:         24
        .size:           8
        .value_kind:     by_value
    .group_segment_fixed_size: 120
    .kernarg_segment_align: 8
    .kernarg_segment_size: 32
    .language:       OpenCL C
    .language_version:
      - 2
      - 0
    .max_flat_workgroup_size: 64
    .name:           _ZN9rocsolver6v33100L18trti2_kernel_smallILi14EfPKPfEEv13rocblas_fill_17rocblas_diagonal_T1_iil
    .private_segment_fixed_size: 0
    .sgpr_count:     40
    .sgpr_spill_count: 0
    .symbol:         _ZN9rocsolver6v33100L18trti2_kernel_smallILi14EfPKPfEEv13rocblas_fill_17rocblas_diagonal_T1_iil.kd
    .uniform_work_group_size: 1
    .uses_dynamic_stack: false
    .vgpr_count:     78
    .vgpr_spill_count: 0
    .wavefront_size: 64
  - .agpr_count:     0
    .args:
      - .offset:         0
        .size:           4
        .value_kind:     by_value
      - .offset:         4
        .size:           4
        .value_kind:     by_value
      - .address_space:  global
        .offset:         8
        .size:           8
        .value_kind:     global_buffer
      - .offset:         16
        .size:           4
        .value_kind:     by_value
      - .offset:         20
        .size:           4
        .value_kind:     by_value
      - .offset:         24
        .size:           8
        .value_kind:     by_value
    .group_segment_fixed_size: 124
    .kernarg_segment_align: 8
    .kernarg_segment_size: 32
    .language:       OpenCL C
    .language_version:
      - 2
      - 0
    .max_flat_workgroup_size: 64
    .name:           _ZN9rocsolver6v33100L18trti2_kernel_smallILi15EfPKPfEEv13rocblas_fill_17rocblas_diagonal_T1_iil
    .private_segment_fixed_size: 0
    .sgpr_count:     44
    .sgpr_spill_count: 0
    .symbol:         _ZN9rocsolver6v33100L18trti2_kernel_smallILi15EfPKPfEEv13rocblas_fill_17rocblas_diagonal_T1_iil.kd
    .uniform_work_group_size: 1
    .uses_dynamic_stack: false
    .vgpr_count:     81
    .vgpr_spill_count: 0
    .wavefront_size: 64
  - .agpr_count:     0
    .args:
      - .offset:         0
        .size:           4
        .value_kind:     by_value
      - .offset:         4
        .size:           4
        .value_kind:     by_value
      - .address_space:  global
        .offset:         8
        .size:           8
        .value_kind:     global_buffer
      - .offset:         16
        .size:           4
        .value_kind:     by_value
      - .offset:         20
        .size:           4
        .value_kind:     by_value
      - .offset:         24
        .size:           8
        .value_kind:     by_value
    .group_segment_fixed_size: 128
    .kernarg_segment_align: 8
    .kernarg_segment_size: 32
    .language:       OpenCL C
    .language_version:
      - 2
      - 0
    .max_flat_workgroup_size: 64
    .name:           _ZN9rocsolver6v33100L18trti2_kernel_smallILi16EfPKPfEEv13rocblas_fill_17rocblas_diagonal_T1_iil
    .private_segment_fixed_size: 0
    .sgpr_count:     44
    .sgpr_spill_count: 0
    .symbol:         _ZN9rocsolver6v33100L18trti2_kernel_smallILi16EfPKPfEEv13rocblas_fill_17rocblas_diagonal_T1_iil.kd
    .uniform_work_group_size: 1
    .uses_dynamic_stack: false
    .vgpr_count:     84
    .vgpr_spill_count: 0
    .wavefront_size: 64
  - .agpr_count:     0
    .args:
      - .offset:         0
        .size:           4
        .value_kind:     by_value
      - .offset:         4
        .size:           4
        .value_kind:     by_value
      - .address_space:  global
        .offset:         8
        .size:           8
        .value_kind:     global_buffer
      - .offset:         16
        .size:           4
        .value_kind:     by_value
      - .offset:         20
        .size:           4
        .value_kind:     by_value
      - .offset:         24
        .size:           8
        .value_kind:     by_value
    .group_segment_fixed_size: 148
    .kernarg_segment_align: 8
    .kernarg_segment_size: 32
    .language:       OpenCL C
    .language_version:
      - 2
      - 0
    .max_flat_workgroup_size: 64
    .name:           _ZN9rocsolver6v33100L18trti2_kernel_smallILi17EfPKPfEEv13rocblas_fill_17rocblas_diagonal_T1_iil
    .private_segment_fixed_size: 80
    .sgpr_count:     20
    .sgpr_spill_count: 0
    .symbol:         _ZN9rocsolver6v33100L18trti2_kernel_smallILi17EfPKPfEEv13rocblas_fill_17rocblas_diagonal_T1_iil.kd
    .uniform_work_group_size: 1
    .uses_dynamic_stack: false
    .vgpr_count:     54
    .vgpr_spill_count: 0
    .wavefront_size: 64
  - .agpr_count:     0
    .args:
      - .offset:         0
        .size:           4
        .value_kind:     by_value
      - .offset:         4
        .size:           4
        .value_kind:     by_value
      - .address_space:  global
        .offset:         8
        .size:           8
        .value_kind:     global_buffer
      - .offset:         16
        .size:           4
        .value_kind:     by_value
      - .offset:         20
        .size:           4
        .value_kind:     by_value
      - .offset:         24
        .size:           8
        .value_kind:     by_value
    .group_segment_fixed_size: 152
    .kernarg_segment_align: 8
    .kernarg_segment_size: 32
    .language:       OpenCL C
    .language_version:
      - 2
      - 0
    .max_flat_workgroup_size: 64
    .name:           _ZN9rocsolver6v33100L18trti2_kernel_smallILi18EfPKPfEEv13rocblas_fill_17rocblas_diagonal_T1_iil
    .private_segment_fixed_size: 80
    .sgpr_count:     20
    .sgpr_spill_count: 0
    .symbol:         _ZN9rocsolver6v33100L18trti2_kernel_smallILi18EfPKPfEEv13rocblas_fill_17rocblas_diagonal_T1_iil.kd
    .uniform_work_group_size: 1
    .uses_dynamic_stack: false
    .vgpr_count:     57
    .vgpr_spill_count: 0
    .wavefront_size: 64
  - .agpr_count:     0
    .args:
      - .offset:         0
        .size:           4
        .value_kind:     by_value
      - .offset:         4
        .size:           4
        .value_kind:     by_value
      - .address_space:  global
        .offset:         8
        .size:           8
        .value_kind:     global_buffer
      - .offset:         16
        .size:           4
        .value_kind:     by_value
      - .offset:         20
        .size:           4
        .value_kind:     by_value
      - .offset:         24
        .size:           8
        .value_kind:     by_value
    .group_segment_fixed_size: 156
    .kernarg_segment_align: 8
    .kernarg_segment_size: 32
    .language:       OpenCL C
    .language_version:
      - 2
      - 0
    .max_flat_workgroup_size: 64
    .name:           _ZN9rocsolver6v33100L18trti2_kernel_smallILi19EfPKPfEEv13rocblas_fill_17rocblas_diagonal_T1_iil
    .private_segment_fixed_size: 80
    .sgpr_count:     20
    .sgpr_spill_count: 0
    .symbol:         _ZN9rocsolver6v33100L18trti2_kernel_smallILi19EfPKPfEEv13rocblas_fill_17rocblas_diagonal_T1_iil.kd
    .uniform_work_group_size: 1
    .uses_dynamic_stack: false
    .vgpr_count:     60
    .vgpr_spill_count: 0
    .wavefront_size: 64
  - .agpr_count:     0
    .args:
      - .offset:         0
        .size:           4
        .value_kind:     by_value
      - .offset:         4
        .size:           4
        .value_kind:     by_value
      - .address_space:  global
        .offset:         8
        .size:           8
        .value_kind:     global_buffer
      - .offset:         16
        .size:           4
        .value_kind:     by_value
      - .offset:         20
        .size:           4
        .value_kind:     by_value
      - .offset:         24
        .size:           8
        .value_kind:     by_value
    .group_segment_fixed_size: 160
    .kernarg_segment_align: 8
    .kernarg_segment_size: 32
    .language:       OpenCL C
    .language_version:
      - 2
      - 0
    .max_flat_workgroup_size: 64
    .name:           _ZN9rocsolver6v33100L18trti2_kernel_smallILi20EfPKPfEEv13rocblas_fill_17rocblas_diagonal_T1_iil
    .private_segment_fixed_size: 96
    .sgpr_count:     20
    .sgpr_spill_count: 0
    .symbol:         _ZN9rocsolver6v33100L18trti2_kernel_smallILi20EfPKPfEEv13rocblas_fill_17rocblas_diagonal_T1_iil.kd
    .uniform_work_group_size: 1
    .uses_dynamic_stack: false
    .vgpr_count:     61
    .vgpr_spill_count: 0
    .wavefront_size: 64
  - .agpr_count:     0
    .args:
      - .offset:         0
        .size:           4
        .value_kind:     by_value
      - .offset:         4
        .size:           4
        .value_kind:     by_value
      - .address_space:  global
        .offset:         8
        .size:           8
        .value_kind:     global_buffer
      - .offset:         16
        .size:           4
        .value_kind:     by_value
      - .offset:         20
        .size:           4
        .value_kind:     by_value
      - .offset:         24
        .size:           8
        .value_kind:     by_value
    .group_segment_fixed_size: 180
    .kernarg_segment_align: 8
    .kernarg_segment_size: 32
    .language:       OpenCL C
    .language_version:
      - 2
      - 0
    .max_flat_workgroup_size: 64
    .name:           _ZN9rocsolver6v33100L18trti2_kernel_smallILi21EfPKPfEEv13rocblas_fill_17rocblas_diagonal_T1_iil
    .private_segment_fixed_size: 96
    .sgpr_count:     20
    .sgpr_spill_count: 0
    .symbol:         _ZN9rocsolver6v33100L18trti2_kernel_smallILi21EfPKPfEEv13rocblas_fill_17rocblas_diagonal_T1_iil.kd
    .uniform_work_group_size: 1
    .uses_dynamic_stack: false
    .vgpr_count:     61
    .vgpr_spill_count: 0
    .wavefront_size: 64
  - .agpr_count:     0
    .args:
      - .offset:         0
        .size:           4
        .value_kind:     by_value
      - .offset:         4
        .size:           4
        .value_kind:     by_value
      - .address_space:  global
        .offset:         8
        .size:           8
        .value_kind:     global_buffer
      - .offset:         16
        .size:           4
        .value_kind:     by_value
      - .offset:         20
        .size:           4
        .value_kind:     by_value
      - .offset:         24
        .size:           8
        .value_kind:     by_value
    .group_segment_fixed_size: 184
    .kernarg_segment_align: 8
    .kernarg_segment_size: 32
    .language:       OpenCL C
    .language_version:
      - 2
      - 0
    .max_flat_workgroup_size: 64
    .name:           _ZN9rocsolver6v33100L18trti2_kernel_smallILi22EfPKPfEEv13rocblas_fill_17rocblas_diagonal_T1_iil
    .private_segment_fixed_size: 96
    .sgpr_count:     20
    .sgpr_spill_count: 0
    .symbol:         _ZN9rocsolver6v33100L18trti2_kernel_smallILi22EfPKPfEEv13rocblas_fill_17rocblas_diagonal_T1_iil.kd
    .uniform_work_group_size: 1
    .uses_dynamic_stack: false
    .vgpr_count:     62
    .vgpr_spill_count: 0
    .wavefront_size: 64
  - .agpr_count:     0
    .args:
      - .offset:         0
        .size:           4
        .value_kind:     by_value
      - .offset:         4
        .size:           4
        .value_kind:     by_value
      - .address_space:  global
        .offset:         8
        .size:           8
        .value_kind:     global_buffer
      - .offset:         16
        .size:           4
        .value_kind:     by_value
      - .offset:         20
        .size:           4
        .value_kind:     by_value
      - .offset:         24
        .size:           8
        .value_kind:     by_value
    .group_segment_fixed_size: 188
    .kernarg_segment_align: 8
    .kernarg_segment_size: 32
    .language:       OpenCL C
    .language_version:
      - 2
      - 0
    .max_flat_workgroup_size: 64
    .name:           _ZN9rocsolver6v33100L18trti2_kernel_smallILi23EfPKPfEEv13rocblas_fill_17rocblas_diagonal_T1_iil
    .private_segment_fixed_size: 96
    .sgpr_count:     20
    .sgpr_spill_count: 0
    .symbol:         _ZN9rocsolver6v33100L18trti2_kernel_smallILi23EfPKPfEEv13rocblas_fill_17rocblas_diagonal_T1_iil.kd
    .uniform_work_group_size: 1
    .uses_dynamic_stack: false
    .vgpr_count:     69
    .vgpr_spill_count: 0
    .wavefront_size: 64
  - .agpr_count:     0
    .args:
      - .offset:         0
        .size:           4
        .value_kind:     by_value
      - .offset:         4
        .size:           4
        .value_kind:     by_value
      - .address_space:  global
        .offset:         8
        .size:           8
        .value_kind:     global_buffer
      - .offset:         16
        .size:           4
        .value_kind:     by_value
      - .offset:         20
        .size:           4
        .value_kind:     by_value
      - .offset:         24
        .size:           8
        .value_kind:     by_value
    .group_segment_fixed_size: 192
    .kernarg_segment_align: 8
    .kernarg_segment_size: 32
    .language:       OpenCL C
    .language_version:
      - 2
      - 0
    .max_flat_workgroup_size: 64
    .name:           _ZN9rocsolver6v33100L18trti2_kernel_smallILi24EfPKPfEEv13rocblas_fill_17rocblas_diagonal_T1_iil
    .private_segment_fixed_size: 112
    .sgpr_count:     20
    .sgpr_spill_count: 0
    .symbol:         _ZN9rocsolver6v33100L18trti2_kernel_smallILi24EfPKPfEEv13rocblas_fill_17rocblas_diagonal_T1_iil.kd
    .uniform_work_group_size: 1
    .uses_dynamic_stack: false
    .vgpr_count:     69
    .vgpr_spill_count: 0
    .wavefront_size: 64
  - .agpr_count:     0
    .args:
      - .offset:         0
        .size:           4
        .value_kind:     by_value
      - .offset:         4
        .size:           4
        .value_kind:     by_value
      - .address_space:  global
        .offset:         8
        .size:           8
        .value_kind:     global_buffer
      - .offset:         16
        .size:           4
        .value_kind:     by_value
      - .offset:         20
        .size:           4
        .value_kind:     by_value
      - .offset:         24
        .size:           8
        .value_kind:     by_value
    .group_segment_fixed_size: 212
    .kernarg_segment_align: 8
    .kernarg_segment_size: 32
    .language:       OpenCL C
    .language_version:
      - 2
      - 0
    .max_flat_workgroup_size: 64
    .name:           _ZN9rocsolver6v33100L18trti2_kernel_smallILi25EfPKPfEEv13rocblas_fill_17rocblas_diagonal_T1_iil
    .private_segment_fixed_size: 112
    .sgpr_count:     20
    .sgpr_spill_count: 0
    .symbol:         _ZN9rocsolver6v33100L18trti2_kernel_smallILi25EfPKPfEEv13rocblas_fill_17rocblas_diagonal_T1_iil.kd
    .uniform_work_group_size: 1
    .uses_dynamic_stack: false
    .vgpr_count:     69
    .vgpr_spill_count: 0
    .wavefront_size: 64
  - .agpr_count:     0
    .args:
      - .offset:         0
        .size:           4
        .value_kind:     by_value
      - .offset:         4
        .size:           4
        .value_kind:     by_value
      - .address_space:  global
        .offset:         8
        .size:           8
        .value_kind:     global_buffer
      - .offset:         16
        .size:           4
        .value_kind:     by_value
      - .offset:         20
        .size:           4
        .value_kind:     by_value
      - .offset:         24
        .size:           8
        .value_kind:     by_value
    .group_segment_fixed_size: 216
    .kernarg_segment_align: 8
    .kernarg_segment_size: 32
    .language:       OpenCL C
    .language_version:
      - 2
      - 0
    .max_flat_workgroup_size: 64
    .name:           _ZN9rocsolver6v33100L18trti2_kernel_smallILi26EfPKPfEEv13rocblas_fill_17rocblas_diagonal_T1_iil
    .private_segment_fixed_size: 112
    .sgpr_count:     20
    .sgpr_spill_count: 0
    .symbol:         _ZN9rocsolver6v33100L18trti2_kernel_smallILi26EfPKPfEEv13rocblas_fill_17rocblas_diagonal_T1_iil.kd
    .uniform_work_group_size: 1
    .uses_dynamic_stack: false
    .vgpr_count:     76
    .vgpr_spill_count: 0
    .wavefront_size: 64
  - .agpr_count:     0
    .args:
      - .offset:         0
        .size:           4
        .value_kind:     by_value
      - .offset:         4
        .size:           4
        .value_kind:     by_value
      - .address_space:  global
        .offset:         8
        .size:           8
        .value_kind:     global_buffer
      - .offset:         16
        .size:           4
        .value_kind:     by_value
      - .offset:         20
        .size:           4
        .value_kind:     by_value
      - .offset:         24
        .size:           8
        .value_kind:     by_value
    .group_segment_fixed_size: 220
    .kernarg_segment_align: 8
    .kernarg_segment_size: 32
    .language:       OpenCL C
    .language_version:
      - 2
      - 0
    .max_flat_workgroup_size: 64
    .name:           _ZN9rocsolver6v33100L18trti2_kernel_smallILi27EfPKPfEEv13rocblas_fill_17rocblas_diagonal_T1_iil
    .private_segment_fixed_size: 112
    .sgpr_count:     20
    .sgpr_spill_count: 0
    .symbol:         _ZN9rocsolver6v33100L18trti2_kernel_smallILi27EfPKPfEEv13rocblas_fill_17rocblas_diagonal_T1_iil.kd
    .uniform_work_group_size: 1
    .uses_dynamic_stack: false
    .vgpr_count:     76
    .vgpr_spill_count: 0
    .wavefront_size: 64
  - .agpr_count:     0
    .args:
      - .offset:         0
        .size:           4
        .value_kind:     by_value
      - .offset:         4
        .size:           4
        .value_kind:     by_value
      - .address_space:  global
        .offset:         8
        .size:           8
        .value_kind:     global_buffer
      - .offset:         16
        .size:           4
        .value_kind:     by_value
      - .offset:         20
        .size:           4
        .value_kind:     by_value
      - .offset:         24
        .size:           8
        .value_kind:     by_value
    .group_segment_fixed_size: 224
    .kernarg_segment_align: 8
    .kernarg_segment_size: 32
    .language:       OpenCL C
    .language_version:
      - 2
      - 0
    .max_flat_workgroup_size: 64
    .name:           _ZN9rocsolver6v33100L18trti2_kernel_smallILi28EfPKPfEEv13rocblas_fill_17rocblas_diagonal_T1_iil
    .private_segment_fixed_size: 128
    .sgpr_count:     20
    .sgpr_spill_count: 0
    .symbol:         _ZN9rocsolver6v33100L18trti2_kernel_smallILi28EfPKPfEEv13rocblas_fill_17rocblas_diagonal_T1_iil.kd
    .uniform_work_group_size: 1
    .uses_dynamic_stack: false
    .vgpr_count:     77
    .vgpr_spill_count: 0
    .wavefront_size: 64
  - .agpr_count:     0
    .args:
      - .offset:         0
        .size:           4
        .value_kind:     by_value
      - .offset:         4
        .size:           4
        .value_kind:     by_value
      - .address_space:  global
        .offset:         8
        .size:           8
        .value_kind:     global_buffer
      - .offset:         16
        .size:           4
        .value_kind:     by_value
      - .offset:         20
        .size:           4
        .value_kind:     by_value
      - .offset:         24
        .size:           8
        .value_kind:     by_value
    .group_segment_fixed_size: 244
    .kernarg_segment_align: 8
    .kernarg_segment_size: 32
    .language:       OpenCL C
    .language_version:
      - 2
      - 0
    .max_flat_workgroup_size: 64
    .name:           _ZN9rocsolver6v33100L18trti2_kernel_smallILi29EfPKPfEEv13rocblas_fill_17rocblas_diagonal_T1_iil
    .private_segment_fixed_size: 128
    .sgpr_count:     20
    .sgpr_spill_count: 0
    .symbol:         _ZN9rocsolver6v33100L18trti2_kernel_smallILi29EfPKPfEEv13rocblas_fill_17rocblas_diagonal_T1_iil.kd
    .uniform_work_group_size: 1
    .uses_dynamic_stack: false
    .vgpr_count:     79
    .vgpr_spill_count: 0
    .wavefront_size: 64
  - .agpr_count:     0
    .args:
      - .offset:         0
        .size:           4
        .value_kind:     by_value
      - .offset:         4
        .size:           4
        .value_kind:     by_value
      - .address_space:  global
        .offset:         8
        .size:           8
        .value_kind:     global_buffer
      - .offset:         16
        .size:           4
        .value_kind:     by_value
      - .offset:         20
        .size:           4
        .value_kind:     by_value
      - .offset:         24
        .size:           8
        .value_kind:     by_value
    .group_segment_fixed_size: 248
    .kernarg_segment_align: 8
    .kernarg_segment_size: 32
    .language:       OpenCL C
    .language_version:
      - 2
      - 0
    .max_flat_workgroup_size: 64
    .name:           _ZN9rocsolver6v33100L18trti2_kernel_smallILi30EfPKPfEEv13rocblas_fill_17rocblas_diagonal_T1_iil
    .private_segment_fixed_size: 128
    .sgpr_count:     20
    .sgpr_spill_count: 0
    .symbol:         _ZN9rocsolver6v33100L18trti2_kernel_smallILi30EfPKPfEEv13rocblas_fill_17rocblas_diagonal_T1_iil.kd
    .uniform_work_group_size: 1
    .uses_dynamic_stack: false
    .vgpr_count:     92
    .vgpr_spill_count: 0
    .wavefront_size: 64
  - .agpr_count:     0
    .args:
      - .offset:         0
        .size:           4
        .value_kind:     by_value
      - .offset:         4
        .size:           4
        .value_kind:     by_value
      - .address_space:  global
        .offset:         8
        .size:           8
        .value_kind:     global_buffer
      - .offset:         16
        .size:           4
        .value_kind:     by_value
      - .offset:         20
        .size:           4
        .value_kind:     by_value
      - .offset:         24
        .size:           8
        .value_kind:     by_value
    .group_segment_fixed_size: 252
    .kernarg_segment_align: 8
    .kernarg_segment_size: 32
    .language:       OpenCL C
    .language_version:
      - 2
      - 0
    .max_flat_workgroup_size: 64
    .name:           _ZN9rocsolver6v33100L18trti2_kernel_smallILi31EfPKPfEEv13rocblas_fill_17rocblas_diagonal_T1_iil
    .private_segment_fixed_size: 128
    .sgpr_count:     20
    .sgpr_spill_count: 0
    .symbol:         _ZN9rocsolver6v33100L18trti2_kernel_smallILi31EfPKPfEEv13rocblas_fill_17rocblas_diagonal_T1_iil.kd
    .uniform_work_group_size: 1
    .uses_dynamic_stack: false
    .vgpr_count:     92
    .vgpr_spill_count: 0
    .wavefront_size: 64
  - .agpr_count:     0
    .args:
      - .offset:         0
        .size:           4
        .value_kind:     by_value
      - .offset:         4
        .size:           4
        .value_kind:     by_value
      - .address_space:  global
        .offset:         8
        .size:           8
        .value_kind:     global_buffer
      - .offset:         16
        .size:           4
        .value_kind:     by_value
      - .offset:         20
        .size:           4
        .value_kind:     by_value
      - .offset:         24
        .size:           8
        .value_kind:     by_value
    .group_segment_fixed_size: 256
    .kernarg_segment_align: 8
    .kernarg_segment_size: 32
    .language:       OpenCL C
    .language_version:
      - 2
      - 0
    .max_flat_workgroup_size: 64
    .name:           _ZN9rocsolver6v33100L18trti2_kernel_smallILi32EfPKPfEEv13rocblas_fill_17rocblas_diagonal_T1_iil
    .private_segment_fixed_size: 144
    .sgpr_count:     20
    .sgpr_spill_count: 0
    .symbol:         _ZN9rocsolver6v33100L18trti2_kernel_smallILi32EfPKPfEEv13rocblas_fill_17rocblas_diagonal_T1_iil.kd
    .uniform_work_group_size: 1
    .uses_dynamic_stack: false
    .vgpr_count:     92
    .vgpr_spill_count: 0
    .wavefront_size: 64
  - .agpr_count:     0
    .args:
      - .offset:         0
        .size:           4
        .value_kind:     by_value
      - .offset:         4
        .size:           4
        .value_kind:     by_value
      - .address_space:  global
        .offset:         8
        .size:           8
        .value_kind:     global_buffer
      - .offset:         16
        .size:           4
        .value_kind:     by_value
      - .offset:         20
        .size:           4
        .value_kind:     by_value
      - .offset:         24
        .size:           8
        .value_kind:     by_value
    .group_segment_fixed_size: 276
    .kernarg_segment_align: 8
    .kernarg_segment_size: 32
    .language:       OpenCL C
    .language_version:
      - 2
      - 0
    .max_flat_workgroup_size: 64
    .name:           _ZN9rocsolver6v33100L18trti2_kernel_smallILi33EfPKPfEEv13rocblas_fill_17rocblas_diagonal_T1_iil
    .private_segment_fixed_size: 144
    .sgpr_count:     20
    .sgpr_spill_count: 0
    .symbol:         _ZN9rocsolver6v33100L18trti2_kernel_smallILi33EfPKPfEEv13rocblas_fill_17rocblas_diagonal_T1_iil.kd
    .uniform_work_group_size: 1
    .uses_dynamic_stack: false
    .vgpr_count:     92
    .vgpr_spill_count: 0
    .wavefront_size: 64
  - .agpr_count:     0
    .args:
      - .offset:         0
        .size:           4
        .value_kind:     by_value
      - .offset:         4
        .size:           4
        .value_kind:     by_value
      - .address_space:  global
        .offset:         8
        .size:           8
        .value_kind:     global_buffer
      - .offset:         16
        .size:           4
        .value_kind:     by_value
      - .offset:         20
        .size:           4
        .value_kind:     by_value
      - .offset:         24
        .size:           8
        .value_kind:     by_value
    .group_segment_fixed_size: 280
    .kernarg_segment_align: 8
    .kernarg_segment_size: 32
    .language:       OpenCL C
    .language_version:
      - 2
      - 0
    .max_flat_workgroup_size: 64
    .name:           _ZN9rocsolver6v33100L18trti2_kernel_smallILi34EfPKPfEEv13rocblas_fill_17rocblas_diagonal_T1_iil
    .private_segment_fixed_size: 144
    .sgpr_count:     20
    .sgpr_spill_count: 0
    .symbol:         _ZN9rocsolver6v33100L18trti2_kernel_smallILi34EfPKPfEEv13rocblas_fill_17rocblas_diagonal_T1_iil.kd
    .uniform_work_group_size: 1
    .uses_dynamic_stack: false
    .vgpr_count:     92
    .vgpr_spill_count: 0
    .wavefront_size: 64
  - .agpr_count:     0
    .args:
      - .offset:         0
        .size:           4
        .value_kind:     by_value
      - .offset:         4
        .size:           4
        .value_kind:     by_value
      - .address_space:  global
        .offset:         8
        .size:           8
        .value_kind:     global_buffer
      - .offset:         16
        .size:           4
        .value_kind:     by_value
      - .offset:         20
        .size:           4
        .value_kind:     by_value
      - .offset:         24
        .size:           8
        .value_kind:     by_value
    .group_segment_fixed_size: 284
    .kernarg_segment_align: 8
    .kernarg_segment_size: 32
    .language:       OpenCL C
    .language_version:
      - 2
      - 0
    .max_flat_workgroup_size: 64
    .name:           _ZN9rocsolver6v33100L18trti2_kernel_smallILi35EfPKPfEEv13rocblas_fill_17rocblas_diagonal_T1_iil
    .private_segment_fixed_size: 144
    .sgpr_count:     20
    .sgpr_spill_count: 0
    .symbol:         _ZN9rocsolver6v33100L18trti2_kernel_smallILi35EfPKPfEEv13rocblas_fill_17rocblas_diagonal_T1_iil.kd
    .uniform_work_group_size: 1
    .uses_dynamic_stack: false
    .vgpr_count:     94
    .vgpr_spill_count: 0
    .wavefront_size: 64
  - .agpr_count:     0
    .args:
      - .offset:         0
        .size:           4
        .value_kind:     by_value
      - .offset:         4
        .size:           4
        .value_kind:     by_value
      - .address_space:  global
        .offset:         8
        .size:           8
        .value_kind:     global_buffer
      - .offset:         16
        .size:           4
        .value_kind:     by_value
      - .offset:         20
        .size:           4
        .value_kind:     by_value
      - .offset:         24
        .size:           8
        .value_kind:     by_value
    .group_segment_fixed_size: 288
    .kernarg_segment_align: 8
    .kernarg_segment_size: 32
    .language:       OpenCL C
    .language_version:
      - 2
      - 0
    .max_flat_workgroup_size: 64
    .name:           _ZN9rocsolver6v33100L18trti2_kernel_smallILi36EfPKPfEEv13rocblas_fill_17rocblas_diagonal_T1_iil
    .private_segment_fixed_size: 160
    .sgpr_count:     20
    .sgpr_spill_count: 0
    .symbol:         _ZN9rocsolver6v33100L18trti2_kernel_smallILi36EfPKPfEEv13rocblas_fill_17rocblas_diagonal_T1_iil.kd
    .uniform_work_group_size: 1
    .uses_dynamic_stack: false
    .vgpr_count:     110
    .vgpr_spill_count: 0
    .wavefront_size: 64
  - .agpr_count:     0
    .args:
      - .offset:         0
        .size:           4
        .value_kind:     by_value
      - .offset:         4
        .size:           4
        .value_kind:     by_value
      - .address_space:  global
        .offset:         8
        .size:           8
        .value_kind:     global_buffer
      - .offset:         16
        .size:           4
        .value_kind:     by_value
      - .offset:         20
        .size:           4
        .value_kind:     by_value
      - .offset:         24
        .size:           8
        .value_kind:     by_value
    .group_segment_fixed_size: 308
    .kernarg_segment_align: 8
    .kernarg_segment_size: 32
    .language:       OpenCL C
    .language_version:
      - 2
      - 0
    .max_flat_workgroup_size: 64
    .name:           _ZN9rocsolver6v33100L18trti2_kernel_smallILi37EfPKPfEEv13rocblas_fill_17rocblas_diagonal_T1_iil
    .private_segment_fixed_size: 160
    .sgpr_count:     20
    .sgpr_spill_count: 0
    .symbol:         _ZN9rocsolver6v33100L18trti2_kernel_smallILi37EfPKPfEEv13rocblas_fill_17rocblas_diagonal_T1_iil.kd
    .uniform_work_group_size: 1
    .uses_dynamic_stack: false
    .vgpr_count:     113
    .vgpr_spill_count: 0
    .wavefront_size: 64
  - .agpr_count:     0
    .args:
      - .offset:         0
        .size:           4
        .value_kind:     by_value
      - .offset:         4
        .size:           4
        .value_kind:     by_value
      - .address_space:  global
        .offset:         8
        .size:           8
        .value_kind:     global_buffer
      - .offset:         16
        .size:           4
        .value_kind:     by_value
      - .offset:         20
        .size:           4
        .value_kind:     by_value
      - .offset:         24
        .size:           8
        .value_kind:     by_value
    .group_segment_fixed_size: 312
    .kernarg_segment_align: 8
    .kernarg_segment_size: 32
    .language:       OpenCL C
    .language_version:
      - 2
      - 0
    .max_flat_workgroup_size: 64
    .name:           _ZN9rocsolver6v33100L18trti2_kernel_smallILi38EfPKPfEEv13rocblas_fill_17rocblas_diagonal_T1_iil
    .private_segment_fixed_size: 160
    .sgpr_count:     20
    .sgpr_spill_count: 0
    .symbol:         _ZN9rocsolver6v33100L18trti2_kernel_smallILi38EfPKPfEEv13rocblas_fill_17rocblas_diagonal_T1_iil.kd
    .uniform_work_group_size: 1
    .uses_dynamic_stack: false
    .vgpr_count:     116
    .vgpr_spill_count: 0
    .wavefront_size: 64
  - .agpr_count:     0
    .args:
      - .offset:         0
        .size:           4
        .value_kind:     by_value
      - .offset:         4
        .size:           4
        .value_kind:     by_value
      - .address_space:  global
        .offset:         8
        .size:           8
        .value_kind:     global_buffer
      - .offset:         16
        .size:           4
        .value_kind:     by_value
      - .offset:         20
        .size:           4
        .value_kind:     by_value
      - .offset:         24
        .size:           8
        .value_kind:     by_value
    .group_segment_fixed_size: 316
    .kernarg_segment_align: 8
    .kernarg_segment_size: 32
    .language:       OpenCL C
    .language_version:
      - 2
      - 0
    .max_flat_workgroup_size: 64
    .name:           _ZN9rocsolver6v33100L18trti2_kernel_smallILi39EfPKPfEEv13rocblas_fill_17rocblas_diagonal_T1_iil
    .private_segment_fixed_size: 160
    .sgpr_count:     20
    .sgpr_spill_count: 0
    .symbol:         _ZN9rocsolver6v33100L18trti2_kernel_smallILi39EfPKPfEEv13rocblas_fill_17rocblas_diagonal_T1_iil.kd
    .uniform_work_group_size: 1
    .uses_dynamic_stack: false
    .vgpr_count:     119
    .vgpr_spill_count: 0
    .wavefront_size: 64
  - .agpr_count:     0
    .args:
      - .offset:         0
        .size:           4
        .value_kind:     by_value
      - .offset:         4
        .size:           4
        .value_kind:     by_value
      - .address_space:  global
        .offset:         8
        .size:           8
        .value_kind:     global_buffer
      - .offset:         16
        .size:           4
        .value_kind:     by_value
      - .offset:         20
        .size:           4
        .value_kind:     by_value
      - .offset:         24
        .size:           8
        .value_kind:     by_value
    .group_segment_fixed_size: 320
    .kernarg_segment_align: 8
    .kernarg_segment_size: 32
    .language:       OpenCL C
    .language_version:
      - 2
      - 0
    .max_flat_workgroup_size: 64
    .name:           _ZN9rocsolver6v33100L18trti2_kernel_smallILi40EfPKPfEEv13rocblas_fill_17rocblas_diagonal_T1_iil
    .private_segment_fixed_size: 176
    .sgpr_count:     20
    .sgpr_spill_count: 0
    .symbol:         _ZN9rocsolver6v33100L18trti2_kernel_smallILi40EfPKPfEEv13rocblas_fill_17rocblas_diagonal_T1_iil.kd
    .uniform_work_group_size: 1
    .uses_dynamic_stack: false
    .vgpr_count:     122
    .vgpr_spill_count: 0
    .wavefront_size: 64
  - .agpr_count:     0
    .args:
      - .offset:         0
        .size:           4
        .value_kind:     by_value
      - .offset:         4
        .size:           4
        .value_kind:     by_value
      - .address_space:  global
        .offset:         8
        .size:           8
        .value_kind:     global_buffer
      - .offset:         16
        .size:           4
        .value_kind:     by_value
      - .offset:         20
        .size:           4
        .value_kind:     by_value
      - .offset:         24
        .size:           8
        .value_kind:     by_value
    .group_segment_fixed_size: 340
    .kernarg_segment_align: 8
    .kernarg_segment_size: 32
    .language:       OpenCL C
    .language_version:
      - 2
      - 0
    .max_flat_workgroup_size: 64
    .name:           _ZN9rocsolver6v33100L18trti2_kernel_smallILi41EfPKPfEEv13rocblas_fill_17rocblas_diagonal_T1_iil
    .private_segment_fixed_size: 176
    .sgpr_count:     20
    .sgpr_spill_count: 0
    .symbol:         _ZN9rocsolver6v33100L18trti2_kernel_smallILi41EfPKPfEEv13rocblas_fill_17rocblas_diagonal_T1_iil.kd
    .uniform_work_group_size: 1
    .uses_dynamic_stack: false
    .vgpr_count:     124
    .vgpr_spill_count: 0
    .wavefront_size: 64
  - .agpr_count:     0
    .args:
      - .offset:         0
        .size:           4
        .value_kind:     by_value
      - .offset:         4
        .size:           4
        .value_kind:     by_value
      - .address_space:  global
        .offset:         8
        .size:           8
        .value_kind:     global_buffer
      - .offset:         16
        .size:           4
        .value_kind:     by_value
      - .offset:         20
        .size:           4
        .value_kind:     by_value
      - .offset:         24
        .size:           8
        .value_kind:     by_value
    .group_segment_fixed_size: 344
    .kernarg_segment_align: 8
    .kernarg_segment_size: 32
    .language:       OpenCL C
    .language_version:
      - 2
      - 0
    .max_flat_workgroup_size: 64
    .name:           _ZN9rocsolver6v33100L18trti2_kernel_smallILi42EfPKPfEEv13rocblas_fill_17rocblas_diagonal_T1_iil
    .private_segment_fixed_size: 176
    .sgpr_count:     20
    .sgpr_spill_count: 0
    .symbol:         _ZN9rocsolver6v33100L18trti2_kernel_smallILi42EfPKPfEEv13rocblas_fill_17rocblas_diagonal_T1_iil.kd
    .uniform_work_group_size: 1
    .uses_dynamic_stack: false
    .vgpr_count:     124
    .vgpr_spill_count: 0
    .wavefront_size: 64
  - .agpr_count:     0
    .args:
      - .offset:         0
        .size:           4
        .value_kind:     by_value
      - .offset:         4
        .size:           4
        .value_kind:     by_value
      - .address_space:  global
        .offset:         8
        .size:           8
        .value_kind:     global_buffer
      - .offset:         16
        .size:           4
        .value_kind:     by_value
      - .offset:         20
        .size:           4
        .value_kind:     by_value
      - .offset:         24
        .size:           8
        .value_kind:     by_value
    .group_segment_fixed_size: 348
    .kernarg_segment_align: 8
    .kernarg_segment_size: 32
    .language:       OpenCL C
    .language_version:
      - 2
      - 0
    .max_flat_workgroup_size: 64
    .name:           _ZN9rocsolver6v33100L18trti2_kernel_smallILi43EfPKPfEEv13rocblas_fill_17rocblas_diagonal_T1_iil
    .private_segment_fixed_size: 176
    .sgpr_count:     20
    .sgpr_spill_count: 0
    .symbol:         _ZN9rocsolver6v33100L18trti2_kernel_smallILi43EfPKPfEEv13rocblas_fill_17rocblas_diagonal_T1_iil.kd
    .uniform_work_group_size: 1
    .uses_dynamic_stack: false
    .vgpr_count:     124
    .vgpr_spill_count: 0
    .wavefront_size: 64
  - .agpr_count:     0
    .args:
      - .offset:         0
        .size:           4
        .value_kind:     by_value
      - .offset:         4
        .size:           4
        .value_kind:     by_value
      - .address_space:  global
        .offset:         8
        .size:           8
        .value_kind:     global_buffer
      - .offset:         16
        .size:           4
        .value_kind:     by_value
      - .offset:         20
        .size:           4
        .value_kind:     by_value
      - .offset:         24
        .size:           8
        .value_kind:     by_value
    .group_segment_fixed_size: 352
    .kernarg_segment_align: 8
    .kernarg_segment_size: 32
    .language:       OpenCL C
    .language_version:
      - 2
      - 0
    .max_flat_workgroup_size: 64
    .name:           _ZN9rocsolver6v33100L18trti2_kernel_smallILi44EfPKPfEEv13rocblas_fill_17rocblas_diagonal_T1_iil
    .private_segment_fixed_size: 192
    .sgpr_count:     20
    .sgpr_spill_count: 0
    .symbol:         _ZN9rocsolver6v33100L18trti2_kernel_smallILi44EfPKPfEEv13rocblas_fill_17rocblas_diagonal_T1_iil.kd
    .uniform_work_group_size: 1
    .uses_dynamic_stack: false
    .vgpr_count:     124
    .vgpr_spill_count: 0
    .wavefront_size: 64
  - .agpr_count:     0
    .args:
      - .offset:         0
        .size:           4
        .value_kind:     by_value
      - .offset:         4
        .size:           4
        .value_kind:     by_value
      - .address_space:  global
        .offset:         8
        .size:           8
        .value_kind:     global_buffer
      - .offset:         16
        .size:           4
        .value_kind:     by_value
      - .offset:         20
        .size:           4
        .value_kind:     by_value
      - .offset:         24
        .size:           8
        .value_kind:     by_value
    .group_segment_fixed_size: 372
    .kernarg_segment_align: 8
    .kernarg_segment_size: 32
    .language:       OpenCL C
    .language_version:
      - 2
      - 0
    .max_flat_workgroup_size: 64
    .name:           _ZN9rocsolver6v33100L18trti2_kernel_smallILi45EfPKPfEEv13rocblas_fill_17rocblas_diagonal_T1_iil
    .private_segment_fixed_size: 192
    .sgpr_count:     20
    .sgpr_spill_count: 0
    .symbol:         _ZN9rocsolver6v33100L18trti2_kernel_smallILi45EfPKPfEEv13rocblas_fill_17rocblas_diagonal_T1_iil.kd
    .uniform_work_group_size: 1
    .uses_dynamic_stack: false
    .vgpr_count:     124
    .vgpr_spill_count: 0
    .wavefront_size: 64
  - .agpr_count:     0
    .args:
      - .offset:         0
        .size:           4
        .value_kind:     by_value
      - .offset:         4
        .size:           4
        .value_kind:     by_value
      - .address_space:  global
        .offset:         8
        .size:           8
        .value_kind:     global_buffer
      - .offset:         16
        .size:           4
        .value_kind:     by_value
      - .offset:         20
        .size:           4
        .value_kind:     by_value
      - .offset:         24
        .size:           8
        .value_kind:     by_value
    .group_segment_fixed_size: 376
    .kernarg_segment_align: 8
    .kernarg_segment_size: 32
    .language:       OpenCL C
    .language_version:
      - 2
      - 0
    .max_flat_workgroup_size: 64
    .name:           _ZN9rocsolver6v33100L18trti2_kernel_smallILi46EfPKPfEEv13rocblas_fill_17rocblas_diagonal_T1_iil
    .private_segment_fixed_size: 192
    .sgpr_count:     20
    .sgpr_spill_count: 0
    .symbol:         _ZN9rocsolver6v33100L18trti2_kernel_smallILi46EfPKPfEEv13rocblas_fill_17rocblas_diagonal_T1_iil.kd
    .uniform_work_group_size: 1
    .uses_dynamic_stack: false
    .vgpr_count:     124
    .vgpr_spill_count: 0
    .wavefront_size: 64
  - .agpr_count:     0
    .args:
      - .offset:         0
        .size:           4
        .value_kind:     by_value
      - .offset:         4
        .size:           4
        .value_kind:     by_value
      - .address_space:  global
        .offset:         8
        .size:           8
        .value_kind:     global_buffer
      - .offset:         16
        .size:           4
        .value_kind:     by_value
      - .offset:         20
        .size:           4
        .value_kind:     by_value
      - .offset:         24
        .size:           8
        .value_kind:     by_value
    .group_segment_fixed_size: 380
    .kernarg_segment_align: 8
    .kernarg_segment_size: 32
    .language:       OpenCL C
    .language_version:
      - 2
      - 0
    .max_flat_workgroup_size: 64
    .name:           _ZN9rocsolver6v33100L18trti2_kernel_smallILi47EfPKPfEEv13rocblas_fill_17rocblas_diagonal_T1_iil
    .private_segment_fixed_size: 192
    .sgpr_count:     20
    .sgpr_spill_count: 0
    .symbol:         _ZN9rocsolver6v33100L18trti2_kernel_smallILi47EfPKPfEEv13rocblas_fill_17rocblas_diagonal_T1_iil.kd
    .uniform_work_group_size: 1
    .uses_dynamic_stack: false
    .vgpr_count:     124
    .vgpr_spill_count: 0
    .wavefront_size: 64
  - .agpr_count:     0
    .args:
      - .offset:         0
        .size:           4
        .value_kind:     by_value
      - .offset:         4
        .size:           4
        .value_kind:     by_value
      - .address_space:  global
        .offset:         8
        .size:           8
        .value_kind:     global_buffer
      - .offset:         16
        .size:           4
        .value_kind:     by_value
      - .offset:         20
        .size:           4
        .value_kind:     by_value
      - .offset:         24
        .size:           8
        .value_kind:     by_value
    .group_segment_fixed_size: 384
    .kernarg_segment_align: 8
    .kernarg_segment_size: 32
    .language:       OpenCL C
    .language_version:
      - 2
      - 0
    .max_flat_workgroup_size: 64
    .name:           _ZN9rocsolver6v33100L18trti2_kernel_smallILi48EfPKPfEEv13rocblas_fill_17rocblas_diagonal_T1_iil
    .private_segment_fixed_size: 208
    .sgpr_count:     20
    .sgpr_spill_count: 0
    .symbol:         _ZN9rocsolver6v33100L18trti2_kernel_smallILi48EfPKPfEEv13rocblas_fill_17rocblas_diagonal_T1_iil.kd
    .uniform_work_group_size: 1
    .uses_dynamic_stack: false
    .vgpr_count:     127
    .vgpr_spill_count: 0
    .wavefront_size: 64
  - .agpr_count:     0
    .args:
      - .offset:         0
        .size:           4
        .value_kind:     by_value
      - .offset:         4
        .size:           4
        .value_kind:     by_value
      - .address_space:  global
        .offset:         8
        .size:           8
        .value_kind:     global_buffer
      - .offset:         16
        .size:           4
        .value_kind:     by_value
      - .offset:         20
        .size:           4
        .value_kind:     by_value
      - .offset:         24
        .size:           8
        .value_kind:     by_value
    .group_segment_fixed_size: 404
    .kernarg_segment_align: 8
    .kernarg_segment_size: 32
    .language:       OpenCL C
    .language_version:
      - 2
      - 0
    .max_flat_workgroup_size: 64
    .name:           _ZN9rocsolver6v33100L18trti2_kernel_smallILi49EfPKPfEEv13rocblas_fill_17rocblas_diagonal_T1_iil
    .private_segment_fixed_size: 208
    .sgpr_count:     20
    .sgpr_spill_count: 0
    .symbol:         _ZN9rocsolver6v33100L18trti2_kernel_smallILi49EfPKPfEEv13rocblas_fill_17rocblas_diagonal_T1_iil.kd
    .uniform_work_group_size: 1
    .uses_dynamic_stack: false
    .vgpr_count:     149
    .vgpr_spill_count: 0
    .wavefront_size: 64
  - .agpr_count:     0
    .args:
      - .offset:         0
        .size:           4
        .value_kind:     by_value
      - .offset:         4
        .size:           4
        .value_kind:     by_value
      - .address_space:  global
        .offset:         8
        .size:           8
        .value_kind:     global_buffer
      - .offset:         16
        .size:           4
        .value_kind:     by_value
      - .offset:         20
        .size:           4
        .value_kind:     by_value
      - .offset:         24
        .size:           8
        .value_kind:     by_value
    .group_segment_fixed_size: 408
    .kernarg_segment_align: 8
    .kernarg_segment_size: 32
    .language:       OpenCL C
    .language_version:
      - 2
      - 0
    .max_flat_workgroup_size: 64
    .name:           _ZN9rocsolver6v33100L18trti2_kernel_smallILi50EfPKPfEEv13rocblas_fill_17rocblas_diagonal_T1_iil
    .private_segment_fixed_size: 208
    .sgpr_count:     20
    .sgpr_spill_count: 0
    .symbol:         _ZN9rocsolver6v33100L18trti2_kernel_smallILi50EfPKPfEEv13rocblas_fill_17rocblas_diagonal_T1_iil.kd
    .uniform_work_group_size: 1
    .uses_dynamic_stack: false
    .vgpr_count:     152
    .vgpr_spill_count: 0
    .wavefront_size: 64
  - .agpr_count:     0
    .args:
      - .offset:         0
        .size:           4
        .value_kind:     by_value
      - .offset:         4
        .size:           4
        .value_kind:     by_value
      - .address_space:  global
        .offset:         8
        .size:           8
        .value_kind:     global_buffer
      - .offset:         16
        .size:           4
        .value_kind:     by_value
      - .offset:         20
        .size:           4
        .value_kind:     by_value
      - .offset:         24
        .size:           8
        .value_kind:     by_value
    .group_segment_fixed_size: 412
    .kernarg_segment_align: 8
    .kernarg_segment_size: 32
    .language:       OpenCL C
    .language_version:
      - 2
      - 0
    .max_flat_workgroup_size: 64
    .name:           _ZN9rocsolver6v33100L18trti2_kernel_smallILi51EfPKPfEEv13rocblas_fill_17rocblas_diagonal_T1_iil
    .private_segment_fixed_size: 208
    .sgpr_count:     20
    .sgpr_spill_count: 0
    .symbol:         _ZN9rocsolver6v33100L18trti2_kernel_smallILi51EfPKPfEEv13rocblas_fill_17rocblas_diagonal_T1_iil.kd
    .uniform_work_group_size: 1
    .uses_dynamic_stack: false
    .vgpr_count:     155
    .vgpr_spill_count: 0
    .wavefront_size: 64
  - .agpr_count:     0
    .args:
      - .offset:         0
        .size:           4
        .value_kind:     by_value
      - .offset:         4
        .size:           4
        .value_kind:     by_value
      - .address_space:  global
        .offset:         8
        .size:           8
        .value_kind:     global_buffer
      - .offset:         16
        .size:           4
        .value_kind:     by_value
      - .offset:         20
        .size:           4
        .value_kind:     by_value
      - .offset:         24
        .size:           8
        .value_kind:     by_value
    .group_segment_fixed_size: 416
    .kernarg_segment_align: 8
    .kernarg_segment_size: 32
    .language:       OpenCL C
    .language_version:
      - 2
      - 0
    .max_flat_workgroup_size: 64
    .name:           _ZN9rocsolver6v33100L18trti2_kernel_smallILi52EfPKPfEEv13rocblas_fill_17rocblas_diagonal_T1_iil
    .private_segment_fixed_size: 224
    .sgpr_count:     20
    .sgpr_spill_count: 0
    .symbol:         _ZN9rocsolver6v33100L18trti2_kernel_smallILi52EfPKPfEEv13rocblas_fill_17rocblas_diagonal_T1_iil.kd
    .uniform_work_group_size: 1
    .uses_dynamic_stack: false
    .vgpr_count:     158
    .vgpr_spill_count: 0
    .wavefront_size: 64
  - .agpr_count:     0
    .args:
      - .offset:         0
        .size:           4
        .value_kind:     by_value
      - .offset:         4
        .size:           4
        .value_kind:     by_value
      - .address_space:  global
        .offset:         8
        .size:           8
        .value_kind:     global_buffer
      - .offset:         16
        .size:           4
        .value_kind:     by_value
      - .offset:         20
        .size:           4
        .value_kind:     by_value
      - .offset:         24
        .size:           8
        .value_kind:     by_value
    .group_segment_fixed_size: 436
    .kernarg_segment_align: 8
    .kernarg_segment_size: 32
    .language:       OpenCL C
    .language_version:
      - 2
      - 0
    .max_flat_workgroup_size: 64
    .name:           _ZN9rocsolver6v33100L18trti2_kernel_smallILi53EfPKPfEEv13rocblas_fill_17rocblas_diagonal_T1_iil
    .private_segment_fixed_size: 224
    .sgpr_count:     20
    .sgpr_spill_count: 0
    .symbol:         _ZN9rocsolver6v33100L18trti2_kernel_smallILi53EfPKPfEEv13rocblas_fill_17rocblas_diagonal_T1_iil.kd
    .uniform_work_group_size: 1
    .uses_dynamic_stack: false
    .vgpr_count:     161
    .vgpr_spill_count: 0
    .wavefront_size: 64
  - .agpr_count:     0
    .args:
      - .offset:         0
        .size:           4
        .value_kind:     by_value
      - .offset:         4
        .size:           4
        .value_kind:     by_value
      - .address_space:  global
        .offset:         8
        .size:           8
        .value_kind:     global_buffer
      - .offset:         16
        .size:           4
        .value_kind:     by_value
      - .offset:         20
        .size:           4
        .value_kind:     by_value
      - .offset:         24
        .size:           8
        .value_kind:     by_value
    .group_segment_fixed_size: 440
    .kernarg_segment_align: 8
    .kernarg_segment_size: 32
    .language:       OpenCL C
    .language_version:
      - 2
      - 0
    .max_flat_workgroup_size: 64
    .name:           _ZN9rocsolver6v33100L18trti2_kernel_smallILi54EfPKPfEEv13rocblas_fill_17rocblas_diagonal_T1_iil
    .private_segment_fixed_size: 224
    .sgpr_count:     20
    .sgpr_spill_count: 0
    .symbol:         _ZN9rocsolver6v33100L18trti2_kernel_smallILi54EfPKPfEEv13rocblas_fill_17rocblas_diagonal_T1_iil.kd
    .uniform_work_group_size: 1
    .uses_dynamic_stack: false
    .vgpr_count:     164
    .vgpr_spill_count: 0
    .wavefront_size: 64
  - .agpr_count:     0
    .args:
      - .offset:         0
        .size:           4
        .value_kind:     by_value
      - .offset:         4
        .size:           4
        .value_kind:     by_value
      - .address_space:  global
        .offset:         8
        .size:           8
        .value_kind:     global_buffer
      - .offset:         16
        .size:           4
        .value_kind:     by_value
      - .offset:         20
        .size:           4
        .value_kind:     by_value
      - .offset:         24
        .size:           8
        .value_kind:     by_value
    .group_segment_fixed_size: 444
    .kernarg_segment_align: 8
    .kernarg_segment_size: 32
    .language:       OpenCL C
    .language_version:
      - 2
      - 0
    .max_flat_workgroup_size: 64
    .name:           _ZN9rocsolver6v33100L18trti2_kernel_smallILi55EfPKPfEEv13rocblas_fill_17rocblas_diagonal_T1_iil
    .private_segment_fixed_size: 224
    .sgpr_count:     20
    .sgpr_spill_count: 0
    .symbol:         _ZN9rocsolver6v33100L18trti2_kernel_smallILi55EfPKPfEEv13rocblas_fill_17rocblas_diagonal_T1_iil.kd
    .uniform_work_group_size: 1
    .uses_dynamic_stack: false
    .vgpr_count:     164
    .vgpr_spill_count: 0
    .wavefront_size: 64
  - .agpr_count:     0
    .args:
      - .offset:         0
        .size:           4
        .value_kind:     by_value
      - .offset:         4
        .size:           4
        .value_kind:     by_value
      - .address_space:  global
        .offset:         8
        .size:           8
        .value_kind:     global_buffer
      - .offset:         16
        .size:           4
        .value_kind:     by_value
      - .offset:         20
        .size:           4
        .value_kind:     by_value
      - .offset:         24
        .size:           8
        .value_kind:     by_value
    .group_segment_fixed_size: 448
    .kernarg_segment_align: 8
    .kernarg_segment_size: 32
    .language:       OpenCL C
    .language_version:
      - 2
      - 0
    .max_flat_workgroup_size: 64
    .name:           _ZN9rocsolver6v33100L18trti2_kernel_smallILi56EfPKPfEEv13rocblas_fill_17rocblas_diagonal_T1_iil
    .private_segment_fixed_size: 240
    .sgpr_count:     20
    .sgpr_spill_count: 0
    .symbol:         _ZN9rocsolver6v33100L18trti2_kernel_smallILi56EfPKPfEEv13rocblas_fill_17rocblas_diagonal_T1_iil.kd
    .uniform_work_group_size: 1
    .uses_dynamic_stack: false
    .vgpr_count:     164
    .vgpr_spill_count: 0
    .wavefront_size: 64
  - .agpr_count:     0
    .args:
      - .offset:         0
        .size:           4
        .value_kind:     by_value
      - .offset:         4
        .size:           4
        .value_kind:     by_value
      - .address_space:  global
        .offset:         8
        .size:           8
        .value_kind:     global_buffer
      - .offset:         16
        .size:           4
        .value_kind:     by_value
      - .offset:         20
        .size:           4
        .value_kind:     by_value
      - .offset:         24
        .size:           8
        .value_kind:     by_value
    .group_segment_fixed_size: 468
    .kernarg_segment_align: 8
    .kernarg_segment_size: 32
    .language:       OpenCL C
    .language_version:
      - 2
      - 0
    .max_flat_workgroup_size: 64
    .name:           _ZN9rocsolver6v33100L18trti2_kernel_smallILi57EfPKPfEEv13rocblas_fill_17rocblas_diagonal_T1_iil
    .private_segment_fixed_size: 240
    .sgpr_count:     20
    .sgpr_spill_count: 0
    .symbol:         _ZN9rocsolver6v33100L18trti2_kernel_smallILi57EfPKPfEEv13rocblas_fill_17rocblas_diagonal_T1_iil.kd
    .uniform_work_group_size: 1
    .uses_dynamic_stack: false
    .vgpr_count:     164
    .vgpr_spill_count: 0
    .wavefront_size: 64
  - .agpr_count:     0
    .args:
      - .offset:         0
        .size:           4
        .value_kind:     by_value
      - .offset:         4
        .size:           4
        .value_kind:     by_value
      - .address_space:  global
        .offset:         8
        .size:           8
        .value_kind:     global_buffer
      - .offset:         16
        .size:           4
        .value_kind:     by_value
      - .offset:         20
        .size:           4
        .value_kind:     by_value
      - .offset:         24
        .size:           8
        .value_kind:     by_value
    .group_segment_fixed_size: 472
    .kernarg_segment_align: 8
    .kernarg_segment_size: 32
    .language:       OpenCL C
    .language_version:
      - 2
      - 0
    .max_flat_workgroup_size: 64
    .name:           _ZN9rocsolver6v33100L18trti2_kernel_smallILi58EfPKPfEEv13rocblas_fill_17rocblas_diagonal_T1_iil
    .private_segment_fixed_size: 240
    .sgpr_count:     20
    .sgpr_spill_count: 0
    .symbol:         _ZN9rocsolver6v33100L18trti2_kernel_smallILi58EfPKPfEEv13rocblas_fill_17rocblas_diagonal_T1_iil.kd
    .uniform_work_group_size: 1
    .uses_dynamic_stack: false
    .vgpr_count:     164
    .vgpr_spill_count: 0
    .wavefront_size: 64
  - .agpr_count:     0
    .args:
      - .offset:         0
        .size:           4
        .value_kind:     by_value
      - .offset:         4
        .size:           4
        .value_kind:     by_value
      - .address_space:  global
        .offset:         8
        .size:           8
        .value_kind:     global_buffer
      - .offset:         16
        .size:           4
        .value_kind:     by_value
      - .offset:         20
        .size:           4
        .value_kind:     by_value
      - .offset:         24
        .size:           8
        .value_kind:     by_value
    .group_segment_fixed_size: 476
    .kernarg_segment_align: 8
    .kernarg_segment_size: 32
    .language:       OpenCL C
    .language_version:
      - 2
      - 0
    .max_flat_workgroup_size: 64
    .name:           _ZN9rocsolver6v33100L18trti2_kernel_smallILi59EfPKPfEEv13rocblas_fill_17rocblas_diagonal_T1_iil
    .private_segment_fixed_size: 240
    .sgpr_count:     20
    .sgpr_spill_count: 0
    .symbol:         _ZN9rocsolver6v33100L18trti2_kernel_smallILi59EfPKPfEEv13rocblas_fill_17rocblas_diagonal_T1_iil.kd
    .uniform_work_group_size: 1
    .uses_dynamic_stack: false
    .vgpr_count:     165
    .vgpr_spill_count: 0
    .wavefront_size: 64
  - .agpr_count:     0
    .args:
      - .offset:         0
        .size:           4
        .value_kind:     by_value
      - .offset:         4
        .size:           4
        .value_kind:     by_value
      - .address_space:  global
        .offset:         8
        .size:           8
        .value_kind:     global_buffer
      - .offset:         16
        .size:           4
        .value_kind:     by_value
      - .offset:         20
        .size:           4
        .value_kind:     by_value
      - .offset:         24
        .size:           8
        .value_kind:     by_value
    .group_segment_fixed_size: 480
    .kernarg_segment_align: 8
    .kernarg_segment_size: 32
    .language:       OpenCL C
    .language_version:
      - 2
      - 0
    .max_flat_workgroup_size: 64
    .name:           _ZN9rocsolver6v33100L18trti2_kernel_smallILi60EfPKPfEEv13rocblas_fill_17rocblas_diagonal_T1_iil
    .private_segment_fixed_size: 256
    .sgpr_count:     20
    .sgpr_spill_count: 0
    .symbol:         _ZN9rocsolver6v33100L18trti2_kernel_smallILi60EfPKPfEEv13rocblas_fill_17rocblas_diagonal_T1_iil.kd
    .uniform_work_group_size: 1
    .uses_dynamic_stack: false
    .vgpr_count:     165
    .vgpr_spill_count: 0
    .wavefront_size: 64
  - .agpr_count:     0
    .args:
      - .offset:         0
        .size:           4
        .value_kind:     by_value
      - .offset:         4
        .size:           4
        .value_kind:     by_value
      - .address_space:  global
        .offset:         8
        .size:           8
        .value_kind:     global_buffer
      - .offset:         16
        .size:           4
        .value_kind:     by_value
      - .offset:         20
        .size:           4
        .value_kind:     by_value
      - .offset:         24
        .size:           8
        .value_kind:     by_value
    .group_segment_fixed_size: 500
    .kernarg_segment_align: 8
    .kernarg_segment_size: 32
    .language:       OpenCL C
    .language_version:
      - 2
      - 0
    .max_flat_workgroup_size: 64
    .name:           _ZN9rocsolver6v33100L18trti2_kernel_smallILi61EfPKPfEEv13rocblas_fill_17rocblas_diagonal_T1_iil
    .private_segment_fixed_size: 256
    .sgpr_count:     20
    .sgpr_spill_count: 0
    .symbol:         _ZN9rocsolver6v33100L18trti2_kernel_smallILi61EfPKPfEEv13rocblas_fill_17rocblas_diagonal_T1_iil.kd
    .uniform_work_group_size: 1
    .uses_dynamic_stack: false
    .vgpr_count:     165
    .vgpr_spill_count: 0
    .wavefront_size: 64
  - .agpr_count:     0
    .args:
      - .offset:         0
        .size:           4
        .value_kind:     by_value
      - .offset:         4
        .size:           4
        .value_kind:     by_value
      - .address_space:  global
        .offset:         8
        .size:           8
        .value_kind:     global_buffer
      - .offset:         16
        .size:           4
        .value_kind:     by_value
      - .offset:         20
        .size:           4
        .value_kind:     by_value
      - .offset:         24
        .size:           8
        .value_kind:     by_value
    .group_segment_fixed_size: 504
    .kernarg_segment_align: 8
    .kernarg_segment_size: 32
    .language:       OpenCL C
    .language_version:
      - 2
      - 0
    .max_flat_workgroup_size: 64
    .name:           _ZN9rocsolver6v33100L18trti2_kernel_smallILi62EfPKPfEEv13rocblas_fill_17rocblas_diagonal_T1_iil
    .private_segment_fixed_size: 256
    .sgpr_count:     20
    .sgpr_spill_count: 0
    .symbol:         _ZN9rocsolver6v33100L18trti2_kernel_smallILi62EfPKPfEEv13rocblas_fill_17rocblas_diagonal_T1_iil.kd
    .uniform_work_group_size: 1
    .uses_dynamic_stack: false
    .vgpr_count:     164
    .vgpr_spill_count: 0
    .wavefront_size: 64
  - .agpr_count:     0
    .args:
      - .offset:         0
        .size:           4
        .value_kind:     by_value
      - .offset:         4
        .size:           4
        .value_kind:     by_value
      - .address_space:  global
        .offset:         8
        .size:           8
        .value_kind:     global_buffer
      - .offset:         16
        .size:           4
        .value_kind:     by_value
      - .offset:         20
        .size:           4
        .value_kind:     by_value
      - .offset:         24
        .size:           8
        .value_kind:     by_value
    .group_segment_fixed_size: 508
    .kernarg_segment_align: 8
    .kernarg_segment_size: 32
    .language:       OpenCL C
    .language_version:
      - 2
      - 0
    .max_flat_workgroup_size: 64
    .name:           _ZN9rocsolver6v33100L18trti2_kernel_smallILi63EfPKPfEEv13rocblas_fill_17rocblas_diagonal_T1_iil
    .private_segment_fixed_size: 256
    .sgpr_count:     20
    .sgpr_spill_count: 0
    .symbol:         _ZN9rocsolver6v33100L18trti2_kernel_smallILi63EfPKPfEEv13rocblas_fill_17rocblas_diagonal_T1_iil.kd
    .uniform_work_group_size: 1
    .uses_dynamic_stack: false
    .vgpr_count:     164
    .vgpr_spill_count: 0
    .wavefront_size: 64
  - .agpr_count:     0
    .args:
      - .offset:         0
        .size:           4
        .value_kind:     by_value
      - .offset:         4
        .size:           4
        .value_kind:     by_value
      - .address_space:  global
        .offset:         8
        .size:           8
        .value_kind:     global_buffer
      - .offset:         16
        .size:           4
        .value_kind:     by_value
      - .offset:         20
        .size:           4
        .value_kind:     by_value
      - .offset:         24
        .size:           8
        .value_kind:     by_value
    .group_segment_fixed_size: 512
    .kernarg_segment_align: 8
    .kernarg_segment_size: 32
    .language:       OpenCL C
    .language_version:
      - 2
      - 0
    .max_flat_workgroup_size: 64
    .name:           _ZN9rocsolver6v33100L18trti2_kernel_smallILi64EfPKPfEEv13rocblas_fill_17rocblas_diagonal_T1_iil
    .private_segment_fixed_size: 272
    .sgpr_count:     20
    .sgpr_spill_count: 0
    .symbol:         _ZN9rocsolver6v33100L18trti2_kernel_smallILi64EfPKPfEEv13rocblas_fill_17rocblas_diagonal_T1_iil.kd
    .uniform_work_group_size: 1
    .uses_dynamic_stack: false
    .vgpr_count:     167
    .vgpr_spill_count: 0
    .wavefront_size: 64
amdhsa.target:   amdgcn-amd-amdhsa--gfx90a
amdhsa.version:
  - 1
  - 2
...

	.end_amdgpu_metadata
